;; amdgpu-corpus repo=zjin-lcf/HeCBench kind=compiled arch=gfx950 opt=O3
	.amdgcn_target "amdgcn-amd-amdhsa--gfx950"
	.amdhsa_code_object_version 6
	.section	.text._Z11ratt_kernelIfEvPKT_PS0_S0_,"axG",@progbits,_Z11ratt_kernelIfEvPKT_PS0_S0_,comdat
	.protected	_Z11ratt_kernelIfEvPKT_PS0_S0_ ; -- Begin function _Z11ratt_kernelIfEvPKT_PS0_S0_
	.globl	_Z11ratt_kernelIfEvPKT_PS0_S0_
	.p2align	8
	.type	_Z11ratt_kernelIfEvPKT_PS0_S0_,@function
_Z11ratt_kernelIfEvPKT_PS0_S0_:         ; @_Z11ratt_kernelIfEvPKT_PS0_S0_
; %bb.0:
	s_load_dword s3, s[0:1], 0x24
	s_load_dwordx4 s[4:7], s[0:1], 0x0
	s_load_dword s8, s[0:1], 0x10
	s_load_dword s9, s[0:1], 0x18
	v_mov_b32_e32 v1, 0
	s_waitcnt lgkmcnt(0)
	s_and_b32 s0, s3, 0xffff
	s_mul_i32 s2, s2, s0
	v_add_u32_e32 v0, s2, v0
	v_lshlrev_b64 v[4:5], 2, v[0:1]
	v_lshl_add_u64 v[2:3], s[4:5], 0, v[4:5]
	global_load_dword v3, v[2:3], off
	s_mov_b32 s1, 0x800000
	v_lshl_add_u64 v[6:7], s[6:7], 0, v[4:5]
	s_mul_i32 s5, s9, s0
	s_mov_b32 s10, 0x3f317217
	s_mov_b32 s11, 0x7f800000
	v_mov_b32_e32 v12, 0x41b17218
	v_mov_b32_e32 v13, 0x4200330f
	;; [unrolled: 1-line block ×5, first 2 shown]
	s_mov_b32 s3, 0x3fb8aa3b
	s_mov_b32 s2, 0xc2ce8ed0
	;; [unrolled: 1-line block ×3, first 2 shown]
	v_mov_b32_e32 v2, 0x7f800000
	v_add_u32_e32 v0, s5, v0
	v_lshl_add_u64 v[8:9], v[0:1], 2, s[6:7]
	v_add_u32_e32 v0, s5, v0
	v_lshl_add_u64 v[10:11], v[0:1], 2, s[6:7]
	v_add_u32_e32 v0, s5, v0
	s_waitcnt vmcnt(0)
	v_mul_f32_e32 v4, s8, v3
	v_cmp_gt_f32_e32 vcc, s1, v4
	v_div_scale_f32 v5, s[0:1], v4, v4, 1.0
	s_nop 0
	v_cndmask_b32_e64 v3, 0, 32, vcc
	v_ldexp_f32 v3, v4, v3
	v_rcp_f32_e32 v17, v5
	v_log_f32_e32 v3, v3
	v_div_scale_f32 v18, s[0:1], 1.0, v4, 1.0
	v_fma_f32 v19, -v5, v17, 1.0
	v_mul_f32_e32 v20, 0x3f317217, v3
	v_fmac_f32_e32 v17, v19, v17
	v_fma_f32 v19, v3, s10, -v20
	v_mul_f32_e32 v20, v18, v17
	v_fmamk_f32 v19, v3, 0x3377d1cf, v19
	v_fma_f32 v21, -v5, v20, v18
	v_cndmask_b32_e32 v12, 0, v12, vcc
	v_fmac_f32_e32 v19, 0x3f317217, v3
	v_fmac_f32_e32 v20, v21, v17
	v_cmp_lt_f32_e64 vcc, |v3|, s11
	v_fma_f32 v5, -v5, v20, v18
	s_nop 0
	v_cndmask_b32_e32 v3, v3, v19, vcc
	s_mov_b64 vcc, s[0:1]
	v_div_fmas_f32 v5, v5, v17, v20
	v_sub_f32_e32 v3, v3, v12
	v_div_fixup_f32 v4, v5, v4, 1.0
	v_fmac_f32_e32 v14, 0x402ae148, v3
	v_fmac_f32_e32 v15, 0x3fc147ae, v3
	;; [unrolled: 1-line block ×4, first 2 shown]
	v_fmamk_f32 v12, v4, 0xc545d3ba, v14
	v_fmamk_f32 v14, v4, 0xc4d7c110, v15
	;; [unrolled: 1-line block ×3, first 2 shown]
	v_mul_f32_e32 v16, 0x3fb8aa3b, v13
	v_mul_f32_e32 v17, 0x3fb8aa3b, v12
	v_fma_f32 v20, v13, s3, -v16
	v_rndne_f32_e32 v21, v16
	v_mul_f32_e32 v18, 0x3fb8aa3b, v14
	v_fma_f32 v22, v12, s3, -v17
	v_rndne_f32_e32 v23, v17
	v_fmac_f32_e32 v20, 0x32a5705f, v13
	v_sub_f32_e32 v16, v16, v21
	v_fma_f32 v24, v14, s3, -v18
	v_rndne_f32_e32 v25, v18
	v_fmac_f32_e32 v22, 0x32a5705f, v12
	v_sub_f32_e32 v17, v17, v23
	v_add_f32_e32 v16, v16, v20
	v_cvt_i32_f32_e32 v21, v21
	v_fmac_f32_e32 v24, 0x32a5705f, v14
	v_sub_f32_e32 v18, v18, v25
	v_add_f32_e32 v17, v17, v22
	v_exp_f32_e32 v16, v16
	v_cvt_i32_f32_e32 v23, v23
	v_add_f32_e32 v18, v18, v24
	v_exp_f32_e32 v17, v17
	v_mul_f32_e32 v19, 0x3fb8aa3b, v15
	v_cvt_i32_f32_e32 v25, v25
	v_exp_f32_e32 v18, v18
	v_fma_f32 v26, v15, s3, -v19
	v_rndne_f32_e32 v27, v19
	v_fmac_f32_e32 v26, 0x32a5705f, v15
	v_sub_f32_e32 v19, v19, v27
	v_ldexp_f32 v16, v16, v21
	v_cmp_ngt_f32_e32 vcc, s2, v13
	v_add_f32_e32 v19, v19, v26
	v_ldexp_f32 v17, v17, v23
	v_cndmask_b32_e32 v16, 0, v16, vcc
	v_cmp_ngt_f32_e32 vcc, s2, v12
	v_cvt_i32_f32_e32 v27, v27
	v_exp_f32_e32 v19, v19
	v_ldexp_f32 v18, v18, v25
	v_cndmask_b32_e32 v17, 0, v17, vcc
	v_cmp_ngt_f32_e32 vcc, s2, v14
	v_ldexp_f32 v19, v19, v27
	v_mul_f32_e32 v5, v4, v4
	v_cndmask_b32_e32 v18, 0, v18, vcc
	v_cmp_nlt_f32_e32 vcc, s4, v13
	s_nop 1
	v_cndmask_b32_e32 v13, v2, v16, vcc
	v_cmp_nlt_f32_e32 vcc, s4, v12
	s_nop 1
	v_cndmask_b32_e32 v12, v2, v17, vcc
	v_cmp_nlt_f32_e32 vcc, s4, v14
	v_mov_b32_e32 v17, 0x554bba10
	s_nop 0
	v_cndmask_b32_e32 v14, v2, v18, vcc
	v_cmp_ngt_f32_e32 vcc, s2, v15
	global_store_dword v[6:7], v13, off
	global_store_dword v[8:9], v12, off
	global_store_dword v[10:11], v14, off
	v_cndmask_b32_e32 v6, 0, v19, vcc
	v_cmp_nlt_f32_e32 vcc, s4, v15
	v_mov_b32_e32 v9, 0x421c2783
	v_fmac_f32_e32 v9, 0xbf19999a, v3
	v_cndmask_b32_e32 v8, v2, v6, vcc
	v_lshl_add_u64 v[6:7], v[0:1], 2, s[6:7]
	global_store_dword v[6:7], v8, off
	v_mul_f32_e32 v6, 0x3fb8aa3b, v9
	v_fma_f32 v7, v9, s3, -v6
	v_rndne_f32_e32 v10, v6
	v_fmac_f32_e32 v7, 0x32a5705f, v9
	v_sub_f32_e32 v6, v6, v10
	v_add_f32_e32 v6, v6, v7
	v_exp_f32_e32 v11, v6
	v_cvt_i32_f32_e32 v10, v10
	v_add_u32_e32 v0, s5, v0
	v_mul_f32_e32 v8, 0x5d5e0b6b, v4
	v_lshl_add_u64 v[6:7], v[0:1], 2, s[6:7]
	global_store_dword v[6:7], v8, off
	v_ldexp_f32 v6, v11, v10
	v_cmp_ngt_f32_e32 vcc, s2, v9
	v_add_u32_e32 v0, s5, v0
	s_nop 0
	v_cndmask_b32_e32 v6, 0, v6, vcc
	v_cmp_nlt_f32_e32 vcc, s4, v9
	v_mov_b32_e32 v9, 0x423629db
	v_fmac_f32_e32 v9, 0xbfa00000, v3
	v_cndmask_b32_e32 v8, v2, v6, vcc
	v_mul_f32_e32 v6, 0x3fb8aa3b, v9
	v_fma_f32 v7, v9, s3, -v6
	v_rndne_f32_e32 v10, v6
	v_fmac_f32_e32 v7, 0x32a5705f, v9
	v_sub_f32_e32 v6, v6, v10
	v_add_f32_e32 v6, v6, v7
	v_exp_f32_e32 v11, v6
	v_cvt_i32_f32_e32 v10, v10
	v_lshl_add_u64 v[6:7], v[0:1], 2, s[6:7]
	global_store_dword v[6:7], v8, off
	v_cmp_ngt_f32_e32 vcc, s2, v9
	v_ldexp_f32 v6, v11, v10
	v_add_u32_e32 v0, s5, v0
	v_cndmask_b32_e32 v6, 0, v6, vcc
	v_cmp_nlt_f32_e32 vcc, s4, v9
	s_nop 1
	v_cndmask_b32_e32 v8, v2, v6, vcc
	v_lshl_add_u64 v[6:7], v[0:1], 2, s[6:7]
	v_add_u32_e32 v0, s5, v0
	global_store_dword v[6:7], v8, off
	v_mul_f32_e32 v8, 0x61ee8644, v5
	v_lshl_add_u64 v[6:7], v[0:1], 2, s[6:7]
	v_add_u32_e32 v0, s5, v0
	global_store_dword v[6:7], v8, off
	v_mul_f32_e32 v5, 0x649513eb, v5
	v_lshl_add_u64 v[6:7], v[0:1], 2, s[6:7]
	v_add_u32_e32 v0, s5, v0
	v_mov_b32_e32 v8, 0x4229e794
	global_store_dword v[6:7], v5, off
	v_mul_f32_e32 v5, 0x5cde0b6b, v4
	v_lshl_add_u64 v[6:7], v[0:1], 2, s[6:7]
	v_fmac_f32_e32 v8, 0xbf5c28f6, v3
	global_store_dword v[6:7], v5, off
	v_mul_f32_e32 v6, 0x3fb8aa3b, v8
	v_fma_f32 v7, v8, s3, -v6
	v_rndne_f32_e32 v9, v6
	v_fmac_f32_e32 v7, 0x32a5705f, v8
	v_sub_f32_e32 v6, v6, v9
	v_add_f32_e32 v6, v6, v7
	v_exp_f32_e32 v10, v6
	v_cvt_i32_f32_e32 v9, v9
	v_add_u32_e32 v0, s5, v0
	v_mul_f32_e32 v5, 0x5bd529af, v4
	v_lshl_add_u64 v[6:7], v[0:1], 2, s[6:7]
	global_store_dword v[6:7], v5, off
	v_ldexp_f32 v5, v10, v9
	v_cmp_ngt_f32_e32 vcc, s2, v8
	v_add_u32_e32 v0, s5, v0
	s_nop 0
	v_cndmask_b32_e32 v5, 0, v5, vcc
	v_cmp_nlt_f32_e32 vcc, s4, v8
	v_mov_b32_e32 v8, 0x423c99ec
	v_fmac_f32_e32 v8, 0xbfdc28f6, v3
	v_mul_f32_e32 v6, 0x3fb8aa3b, v8
	v_fma_f32 v7, v8, s3, -v6
	v_rndne_f32_e32 v9, v6
	v_fmac_f32_e32 v7, 0x32a5705f, v8
	v_sub_f32_e32 v6, v6, v9
	v_add_f32_e32 v6, v6, v7
	v_exp_f32_e32 v10, v6
	v_cvt_i32_f32_e32 v9, v9
	v_cndmask_b32_e32 v5, v2, v5, vcc
	v_lshl_add_u64 v[6:7], v[0:1], 2, s[6:7]
	global_store_dword v[6:7], v5, off
	v_ldexp_f32 v5, v10, v9
	v_cmp_ngt_f32_e32 vcc, s2, v8
	v_add_u32_e32 v0, s5, v0
	s_nop 0
	v_cndmask_b32_e32 v5, 0, v5, vcc
	v_cmp_nlt_f32_e32 vcc, s4, v8
	v_mov_b32_e32 v8, 0x42310121
	v_fmac_f32_e32 v8, 0xbf428f5c, v3
	v_mul_f32_e32 v6, 0x3fb8aa3b, v8
	v_fma_f32 v7, v8, s3, -v6
	v_rndne_f32_e32 v9, v6
	v_fmac_f32_e32 v7, 0x32a5705f, v8
	v_sub_f32_e32 v6, v6, v9
	v_add_f32_e32 v6, v6, v7
	v_exp_f32_e32 v10, v6
	v_cvt_i32_f32_e32 v9, v9
	v_cndmask_b32_e32 v5, v2, v5, vcc
	;; [unrolled: 19-line block ×7, first 2 shown]
	v_lshl_add_u64 v[6:7], v[0:1], 2, s[6:7]
	global_store_dword v[6:7], v5, off
	v_ldexp_f32 v5, v10, v9
	v_cmp_ngt_f32_e32 vcc, s2, v8
	v_add_u32_e32 v0, s5, v0
	v_lshl_add_u64 v[6:7], v[0:1], 2, s[6:7]
	v_cndmask_b32_e32 v5, 0, v5, vcc
	v_cmp_nlt_f32_e32 vcc, s4, v8
	v_add_u32_e32 v0, s5, v0
	s_nop 0
	v_cndmask_b32_e32 v5, v2, v5, vcc
	global_store_dword v[6:7], v5, off
	v_mov_b32_e32 v5, 0x41fbbf1f
	v_fmac_f32_e32 v5, 0x437b9bbc, v4
	v_mul_f32_e32 v6, 0x3fb8aa3b, v5
	v_fma_f32 v7, v5, s3, -v6
	v_rndne_f32_e32 v8, v6
	v_fmac_f32_e32 v7, 0x32a5705f, v5
	v_sub_f32_e32 v6, v6, v8
	v_add_f32_e32 v6, v6, v7
	v_exp_f32_e32 v7, v6
	v_cvt_i32_f32_e32 v10, v8
	v_cmp_ngt_f32_e32 vcc, s2, v5
	v_lshl_add_u64 v[8:9], v[0:1], 2, s[6:7]
	v_mov_b32_e32 v6, 0x559184e7
	v_ldexp_f32 v7, v7, v10
	v_cndmask_b32_e32 v7, 0, v7, vcc
	v_cmp_nlt_f32_e32 vcc, s4, v5
	global_store_dword v[8:9], v6, off
	v_add_u32_e32 v0, s5, v0
	v_cndmask_b32_e32 v5, v2, v7, vcc
	v_mov_b32_e32 v7, 0x41ccb9f6
	v_fmac_f32_e32 v7, 0x444d0f90, v4
	v_mul_f32_e32 v8, 0x3fb8aa3b, v7
	v_fma_f32 v9, v7, s3, -v8
	v_rndne_f32_e32 v10, v8
	v_fmac_f32_e32 v9, 0x32a5705f, v7
	v_sub_f32_e32 v8, v8, v10
	v_add_f32_e32 v8, v8, v9
	v_exp_f32_e32 v11, v8
	v_cvt_i32_f32_e32 v10, v10
	v_lshl_add_u64 v[8:9], v[0:1], 2, s[6:7]
	global_store_dword v[8:9], v5, off
	v_cmp_ngt_f32_e32 vcc, s2, v7
	v_ldexp_f32 v5, v11, v10
	v_add_u32_e32 v0, s5, v0
	v_cndmask_b32_e32 v5, 0, v5, vcc
	v_cmp_nlt_f32_e32 vcc, s4, v7
	v_mov_b32_e32 v7, 0x4206af63
	v_fmac_f32_e32 v7, 0xc5bcb4cd, v4
	v_mul_f32_e32 v8, 0x3fb8aa3b, v7
	v_fma_f32 v9, v7, s3, -v8
	v_rndne_f32_e32 v10, v8
	v_fmac_f32_e32 v9, 0x32a5705f, v7
	v_sub_f32_e32 v8, v8, v10
	v_add_f32_e32 v8, v8, v9
	v_exp_f32_e32 v11, v8
	v_cvt_i32_f32_e32 v10, v10
	v_cndmask_b32_e32 v5, v2, v5, vcc
	v_lshl_add_u64 v[8:9], v[0:1], 2, s[6:7]
	global_store_dword v[8:9], v5, off
	v_ldexp_f32 v5, v11, v10
	v_cmp_ngt_f32_e32 vcc, s2, v7
	v_add_u32_e32 v0, s5, v0
	s_nop 0
	v_cndmask_b32_e32 v5, 0, v5, vcc
	v_cmp_nlt_f32_e32 vcc, s4, v7
	v_mov_b32_e32 v7, 0x41827840
	v_fmac_f32_e32 v7, 2.0, v3
	v_fmamk_f32 v7, v4, 0xc5238ba0, v7
	v_mul_f32_e32 v8, 0x3fb8aa3b, v7
	v_fma_f32 v9, v7, s3, -v8
	v_rndne_f32_e32 v10, v8
	v_fmac_f32_e32 v9, 0x32a5705f, v7
	v_sub_f32_e32 v8, v8, v10
	v_add_f32_e32 v8, v8, v9
	v_exp_f32_e32 v11, v8
	v_cvt_i32_f32_e32 v10, v10
	v_cndmask_b32_e32 v5, v2, v5, vcc
	v_lshl_add_u64 v[8:9], v[0:1], 2, s[6:7]
	global_store_dword v[8:9], v5, off
	v_ldexp_f32 v5, v11, v10
	v_cmp_ngt_f32_e32 vcc, s2, v7
	v_add_u32_e32 v0, s5, v0
	v_add_f32_e32 v9, v3, v3
	v_cndmask_b32_e32 v5, 0, v5, vcc
	v_cmp_nlt_f32_e32 vcc, s4, v7
	v_mov_b32_e32 v7, 0x41ef7807
	v_fmac_f32_e32 v7, 0xc4e2728f, v4
	v_mul_f32_e32 v8, 0x3fb8aa3b, v7
	v_fma_f32 v10, v7, s3, -v8
	v_rndne_f32_e32 v11, v8
	v_fmac_f32_e32 v10, 0x32a5705f, v7
	v_sub_f32_e32 v8, v8, v11
	v_add_f32_e32 v8, v8, v10
	v_exp_f32_e32 v8, v8
	v_cvt_i32_f32_e32 v12, v11
	v_cndmask_b32_e32 v5, v2, v5, vcc
	v_lshl_add_u64 v[10:11], v[0:1], 2, s[6:7]
	global_store_dword v[10:11], v5, off
	v_ldexp_f32 v5, v8, v12
	v_cmp_ngt_f32_e32 vcc, s2, v7
	v_add_u32_e32 v0, s5, v0
	v_fmamk_f32 v9, v4, 0xc46f0726, v9
	v_cndmask_b32_e32 v5, 0, v5, vcc
	v_cmp_nlt_f32_e32 vcc, s4, v7
	v_mov_b32_e32 v7, 0x4180a4a6
	v_fmac_f32_e32 v7, 2.0, v3
	v_fmac_f32_e32 v7, 0xc4fb9bbc, v4
	v_mul_f32_e32 v8, 0x3fb8aa3b, v7
	v_fma_f32 v10, v7, s3, -v8
	v_rndne_f32_e32 v11, v8
	v_fmac_f32_e32 v10, 0x32a5705f, v7
	v_sub_f32_e32 v8, v8, v11
	v_add_f32_e32 v8, v8, v10
	v_exp_f32_e32 v8, v8
	v_cvt_i32_f32_e32 v12, v11
	v_cndmask_b32_e32 v5, v2, v5, vcc
	v_lshl_add_u64 v[10:11], v[0:1], 2, s[6:7]
	global_store_dword v[10:11], v5, off
	v_ldexp_f32 v5, v8, v12
	v_cmp_ngt_f32_e32 vcc, s2, v7
	v_add_u32_e32 v0, s5, v0
	s_nop 0
	v_cndmask_b32_e32 v5, 0, v5, vcc
	v_cmp_nlt_f32_e32 vcc, s4, v7
	v_mov_b32_e32 v7, 0x41e1866d
	v_fmamk_f32 v8, v4, 0xc3210782, v7
	v_mul_f32_e32 v10, 0x3fb8aa3b, v8
	v_fma_f32 v11, v8, s3, -v10
	v_rndne_f32_e32 v12, v10
	v_fmac_f32_e32 v11, 0x32a5705f, v8
	v_sub_f32_e32 v10, v10, v12
	v_add_f32_e32 v10, v10, v11
	v_exp_f32_e32 v13, v10
	v_cvt_i32_f32_e32 v12, v12
	v_cndmask_b32_e32 v5, v2, v5, vcc
	v_lshl_add_u64 v[10:11], v[0:1], 2, s[6:7]
	global_store_dword v[10:11], v5, off
	v_ldexp_f32 v5, v13, v12
	v_cmp_ngt_f32_e32 vcc, s2, v8
	v_add_u32_e32 v0, s5, v0
	v_fmac_f32_e32 v7, 0xc429d5ec, v4
	v_cndmask_b32_e32 v5, 0, v5, vcc
	v_cmp_nlt_f32_e32 vcc, s4, v8
	v_mov_b32_e32 v8, 0x4207f9e8
	v_fmac_f32_e32 v8, 0xc5965603, v4
	v_mul_f32_e32 v10, 0x3fb8aa3b, v8
	v_fma_f32 v11, v8, s3, -v10
	v_rndne_f32_e32 v12, v10
	v_fmac_f32_e32 v11, 0x32a5705f, v8
	v_sub_f32_e32 v10, v10, v12
	v_add_f32_e32 v10, v10, v11
	v_exp_f32_e32 v13, v10
	v_cvt_i32_f32_e32 v12, v12
	v_cndmask_b32_e32 v5, v2, v5, vcc
	v_lshl_add_u64 v[10:11], v[0:1], 2, s[6:7]
	global_store_dword v[10:11], v5, off
	v_ldexp_f32 v5, v13, v12
	v_cmp_ngt_f32_e32 vcc, s2, v8
	v_add_u32_e32 v0, s5, v0
	s_nop 0
	v_cndmask_b32_e32 v5, 0, v5, vcc
	v_cmp_nlt_f32_e32 vcc, s4, v8
	v_mov_b32_e32 v8, 0x42082007
	v_fmac_f32_e32 v8, 0xc4bcb4cd, v4
	v_mul_f32_e32 v10, 0x3fb8aa3b, v8
	v_fma_f32 v11, v8, s3, -v10
	v_rndne_f32_e32 v12, v10
	v_fmac_f32_e32 v11, 0x32a5705f, v8
	v_sub_f32_e32 v10, v10, v12
	v_add_f32_e32 v10, v10, v11
	v_exp_f32_e32 v13, v10
	v_cvt_i32_f32_e32 v12, v12
	v_cndmask_b32_e32 v5, v2, v5, vcc
	v_lshl_add_u64 v[10:11], v[0:1], 2, s[6:7]
	global_store_dword v[10:11], v5, off
	v_ldexp_f32 v5, v13, v12
	v_cmp_ngt_f32_e32 vcc, s2, v8
	v_add_u32_e32 v0, s5, v0
	s_nop 0
	v_cndmask_b32_e32 v5, 0, v5, vcc
	v_cmp_nlt_f32_e32 vcc, s4, v8
	v_mov_b32_e32 v8, 0x418d6d3f
	v_fmac_f32_e32 v8, 0x3f9d2f1b, v3
	v_fmamk_f32 v8, v4, 0xc20ce692, v8
	v_mul_f32_e32 v10, 0x3fb8aa3b, v8
	v_fma_f32 v11, v8, s3, -v10
	v_rndne_f32_e32 v12, v10
	v_fmac_f32_e32 v11, 0x32a5705f, v8
	v_sub_f32_e32 v10, v10, v12
	v_add_f32_e32 v10, v10, v11
	v_exp_f32_e32 v13, v10
	v_cvt_i32_f32_e32 v12, v12
	v_cndmask_b32_e32 v5, v2, v5, vcc
	v_lshl_add_u64 v[10:11], v[0:1], 2, s[6:7]
	global_store_dword v[10:11], v5, off
	v_ldexp_f32 v5, v13, v12
	v_cmp_ngt_f32_e32 vcc, s2, v8
	v_add_u32_e32 v0, s5, v0
	s_nop 0
	v_cndmask_b32_e32 v5, 0, v5, vcc
	v_cmp_nlt_f32_e32 vcc, s4, v8
	v_mov_b32_e32 v8, 0x418c9d1a
	v_fmac_f32_e32 v8, 0x3fc00000, v3
	v_fmamk_f32 v8, v4, 0xc71c780c, v8
	v_mul_f32_e32 v10, 0x3fb8aa3b, v8
	v_fma_f32 v11, v8, s3, -v10
	v_rndne_f32_e32 v12, v10
	v_fmac_f32_e32 v11, 0x32a5705f, v8
	v_sub_f32_e32 v10, v10, v12
	v_add_f32_e32 v10, v10, v11
	v_exp_f32_e32 v13, v10
	v_cvt_i32_f32_e32 v12, v12
	v_cndmask_b32_e32 v5, v2, v5, vcc
	v_lshl_add_u64 v[10:11], v[0:1], 2, s[6:7]
	global_store_dword v[10:11], v5, off
	v_ldexp_f32 v5, v13, v12
	v_cmp_ngt_f32_e32 vcc, s2, v8
	v_add_u32_e32 v0, s5, v0
	s_nop 0
	v_cndmask_b32_e32 v5, 0, v5, vcc
	v_cmp_nlt_f32_e32 vcc, s4, v8
	v_mov_b32_e32 v8, 0x41e460e5
	v_fmac_f32_e32 v8, 0xc6bbeb83, v4
	v_mul_f32_e32 v10, 0x3fb8aa3b, v8
	v_fma_f32 v11, v8, s3, -v10
	v_rndne_f32_e32 v12, v10
	v_fmac_f32_e32 v11, 0x32a5705f, v8
	v_sub_f32_e32 v10, v10, v12
	v_add_f32_e32 v10, v10, v11
	v_exp_f32_e32 v13, v10
	v_cvt_i32_f32_e32 v12, v12
	v_cndmask_b32_e32 v5, v2, v5, vcc
	v_lshl_add_u64 v[10:11], v[0:1], 2, s[6:7]
	global_store_dword v[10:11], v5, off
	v_ldexp_f32 v5, v13, v12
	v_cmp_ngt_f32_e32 vcc, s2, v8
	v_add_u32_e32 v0, s5, v0
	s_nop 0
	v_cndmask_b32_e32 v5, 0, v5, vcc
	v_cmp_nlt_f32_e32 vcc, s4, v8
	v_mov_b32_e32 v8, 0x4202910e
	v_fmac_f32_e32 v8, 0xc6398fa7, v4
	v_mul_f32_e32 v10, 0x3fb8aa3b, v8
	v_fma_f32 v11, v8, s3, -v10
	v_rndne_f32_e32 v12, v10
	v_fmac_f32_e32 v11, 0x32a5705f, v8
	v_sub_f32_e32 v10, v10, v12
	v_add_f32_e32 v10, v10, v11
	v_exp_f32_e32 v13, v10
	v_cvt_i32_f32_e32 v12, v12
	v_cndmask_b32_e32 v5, v2, v5, vcc
	v_lshl_add_u64 v[10:11], v[0:1], 2, s[6:7]
	global_store_dword v[10:11], v5, off
	v_ldexp_f32 v5, v13, v12
	v_cmp_ngt_f32_e32 vcc, s2, v8
	v_add_u32_e32 v0, s5, v0
	v_lshl_add_u64 v[10:11], v[0:1], 2, s[6:7]
	v_cndmask_b32_e32 v5, 0, v5, vcc
	v_cmp_nlt_f32_e32 vcc, s4, v8
	v_add_u32_e32 v0, s5, v0
	s_nop 0
	v_cndmask_b32_e32 v5, v2, v5, vcc
	global_store_dword v[10:11], v5, off
	v_lshl_add_u64 v[10:11], v[0:1], 2, s[6:7]
	v_mov_b32_e32 v5, 0x564f5d63
	global_store_dword v[10:11], v5, off
	v_mov_b32_e32 v5, 0x41942dbe
	v_fmac_f32_e32 v5, 0x3fe51eb8, v3
	v_fmamk_f32 v5, v4, 0xc45217cc, v5
	v_mul_f32_e32 v8, 0x3fb8aa3b, v5
	v_fma_f32 v10, v5, s3, -v8
	v_rndne_f32_e32 v11, v8
	v_fmac_f32_e32 v10, 0x32a5705f, v5
	v_sub_f32_e32 v8, v8, v11
	v_add_f32_e32 v8, v8, v10
	v_exp_f32_e32 v12, v8
	v_cvt_i32_f32_e32 v13, v11
	v_add_u32_e32 v0, s5, v0
	v_lshl_add_u64 v[10:11], v[0:1], 2, s[6:7]
	v_mov_b32_e32 v8, 0x55da475b
	global_store_dword v[10:11], v8, off
	v_ldexp_f32 v10, v12, v13
	v_cmp_ngt_f32_e32 vcc, s2, v5
	v_mov_b32_e32 v12, 0x41eafc65
	v_fmac_f32_e32 v12, 0x43bdf6dc, v4
	v_cndmask_b32_e32 v10, 0, v10, vcc
	v_cmp_nlt_f32_e32 vcc, s4, v5
	v_add_u32_e32 v0, s5, v0
	s_nop 0
	v_cndmask_b32_e32 v5, v2, v10, vcc
	v_mul_f32_e32 v10, 0x3fb8aa3b, v12
	v_fma_f32 v11, v12, s3, -v10
	v_rndne_f32_e32 v13, v10
	v_fmac_f32_e32 v11, 0x32a5705f, v12
	v_sub_f32_e32 v10, v10, v13
	v_add_f32_e32 v10, v10, v11
	v_exp_f32_e32 v14, v10
	v_cvt_i32_f32_e32 v13, v13
	v_lshl_add_u64 v[10:11], v[0:1], 2, s[6:7]
	global_store_dword v[10:11], v5, off
	v_cmp_ngt_f32_e32 vcc, s2, v12
	v_ldexp_f32 v5, v14, v13
	v_add_u32_e32 v0, s5, v0
	v_cndmask_b32_e32 v5, 0, v5, vcc
	v_cmp_nlt_f32_e32 vcc, s4, v12
	v_lshl_add_u64 v[10:11], v[0:1], 2, s[6:7]
	v_add_u32_e32 v0, s5, v0
	v_cndmask_b32_e32 v5, v2, v5, vcc
	v_mov_b32_e32 v12, 0x41e6d6a0
	global_store_dword v[10:11], v5, off
	v_lshl_add_u64 v[10:11], v[0:1], 2, s[6:7]
	v_mov_b32_e32 v5, 0x55f01b4a
	v_fmac_f32_e32 v12, 0xc3ad9c19, v4
	global_store_dword v[10:11], v5, off
	v_mul_f32_e32 v5, 0x3fb8aa3b, v12
	v_fma_f32 v10, v12, s3, -v5
	v_rndne_f32_e32 v11, v5
	v_fmac_f32_e32 v10, 0x32a5705f, v12
	v_sub_f32_e32 v5, v5, v11
	v_add_f32_e32 v5, v5, v10
	v_exp_f32_e32 v13, v5
	v_cvt_i32_f32_e32 v14, v11
	v_add_u32_e32 v0, s5, v0
	v_lshl_add_u64 v[10:11], v[0:1], 2, s[6:7]
	v_mov_b32_e32 v5, 0x5635e621
	global_store_dword v[10:11], v5, off
	v_ldexp_f32 v10, v13, v14
	v_cmp_ngt_f32_e32 vcc, s2, v12
	v_add_u32_e32 v0, s5, v0
	s_nop 0
	v_cndmask_b32_e32 v10, 0, v10, vcc
	v_cmp_nlt_f32_e32 vcc, s4, v12
	s_nop 1
	v_cndmask_b32_e32 v12, v2, v10, vcc
	v_mov_b32_e32 v10, 0x41ddbcd3
	v_fmac_f32_e32 v10, 0x3ef5c28f, v3
	v_fmamk_f32 v13, v4, 0x4302d61a, v10
	v_mul_f32_e32 v10, 0x3fb8aa3b, v13
	v_fma_f32 v11, v13, s3, -v10
	v_rndne_f32_e32 v14, v10
	v_fmac_f32_e32 v11, 0x32a5705f, v13
	v_sub_f32_e32 v10, v10, v14
	v_add_f32_e32 v10, v10, v11
	v_exp_f32_e32 v15, v10
	v_cvt_i32_f32_e32 v14, v14
	v_lshl_add_u64 v[10:11], v[0:1], 2, s[6:7]
	global_store_dword v[10:11], v12, off
	v_cmp_ngt_f32_e32 vcc, s2, v13
	v_ldexp_f32 v10, v15, v14
	v_add_u32_e32 v0, s5, v0
	v_cndmask_b32_e32 v10, 0, v10, vcc
	v_cmp_nlt_f32_e32 vcc, s4, v13
	s_nop 1
	v_cndmask_b32_e32 v12, v2, v10, vcc
	v_lshl_add_u64 v[10:11], v[0:1], 2, s[6:7]
	v_add_u32_e32 v0, s5, v0
	global_store_dword v[10:11], v12, off
	v_lshl_add_u64 v[10:11], v[0:1], 2, s[6:7]
	v_mov_b32_e32 v12, 0x5685838a
	v_add_u32_e32 v0, s5, v0
	global_store_dword v[10:11], v12, off
	v_lshl_add_u64 v[10:11], v[0:1], 2, s[6:7]
	v_add_u32_e32 v0, s5, v0
	global_store_dword v[10:11], v8, off
	v_lshl_add_u64 v[10:11], v[0:1], 2, s[6:7]
	global_store_dword v[10:11], v8, off
	v_sub_f32_e32 v10, 0x421f145d, v3
	v_fmamk_f32 v12, v4, 0xc605aabc, v10
	v_mul_f32_e32 v10, 0x3fb8aa3b, v12
	v_fma_f32 v11, v12, s3, -v10
	v_rndne_f32_e32 v13, v10
	v_fmac_f32_e32 v11, 0x32a5705f, v12
	v_sub_f32_e32 v10, v10, v13
	v_add_f32_e32 v10, v10, v11
	v_exp_f32_e32 v14, v10
	v_cvt_i32_f32_e32 v13, v13
	v_add_u32_e32 v0, s5, v0
	v_lshl_add_u64 v[10:11], v[0:1], 2, s[6:7]
	global_store_dword v[10:11], v5, off
	v_ldexp_f32 v10, v14, v13
	v_cmp_ngt_f32_e32 vcc, s2, v12
	v_mov_b32_e32 v13, 0x41ed45fb
	v_fmac_f32_e32 v13, 0xc3494963, v4
	v_cndmask_b32_e32 v10, 0, v10, vcc
	v_cmp_nlt_f32_e32 vcc, s4, v12
	v_add_u32_e32 v0, s5, v0
	s_nop 0
	v_cndmask_b32_e32 v12, v2, v10, vcc
	v_mul_f32_e32 v10, 0x3fb8aa3b, v13
	v_fma_f32 v11, v13, s3, -v10
	v_rndne_f32_e32 v14, v10
	v_fmac_f32_e32 v11, 0x32a5705f, v13
	v_sub_f32_e32 v10, v10, v14
	v_add_f32_e32 v10, v10, v11
	v_exp_f32_e32 v15, v10
	v_cvt_i32_f32_e32 v14, v14
	v_lshl_add_u64 v[10:11], v[0:1], 2, s[6:7]
	global_store_dword v[10:11], v12, off
	v_cmp_ngt_f32_e32 vcc, s2, v13
	v_ldexp_f32 v10, v15, v14
	v_add_u32_e32 v0, s5, v0
	v_cndmask_b32_e32 v10, 0, v10, vcc
	v_cmp_nlt_f32_e32 vcc, s4, v13
	v_mov_b32_e32 v13, 0x421707d6
	v_fmac_f32_e32 v13, 0xbf4ccccd, v3
	v_cndmask_b32_e32 v12, v2, v10, vcc
	v_mul_f32_e32 v10, 0x3fb8aa3b, v13
	v_fma_f32 v11, v13, s3, -v10
	v_rndne_f32_e32 v14, v10
	v_fmac_f32_e32 v11, 0x32a5705f, v13
	v_sub_f32_e32 v10, v10, v14
	v_add_f32_e32 v10, v10, v11
	v_exp_f32_e32 v15, v10
	v_cvt_i32_f32_e32 v14, v14
	v_lshl_add_u64 v[10:11], v[0:1], 2, s[6:7]
	global_store_dword v[10:11], v12, off
	v_cmp_ngt_f32_e32 vcc, s2, v13
	v_ldexp_f32 v10, v15, v14
	v_add_u32_e32 v0, s5, v0
	v_cndmask_b32_e32 v10, 0, v10, vcc
	v_cmp_nlt_f32_e32 vcc, s4, v13
	s_nop 1
	v_cndmask_b32_e32 v12, v2, v10, vcc
	v_mov_b32_e32 v10, 0x4151f533
	v_fmac_f32_e32 v10, 2.0, v3
	v_fmamk_f32 v13, v4, 0xc563641b, v10
	v_mul_f32_e32 v10, 0x3fb8aa3b, v13
	v_fma_f32 v11, v13, s3, -v10
	v_rndne_f32_e32 v14, v10
	v_fmac_f32_e32 v11, 0x32a5705f, v13
	v_sub_f32_e32 v10, v10, v14
	v_add_f32_e32 v10, v10, v11
	v_exp_f32_e32 v15, v10
	v_cvt_i32_f32_e32 v14, v14
	v_lshl_add_u64 v[10:11], v[0:1], 2, s[6:7]
	global_store_dword v[10:11], v12, off
	v_cmp_ngt_f32_e32 vcc, s2, v13
	v_ldexp_f32 v10, v15, v14
	v_add_u32_e32 v0, s5, v0
	v_cndmask_b32_e32 v10, 0, v10, vcc
	v_cmp_nlt_f32_e32 vcc, s4, v13
	v_mov_b32_e32 v15, 0x569184e7
	s_nop 0
	v_cndmask_b32_e32 v12, v2, v10, vcc
	v_lshl_add_u64 v[10:11], v[0:1], 2, s[6:7]
	global_store_dword v[10:11], v12, off
	v_mul_f32_e32 v12, 0xc43cb4cd, v4
	v_mul_f32_e32 v10, 0x3fb8aa3b, v12
	v_fma_f32 v11, v12, s3, -v10
	v_rndne_f32_e32 v13, v10
	v_fmac_f32_e32 v11, 0x32a5705f, v12
	v_sub_f32_e32 v10, v10, v13
	v_add_f32_e32 v10, v10, v11
	v_exp_f32_e32 v14, v10
	v_cvt_i32_f32_e32 v13, v13
	v_add_u32_e32 v0, s5, v0
	v_lshl_add_u64 v[10:11], v[0:1], 2, s[6:7]
	global_store_dword v[10:11], v15, off
	v_ldexp_f32 v10, v14, v13
	v_cmp_ngt_f32_e32 vcc, s2, v12
	v_add_u32_e32 v0, s5, v0
	s_nop 0
	v_cndmask_b32_e32 v10, 0, v10, vcc
	v_cmp_nlt_f32_e32 vcc, s4, v12
	s_nop 1
	v_cndmask_b32_e32 v12, v2, v10, vcc
	v_mul_f32_e32 v13, 0x5519ab11, v12
	v_lshl_add_u64 v[10:11], v[0:1], 2, s[6:7]
	v_add_u32_e32 v0, s5, v0
	global_store_dword v[10:11], v13, off
	v_mul_f32_e32 v12, 0x5419ab11, v12
	v_lshl_add_u64 v[10:11], v[0:1], 2, s[6:7]
	global_store_dword v[10:11], v12, off
	v_mov_b32_e32 v12, 0x4181ec29
	v_fmac_f32_e32 v12, 2.0, v3
	v_fmac_f32_e32 v12, 0xc4bcb4cd, v4
	v_mul_f32_e32 v10, 0x3fb8aa3b, v12
	v_fma_f32 v11, v12, s3, -v10
	v_rndne_f32_e32 v13, v10
	v_fmac_f32_e32 v11, 0x32a5705f, v12
	v_sub_f32_e32 v10, v10, v13
	v_add_f32_e32 v10, v10, v11
	v_exp_f32_e32 v14, v10
	v_cvt_i32_f32_e32 v13, v13
	v_add_u32_e32 v0, s5, v0
	v_lshl_add_u64 v[10:11], v[0:1], 2, s[6:7]
	global_store_dword v[10:11], v6, off
	v_ldexp_f32 v10, v14, v13
	v_cmp_ngt_f32_e32 vcc, s2, v12
	v_add_u32_e32 v0, s5, v0
	s_nop 0
	v_cndmask_b32_e32 v10, 0, v10, vcc
	v_cmp_nlt_f32_e32 vcc, s4, v12
	s_nop 1
	v_cndmask_b32_e32 v12, v2, v10, vcc
	v_lshl_add_u64 v[10:11], v[0:1], 2, s[6:7]
	global_store_dword v[10:11], v12, off
	v_fmaak_f32 v10, 0.5, v3, 0x41db5cc6
	v_fmamk_f32 v12, v4, 0xc50dd81d, v10
	v_mul_f32_e32 v10, 0x3fb8aa3b, v12
	v_fma_f32 v11, v12, s3, -v10
	v_rndne_f32_e32 v13, v10
	v_fmac_f32_e32 v11, 0x32a5705f, v12
	v_sub_f32_e32 v10, v10, v13
	v_add_f32_e32 v10, v10, v11
	v_exp_f32_e32 v14, v10
	v_cvt_i32_f32_e32 v13, v13
	v_add_u32_e32 v0, s5, v0
	v_lshl_add_u64 v[10:11], v[0:1], 2, s[6:7]
	global_store_dword v[10:11], v6, off
	v_ldexp_f32 v10, v14, v13
	v_cmp_ngt_f32_e32 vcc, s2, v12
	v_add_u32_e32 v0, s5, v0
	v_mov_b32_e32 v14, 0x41f2b66b
	v_cndmask_b32_e32 v10, 0, v10, vcc
	v_cmp_nlt_f32_e32 vcc, s4, v12
	v_fmac_f32_e32 v14, 0xc396f70a, v4
	s_nop 0
	v_cndmask_b32_e32 v12, v2, v10, vcc
	v_lshl_add_u64 v[10:11], v[0:1], 2, s[6:7]
	v_add_u32_e32 v0, s5, v0
	global_store_dword v[10:11], v12, off
	v_lshl_add_u64 v[12:13], v[0:1], 2, s[6:7]
	v_mov_b32_e32 v11, 0x561184e7
	v_mul_f32_e32 v10, 0x3fb8aa3b, v14
	global_store_dword v[12:13], v11, off
	v_fma_f32 v12, v14, s3, -v10
	v_rndne_f32_e32 v13, v10
	v_fmac_f32_e32 v12, 0x32a5705f, v14
	v_sub_f32_e32 v10, v10, v13
	v_add_f32_e32 v10, v10, v12
	v_exp_f32_e32 v15, v10
	v_cvt_i32_f32_e32 v16, v13
	v_add_u32_e32 v0, s5, v0
	v_lshl_add_u64 v[12:13], v[0:1], 2, s[6:7]
	v_mov_b32_e32 v10, 0x55e8d4a5
	global_store_dword v[12:13], v10, off
	v_ldexp_f32 v12, v15, v16
	v_cmp_ngt_f32_e32 vcc, s2, v14
	v_add_u32_e32 v0, s5, v0
	s_nop 0
	v_cndmask_b32_e32 v12, 0, v12, vcc
	v_cmp_nlt_f32_e32 vcc, s4, v14
	s_nop 1
	v_cndmask_b32_e32 v14, v2, v12, vcc
	v_lshl_add_u64 v[12:13], v[0:1], 2, s[6:7]
	v_add_u32_e32 v0, s5, v0
	global_store_dword v[12:13], v14, off
	v_lshl_add_u64 v[12:13], v[0:1], 2, s[6:7]
	v_add_u32_e32 v0, s5, v0
	global_store_dword v[12:13], v8, off
	v_lshl_add_u64 v[12:13], v[0:1], 2, s[6:7]
	v_mov_b32_e32 v14, 0x555a475b
	v_add_u32_e32 v0, s5, v0
	global_store_dword v[12:13], v14, off
	v_lshl_add_u64 v[12:13], v[0:1], 2, s[6:7]
	v_add_u32_e32 v0, s5, v0
	global_store_dword v[12:13], v14, off
	v_lshl_add_u64 v[12:13], v[0:1], 2, s[6:7]
	;; [unrolled: 3-line block ×3, first 2 shown]
	v_mov_b32_e32 v14, 0x567ea895
	v_add_u32_e32 v0, s5, v0
	global_store_dword v[12:13], v14, off
	v_lshl_add_u64 v[12:13], v[0:1], 2, s[6:7]
	v_mov_b32_e32 v14, 0x55cbba10
	v_add_u32_e32 v0, s5, v0
	global_store_dword v[12:13], v14, off
	v_lshl_add_u64 v[12:13], v[0:1], 2, s[6:7]
	;; [unrolled: 4-line block ×3, first 2 shown]
	v_add_u32_e32 v0, s5, v0
	global_store_dword v[12:13], v8, off
	v_lshl_add_u64 v[12:13], v[0:1], 2, s[6:7]
	v_mov_b32_e32 v14, 0x5502f79d
	v_add_u32_e32 v0, s5, v0
	global_store_dword v[12:13], v14, off
	v_lshl_add_u64 v[12:13], v[0:1], 2, s[6:7]
	v_mov_b32_e32 v14, 0x54cbba10
	global_store_dword v[12:13], v14, off
	v_mov_b32_e32 v12, 0x41d81e62
	v_fmac_f32_e32 v12, 0x3ee872b0, v3
	v_fmamk_f32 v14, v4, 0xc4a38ba0, v12
	v_mul_f32_e32 v12, 0x3fb8aa3b, v14
	v_fma_f32 v13, v14, s3, -v12
	v_rndne_f32_e32 v15, v12
	v_fmac_f32_e32 v13, 0x32a5705f, v14
	v_sub_f32_e32 v12, v12, v15
	v_add_f32_e32 v12, v12, v13
	v_exp_f32_e32 v16, v12
	v_cvt_i32_f32_e32 v15, v15
	v_add_u32_e32 v0, s5, v0
	v_lshl_add_u64 v[12:13], v[0:1], 2, s[6:7]
	global_store_dword v[12:13], v17, off
	v_ldexp_f32 v12, v16, v15
	v_cmp_ngt_f32_e32 vcc, s2, v14
	v_add_u32_e32 v0, s5, v0
	s_nop 0
	v_cndmask_b32_e32 v12, 0, v12, vcc
	v_cmp_nlt_f32_e32 vcc, s4, v14
	s_nop 1
	v_cndmask_b32_e32 v14, v2, v12, vcc
	v_mov_b32_e32 v12, 0x41bedebe
	v_fmac_f32_e32 v12, 0x3f866666, v3
	v_fmamk_f32 v15, v4, 0xc4ce011b, v12
	v_mul_f32_e32 v12, 0x3fb8aa3b, v15
	v_fma_f32 v13, v15, s3, -v12
	v_rndne_f32_e32 v16, v12
	v_fmac_f32_e32 v13, 0x32a5705f, v15
	v_sub_f32_e32 v12, v12, v16
	v_add_f32_e32 v12, v12, v13
	v_exp_f32_e32 v17, v12
	v_cvt_i32_f32_e32 v16, v16
	v_lshl_add_u64 v[12:13], v[0:1], 2, s[6:7]
	global_store_dword v[12:13], v14, off
	v_cmp_ngt_f32_e32 vcc, s2, v15
	v_ldexp_f32 v12, v17, v16
	v_add_u32_e32 v0, s5, v0
	v_cndmask_b32_e32 v12, 0, v12, vcc
	v_cmp_nlt_f32_e32 vcc, s4, v15
	v_mov_b32_e32 v15, 0x41fa5b4e
	v_fmac_f32_e32 v15, 0xc4deac62, v4
	v_cndmask_b32_e32 v14, v2, v12, vcc
	v_mul_f32_e32 v12, 0x3fb8aa3b, v15
	v_fma_f32 v13, v15, s3, -v12
	v_rndne_f32_e32 v16, v12
	v_fmac_f32_e32 v13, 0x32a5705f, v15
	v_sub_f32_e32 v12, v12, v16
	v_add_f32_e32 v12, v12, v13
	v_exp_f32_e32 v17, v12
	v_cvt_i32_f32_e32 v16, v16
	v_lshl_add_u64 v[12:13], v[0:1], 2, s[6:7]
	global_store_dword v[12:13], v14, off
	v_cmp_ngt_f32_e32 vcc, s2, v15
	v_ldexp_f32 v12, v17, v16
	v_add_u32_e32 v0, s5, v0
	v_cndmask_b32_e32 v12, 0, v12, vcc
	v_cmp_nlt_f32_e32 vcc, s4, v15
	s_nop 1
	v_cndmask_b32_e32 v14, v2, v12, vcc
	v_mov_b32_e32 v12, 0x41afa588
	v_fmac_f32_e32 v12, 0x3f970a3d, v3
	v_fmamk_f32 v15, v4, 0x4360f017, v12
	v_mul_f32_e32 v12, 0x3fb8aa3b, v15
	v_fma_f32 v13, v15, s3, -v12
	v_rndne_f32_e32 v16, v12
	v_fmac_f32_e32 v13, 0x32a5705f, v15
	v_sub_f32_e32 v12, v12, v16
	v_add_f32_e32 v12, v12, v13
	v_exp_f32_e32 v17, v12
	v_cvt_i32_f32_e32 v16, v16
	v_lshl_add_u64 v[12:13], v[0:1], 2, s[6:7]
	global_store_dword v[12:13], v14, off
	v_cmp_ngt_f32_e32 vcc, s2, v15
	v_ldexp_f32 v12, v17, v16
	v_add_u32_e32 v0, s5, v0
	v_cndmask_b32_e32 v12, 0, v12, vcc
	v_cmp_nlt_f32_e32 vcc, s4, v15
	v_mov_b32_e32 v15, 0x4200f1dc
	v_fmac_f32_e32 v15, 0xc69d4155, v4
	v_cndmask_b32_e32 v14, v2, v12, vcc
	v_mul_f32_e32 v12, 0x3fb8aa3b, v15
	v_fma_f32 v13, v15, s3, -v12
	v_rndne_f32_e32 v16, v12
	v_fmac_f32_e32 v13, 0x32a5705f, v15
	v_sub_f32_e32 v12, v12, v16
	v_add_f32_e32 v12, v12, v13
	v_exp_f32_e32 v17, v12
	v_cvt_i32_f32_e32 v16, v16
	v_lshl_add_u64 v[12:13], v[0:1], 2, s[6:7]
	global_store_dword v[12:13], v14, off
	v_cmp_ngt_f32_e32 vcc, s2, v15
	v_ldexp_f32 v12, v17, v16
	v_add_u32_e32 v0, s5, v0
	v_cndmask_b32_e32 v12, 0, v12, vcc
	v_cmp_nlt_f32_e32 vcc, s4, v15
	v_mul_f32_e32 v15, 0xc57b9bbc, v4
	s_nop 0
	v_cndmask_b32_e32 v14, v2, v12, vcc
	v_mul_f32_e32 v12, 0x3fb8aa3b, v15
	v_fma_f32 v13, v15, s3, -v12
	v_rndne_f32_e32 v16, v12
	v_fmac_f32_e32 v13, 0x32a5705f, v15
	v_sub_f32_e32 v12, v12, v16
	v_add_f32_e32 v12, v12, v13
	v_exp_f32_e32 v17, v12
	v_cvt_i32_f32_e32 v16, v16
	v_lshl_add_u64 v[12:13], v[0:1], 2, s[6:7]
	global_store_dword v[12:13], v14, off
	v_cmp_ngt_f32_e32 vcc, s2, v15
	v_ldexp_f32 v12, v17, v16
	v_add_u32_e32 v0, s5, v0
	v_cndmask_b32_e32 v12, 0, v12, vcc
	v_cmp_nlt_f32_e32 vcc, s4, v15
	s_nop 1
	v_cndmask_b32_e32 v16, v2, v12, vcc
	v_mul_f32_e32 v14, 0x5368d4a5, v16
	v_lshl_add_u64 v[12:13], v[0:1], 2, s[6:7]
	global_store_dword v[12:13], v14, off
	v_mad_u64_u32 v[12:13], s[0:1], s5, 51, v[0:1]
	v_mov_b32_e32 v13, v1
	v_mul_f32_e32 v17, 0x5635e621, v16
	v_lshl_add_u64 v[14:15], v[12:13], 2, s[6:7]
	global_store_dword v[14:15], v17, off
	v_mov_b32_e32 v15, 0x4200b904
	v_fmac_f32_e32 v15, 0x4381940b, v4
	v_mul_f32_e32 v0, 0x3fb8aa3b, v15
	v_mul_f32_e32 v14, 0x551184e7, v16
	v_fma_f32 v13, v15, s3, -v0
	v_rndne_f32_e32 v16, v0
	v_fmac_f32_e32 v13, 0x32a5705f, v15
	v_sub_f32_e32 v0, v0, v16
	v_add_f32_e32 v0, v0, v13
	v_exp_f32_e32 v17, v0
	v_cvt_i32_f32_e32 v16, v16
	s_lshl_b32 s0, s5, 1
	v_add_u32_e32 v0, s0, v12
	v_lshl_add_u64 v[12:13], v[0:1], 2, s[6:7]
	global_store_dword v[12:13], v14, off
	v_ldexp_f32 v12, v17, v16
	v_cmp_ngt_f32_e32 vcc, s2, v15
	s_mul_i32 s1, s5, 0xffffffcc
	v_add_u32_e32 v0, s1, v0
	v_cndmask_b32_e32 v12, 0, v12, vcc
	v_cmp_nlt_f32_e32 vcc, s4, v15
	s_mul_i32 s1, s5, 0xffffffca
	s_nop 0
	v_cndmask_b32_e32 v14, v2, v12, vcc
	v_mov_b32_e32 v12, 0x4214524f
	v_fmac_f32_e32 v12, 0xbf2147ae, v3
	v_fmamk_f32 v15, v4, 0xc340bb63, v12
	v_mul_f32_e32 v12, 0x3fb8aa3b, v15
	v_fma_f32 v13, v15, s3, -v12
	v_rndne_f32_e32 v16, v12
	v_fmac_f32_e32 v13, 0x32a5705f, v15
	v_sub_f32_e32 v12, v12, v16
	v_add_f32_e32 v12, v12, v13
	v_exp_f32_e32 v17, v12
	v_cvt_i32_f32_e32 v16, v16
	v_lshl_add_u64 v[12:13], v[0:1], 2, s[6:7]
	global_store_dword v[12:13], v14, off
	v_cmp_ngt_f32_e32 vcc, s2, v15
	v_ldexp_f32 v12, v17, v16
	v_add_u32_e32 v0, s5, v0
	v_cndmask_b32_e32 v12, 0, v12, vcc
	v_cmp_nlt_f32_e32 vcc, s4, v15
	v_mov_b32_e32 v17, 0x5699573f
	s_nop 0
	v_cndmask_b32_e32 v14, v2, v12, vcc
	v_lshl_add_u64 v[12:13], v[0:1], 2, s[6:7]
	global_store_dword v[12:13], v14, off
	v_mov_b32_e32 v12, 0x418eba16
	v_fmac_f32_e32 v12, 0x3fcccccd, v3
	v_fmamk_f32 v14, v4, 0xc52a76f3, v12
	v_mul_f32_e32 v12, 0x3fb8aa3b, v14
	v_fma_f32 v13, v14, s3, -v12
	v_rndne_f32_e32 v15, v12
	v_fmac_f32_e32 v13, 0x32a5705f, v14
	v_sub_f32_e32 v12, v12, v15
	v_add_f32_e32 v12, v12, v13
	v_exp_f32_e32 v16, v12
	v_cvt_i32_f32_e32 v15, v15
	v_add_u32_e32 v0, s5, v0
	v_lshl_add_u64 v[12:13], v[0:1], 2, s[6:7]
	global_store_dword v[12:13], v17, off
	v_ldexp_f32 v12, v16, v15
	v_cmp_ngt_f32_e32 vcc, s2, v14
	v_add_u32_e32 v0, s5, v0
	v_mov_b32_e32 v17, 0x55b5f8c1
	v_cndmask_b32_e32 v12, 0, v12, vcc
	v_cmp_nlt_f32_e32 vcc, s4, v14
	s_nop 1
	v_cndmask_b32_e32 v14, v2, v12, vcc
	v_lshl_add_u64 v[12:13], v[0:1], 2, s[6:7]
	global_store_dword v[12:13], v14, off
	v_mov_b32_e32 v14, 0x41f879e0
	v_fmac_f32_e32 v14, 0xc662728f, v4
	v_mul_f32_e32 v12, 0x3fb8aa3b, v14
	v_fma_f32 v13, v14, s3, -v12
	v_rndne_f32_e32 v15, v12
	v_fmac_f32_e32 v13, 0x32a5705f, v14
	v_sub_f32_e32 v12, v12, v15
	v_add_f32_e32 v12, v12, v13
	v_exp_f32_e32 v16, v12
	v_cvt_i32_f32_e32 v15, v15
	v_add_u32_e32 v0, s5, v0
	v_lshl_add_u64 v[12:13], v[0:1], 2, s[6:7]
	global_store_dword v[12:13], v17, off
	v_ldexp_f32 v12, v16, v15
	v_cmp_ngt_f32_e32 vcc, s2, v14
	v_mov_b32_e32 v15, 0x41c2744c
	v_fmac_f32_e32 v15, 0xc58c960e, v4
	v_cndmask_b32_e32 v12, 0, v12, vcc
	v_cmp_nlt_f32_e32 vcc, s4, v14
	v_add_u32_e32 v0, s5, v0
	s_nop 0
	v_cndmask_b32_e32 v14, v2, v12, vcc
	v_mul_f32_e32 v12, 0x3fb8aa3b, v15
	v_fma_f32 v13, v15, s3, -v12
	v_rndne_f32_e32 v16, v12
	v_fmac_f32_e32 v13, 0x32a5705f, v15
	v_sub_f32_e32 v12, v12, v16
	v_add_f32_e32 v12, v12, v13
	v_exp_f32_e32 v17, v12
	v_cvt_i32_f32_e32 v16, v16
	v_lshl_add_u64 v[12:13], v[0:1], 2, s[6:7]
	global_store_dword v[12:13], v14, off
	v_cmp_ngt_f32_e32 vcc, s2, v15
	v_ldexp_f32 v12, v17, v16
	v_add_u32_e32 v0, s5, v0
	v_cndmask_b32_e32 v12, 0, v12, vcc
	v_cmp_nlt_f32_e32 vcc, s4, v15
	v_mov_b32_e32 v17, 0x5542fee4
	s_nop 0
	v_cndmask_b32_e32 v14, v2, v12, vcc
	v_lshl_add_u64 v[12:13], v[0:1], 2, s[6:7]
	v_add_u32_e32 v0, s5, v0
	global_store_dword v[12:13], v14, off
	v_lshl_add_u64 v[12:13], v[0:1], 2, s[6:7]
	v_mov_b32_e32 v14, 0x5368d4a5
	global_store_dword v[12:13], v14, off
	v_mov_b32_e32 v12, 0x4121b3ee
	v_fmac_f32_e32 v12, 0x401e147b, v3
	v_fmamk_f32 v14, v4, 0xc522ea99, v12
	v_mul_f32_e32 v12, 0x3fb8aa3b, v14
	v_fma_f32 v13, v14, s3, -v12
	v_rndne_f32_e32 v15, v12
	v_fmac_f32_e32 v13, 0x32a5705f, v14
	v_sub_f32_e32 v12, v12, v15
	v_add_f32_e32 v12, v12, v13
	v_exp_f32_e32 v16, v12
	v_cvt_i32_f32_e32 v15, v15
	v_add_u32_e32 v0, s5, v0
	v_lshl_add_u64 v[12:13], v[0:1], 2, s[6:7]
	global_store_dword v[12:13], v17, off
	v_ldexp_f32 v12, v16, v15
	v_cmp_ngt_f32_e32 vcc, s2, v14
	v_add_u32_e32 v0, s5, v0
	v_mov_b32_e32 v17, 0x5582f79d
	v_cndmask_b32_e32 v12, 0, v12, vcc
	v_cmp_nlt_f32_e32 vcc, s4, v14
	s_nop 1
	v_cndmask_b32_e32 v14, v2, v12, vcc
	v_lshl_add_u64 v[12:13], v[0:1], 2, s[6:7]
	v_add_u32_e32 v0, s5, v0
	global_store_dword v[12:13], v14, off
	v_lshl_add_u64 v[12:13], v[0:1], 2, s[6:7]
	v_add_u32_e32 v0, s5, v0
	global_store_dword v[12:13], v8, off
	v_lshl_add_u64 v[12:13], v[0:1], 2, s[6:7]
	v_mov_b32_e32 v14, 0x54f6ccec
	global_store_dword v[12:13], v14, off
	v_mov_b32_e32 v12, 0x4101b939
	v_fmac_f32_e32 v12, 0x4033d70a, v3
	v_fmamk_f32 v14, v4, 0xc5384d98, v12
	v_mul_f32_e32 v12, 0x3fb8aa3b, v14
	v_fma_f32 v13, v14, s3, -v12
	v_rndne_f32_e32 v15, v12
	v_fmac_f32_e32 v13, 0x32a5705f, v14
	v_sub_f32_e32 v12, v12, v15
	v_add_f32_e32 v12, v12, v13
	v_exp_f32_e32 v16, v12
	v_cvt_i32_f32_e32 v15, v15
	v_add_u32_e32 v0, s5, v0
	v_lshl_add_u64 v[12:13], v[0:1], 2, s[6:7]
	global_store_dword v[12:13], v17, off
	v_ldexp_f32 v12, v16, v15
	v_cmp_ngt_f32_e32 vcc, s2, v14
	v_add_u32_e32 v0, s5, v0
	s_nop 0
	v_cndmask_b32_e32 v12, 0, v12, vcc
	v_cmp_nlt_f32_e32 vcc, s4, v14
	s_nop 1
	v_cndmask_b32_e32 v14, v2, v12, vcc
	v_lshl_add_u64 v[12:13], v[0:1], 2, s[6:7]
	global_store_dword v[12:13], v14, off
	v_mul_f32_e32 v14, 0x438f6ab0, v4
	v_mul_f32_e32 v12, 0x3fb8aa3b, v14
	v_fma_f32 v13, v14, s3, -v12
	v_rndne_f32_e32 v15, v12
	v_fmac_f32_e32 v13, 0x32a5705f, v14
	v_sub_f32_e32 v12, v12, v15
	v_add_f32_e32 v12, v12, v13
	v_exp_f32_e32 v16, v12
	v_cvt_i32_f32_e32 v15, v15
	v_add_u32_e32 v0, s5, v0
	v_lshl_add_u64 v[12:13], v[0:1], 2, s[6:7]
	global_store_dword v[12:13], v11, off
	v_ldexp_f32 v11, v16, v15
	v_cmp_ngt_f32_e32 vcc, s2, v14
	v_add_u32_e32 v0, s5, v0
	v_lshl_add_u64 v[12:13], v[0:1], 2, s[6:7]
	v_cndmask_b32_e32 v11, 0, v11, vcc
	v_cmp_nlt_f32_e32 vcc, s4, v14
	s_nop 1
	v_cndmask_b32_e32 v11, v2, v11, vcc
	v_mul_f32_e32 v14, 0x552e9f7c, v11
	global_store_dword v[12:13], v14, off
	v_mad_u64_u32 v[12:13], s[8:9], s5, 15, v[0:1]
	v_mov_b32_e32 v0, 0x42165f01
	v_fmac_f32_e32 v0, 0xbf7851ec, v3
	v_fmamk_f32 v0, v4, 0xc39bff46, v0
	v_mul_f32_e32 v13, 0x3fb8aa3b, v0
	v_fma_f32 v14, v0, s3, -v13
	v_rndne_f32_e32 v15, v13
	v_fmac_f32_e32 v14, 0x32a5705f, v0
	v_sub_f32_e32 v13, v13, v15
	v_add_f32_e32 v13, v13, v14
	v_exp_f32_e32 v16, v13
	v_cvt_i32_f32_e32 v17, v15
	v_mov_b32_e32 v13, v1
	v_mul_f32_e32 v11, 0x5568d4a5, v11
	v_lshl_add_u64 v[14:15], v[12:13], 2, s[6:7]
	global_store_dword v[14:15], v11, off
	v_ldexp_f32 v11, v16, v17
	v_cmp_ngt_f32_e32 vcc, s2, v0
	v_mad_u64_u32 v[12:13], s[8:9], s5, -14, v[12:13]
	s_nop 0
	v_cndmask_b32_e32 v11, 0, v11, vcc
	v_cmp_nlt_f32_e32 vcc, s4, v0
	s_nop 1
	v_cndmask_b32_e32 v0, v2, v11, vcc
	v_mov_b32_e32 v11, 0x41e9e85c
	v_fmac_f32_e32 v11, 0x3dcccccd, v3
	v_fmamk_f32 v11, v4, 0xc5a6b0c6, v11
	v_mul_f32_e32 v13, 0x3fb8aa3b, v11
	v_fma_f32 v14, v11, s3, -v13
	v_rndne_f32_e32 v15, v13
	v_fmac_f32_e32 v14, 0x32a5705f, v11
	v_sub_f32_e32 v13, v13, v15
	v_add_f32_e32 v13, v13, v14
	v_exp_f32_e32 v16, v13
	v_cvt_i32_f32_e32 v17, v15
	v_mov_b32_e32 v13, v1
	v_lshl_add_u64 v[14:15], v[12:13], 2, s[6:7]
	global_store_dword v[14:15], v0, off
	v_ldexp_f32 v0, v16, v17
	v_cmp_ngt_f32_e32 vcc, s2, v11
	v_mov_b32_e32 v16, 0x549184e7
	s_nop 0
	v_cndmask_b32_e32 v0, 0, v0, vcc
	v_cmp_nlt_f32_e32 vcc, s4, v11
	s_nop 1
	v_cndmask_b32_e32 v11, v2, v0, vcc
	v_add_u32_e32 v0, s5, v12
	v_lshl_add_u64 v[12:13], v[0:1], 2, s[6:7]
	v_add_u32_e32 v0, s5, v0
	global_store_dword v[12:13], v11, off
	v_lshl_add_u64 v[12:13], v[0:1], 2, s[6:7]
	v_add_u32_e32 v0, s5, v0
	global_store_dword v[12:13], v5, off
	;; [unrolled: 3-line block ×4, first 2 shown]
	v_lshl_add_u64 v[10:11], v[0:1], 2, s[6:7]
	v_mov_b32_e32 v12, 0x5568d4a5
	global_store_dword v[10:11], v12, off
	v_mov_b32_e32 v10, 0xc1e3d654
	v_add_u32_e32 v0, s5, v0
	v_fmac_f32_e32 v10, 0x40f33333, v3
	v_lshl_add_u64 v[12:13], v[0:1], 2, s[6:7]
	v_mov_b32_e32 v11, 0x551184e7
	v_fmamk_f32 v10, v4, 0x44de0b5b, v10
	global_store_dword v[12:13], v11, off
	v_mul_f32_e32 v12, 0x3fb8aa3b, v10
	v_fma_f32 v13, v10, s3, -v12
	v_rndne_f32_e32 v14, v12
	v_fmac_f32_e32 v13, 0x32a5705f, v10
	v_sub_f32_e32 v12, v12, v14
	v_add_f32_e32 v12, v12, v13
	v_exp_f32_e32 v15, v12
	v_cvt_i32_f32_e32 v14, v14
	v_add_u32_e32 v0, s5, v0
	v_lshl_add_u64 v[12:13], v[0:1], 2, s[6:7]
	global_store_dword v[12:13], v16, off
	v_ldexp_f32 v12, v15, v14
	v_cmp_ngt_f32_e32 vcc, s2, v10
	v_add_u32_e32 v0, s5, v0
	s_nop 0
	v_cndmask_b32_e32 v12, 0, v12, vcc
	v_cmp_nlt_f32_e32 vcc, s4, v10
	s_nop 1
	v_cndmask_b32_e32 v10, v2, v12, vcc
	v_mov_b32_e32 v12, 0x41a27646
	v_fmac_f32_e32 v12, 0x3fcf5c29, v3
	v_fmamk_f32 v14, v4, 0xc5aa76f3, v12
	v_mul_f32_e32 v12, 0x3fb8aa3b, v14
	v_fma_f32 v13, v14, s3, -v12
	v_rndne_f32_e32 v15, v12
	v_fmac_f32_e32 v13, 0x32a5705f, v14
	v_sub_f32_e32 v12, v12, v15
	v_add_f32_e32 v12, v12, v13
	v_exp_f32_e32 v16, v12
	v_cvt_i32_f32_e32 v15, v15
	v_lshl_add_u64 v[12:13], v[0:1], 2, s[6:7]
	global_store_dword v[12:13], v10, off
	v_mov_b32_e32 v12, 0x41a5f1ce
	v_ldexp_f32 v10, v16, v15
	v_cmp_ngt_f32_e32 vcc, s2, v14
	v_fmac_f32_e32 v12, 0x3fc00000, v3
	v_add_u32_e32 v0, s5, v0
	v_cndmask_b32_e32 v10, 0, v10, vcc
	v_cmp_nlt_f32_e32 vcc, s4, v14
	v_fmamk_f32 v14, v4, 0xc5873d4f, v12
	v_mul_f32_e32 v12, 0x3fb8aa3b, v14
	v_fma_f32 v13, v14, s3, -v12
	v_rndne_f32_e32 v15, v12
	v_fmac_f32_e32 v13, 0x32a5705f, v14
	v_sub_f32_e32 v12, v12, v15
	v_add_f32_e32 v12, v12, v13
	v_exp_f32_e32 v16, v12
	v_cvt_i32_f32_e32 v15, v15
	v_cndmask_b32_e32 v10, v2, v10, vcc
	v_lshl_add_u64 v[12:13], v[0:1], 2, s[6:7]
	global_store_dword v[12:13], v10, off
	v_mov_b32_e32 v12, 0x41935d8e
	v_ldexp_f32 v10, v16, v15
	v_cmp_ngt_f32_e32 vcc, s2, v14
	v_fmac_f32_e32 v12, 0x3fcccccd, v3
	v_add_u32_e32 v0, s5, v0
	v_cndmask_b32_e32 v10, 0, v10, vcc
	v_cmp_nlt_f32_e32 vcc, s4, v14
	v_fmamk_f32 v14, v4, 0xc4c44127, v12
	v_mul_f32_e32 v12, 0x3fb8aa3b, v14
	v_fma_f32 v13, v14, s3, -v12
	v_rndne_f32_e32 v15, v12
	v_fmac_f32_e32 v13, 0x32a5705f, v14
	v_sub_f32_e32 v12, v12, v15
	v_add_f32_e32 v12, v12, v13
	v_exp_f32_e32 v16, v12
	v_cvt_i32_f32_e32 v15, v15
	v_cndmask_b32_e32 v10, v2, v10, vcc
	v_lshl_add_u64 v[12:13], v[0:1], 2, s[6:7]
	global_store_dword v[12:13], v10, off
	v_ldexp_f32 v10, v16, v15
	v_cmp_ngt_f32_e32 vcc, s2, v14
	v_add_u32_e32 v0, s5, v0
	v_lshl_add_u64 v[12:13], v[0:1], 2, s[6:7]
	v_cndmask_b32_e32 v10, 0, v10, vcc
	v_cmp_nlt_f32_e32 vcc, s4, v14
	v_add_u32_e32 v0, s5, v0
	s_nop 0
	v_cndmask_b32_e32 v10, v2, v10, vcc
	global_store_dword v[12:13], v10, off
	v_mov_b32_e32 v10, 0x416b7364
	v_fmac_f32_e32 v10, 2.0, v3
	v_fmamk_f32 v14, v4, 0xc5820cd1, v10
	v_mul_f32_e32 v10, 0x3fb8aa3b, v14
	v_fma_f32 v12, v14, s3, -v10
	v_rndne_f32_e32 v13, v10
	v_fmac_f32_e32 v12, 0x32a5705f, v14
	v_sub_f32_e32 v10, v10, v13
	v_add_f32_e32 v10, v10, v12
	v_exp_f32_e32 v15, v10
	v_cvt_i32_f32_e32 v16, v13
	v_lshl_add_u64 v[12:13], v[0:1], 2, s[6:7]
	v_mov_b32_e32 v10, 0x565a475b
	global_store_dword v[12:13], v10, off
	v_ldexp_f32 v12, v15, v16
	v_cmp_ngt_f32_e32 vcc, s2, v14
	v_add_u32_e32 v0, s5, v0
	s_nop 0
	v_cndmask_b32_e32 v12, 0, v12, vcc
	v_cmp_nlt_f32_e32 vcc, s4, v14
	s_nop 1
	v_cndmask_b32_e32 v14, v2, v12, vcc
	v_lshl_add_u64 v[12:13], v[0:1], 2, s[6:7]
	global_store_dword v[12:13], v14, off
	v_add_u32_e32 v0, s0, v0
	v_mov_b32_e32 v13, 0x41e0cee6
	v_lshl_add_u64 v[14:15], v[0:1], 2, s[6:7]
	v_mov_b32_e32 v12, 0x56b5e621
	v_fmac_f32_e32 v13, 0xc3d6df9f, v4
	global_store_dword v[14:15], v12, off
	v_mul_f32_e32 v14, 0x3fb8aa3b, v13
	v_fma_f32 v15, v13, s3, -v14
	v_rndne_f32_e32 v16, v14
	v_fmac_f32_e32 v15, 0x32a5705f, v13
	v_sub_f32_e32 v14, v14, v16
	v_add_f32_e32 v14, v14, v15
	v_exp_f32_e32 v17, v14
	v_cvt_i32_f32_e32 v16, v16
	v_add_u32_e32 v0, s5, v0
	v_lshl_add_u64 v[14:15], v[0:1], 2, s[6:7]
	global_store_dword v[14:15], v12, off
	v_ldexp_f32 v14, v17, v16
	v_cmp_ngt_f32_e32 vcc, s2, v13
	v_add_u32_e32 v0, s5, v0
	s_nop 0
	v_cndmask_b32_e32 v14, 0, v14, vcc
	v_cmp_nlt_f32_e32 vcc, s4, v13
	s_nop 1
	v_cndmask_b32_e32 v13, v2, v14, vcc
	v_lshl_add_u64 v[14:15], v[0:1], 2, s[6:7]
	global_store_dword v[14:15], v13, off
	v_add_u32_e32 v0, s5, v0
	v_mov_b32_e32 v13, 0x42094335
	v_lshl_add_u64 v[14:15], v[0:1], 2, s[6:7]
	v_add_u32_e32 v0, s5, v0
	v_fmac_f32_e32 v13, 0xbf051eb8, v3
	global_store_dword v[14:15], v5, off
	v_lshl_add_u64 v[14:15], v[0:1], 2, s[6:7]
	v_fmamk_f32 v13, v4, 0xc6c7847e, v13
	global_store_dword v[14:15], v8, off
	v_mul_f32_e32 v14, 0x3fb8aa3b, v13
	v_fma_f32 v15, v13, s3, -v14
	v_rndne_f32_e32 v16, v14
	v_fmac_f32_e32 v15, 0x32a5705f, v13
	v_sub_f32_e32 v14, v14, v16
	v_add_f32_e32 v14, v14, v15
	v_exp_f32_e32 v17, v14
	v_cvt_i32_f32_e32 v16, v16
	v_add_u32_e32 v0, s5, v0
	v_lshl_add_u64 v[14:15], v[0:1], 2, s[6:7]
	global_store_dword v[14:15], v11, off
	v_ldexp_f32 v14, v17, v16
	v_cmp_ngt_f32_e32 vcc, s2, v13
	v_add_u32_e32 v0, s5, v0
	s_nop 0
	v_cndmask_b32_e32 v14, 0, v14, vcc
	v_cmp_nlt_f32_e32 vcc, s4, v13
	s_nop 1
	v_cndmask_b32_e32 v13, v2, v14, vcc
	v_mov_b32_e32 v14, 0x419e2bb8
	v_fmac_f32_e32 v14, 0x3fcf5c29, v3
	v_fmamk_f32 v16, v4, 0xc691a690, v14
	v_mul_f32_e32 v14, 0x3fb8aa3b, v16
	v_fma_f32 v15, v16, s3, -v14
	v_rndne_f32_e32 v17, v14
	v_fmac_f32_e32 v15, 0x32a5705f, v16
	v_sub_f32_e32 v14, v14, v17
	v_add_f32_e32 v14, v14, v15
	v_exp_f32_e32 v18, v14
	v_cvt_i32_f32_e32 v17, v17
	v_lshl_add_u64 v[14:15], v[0:1], 2, s[6:7]
	global_store_dword v[14:15], v13, off
	v_cmp_ngt_f32_e32 vcc, s2, v16
	v_ldexp_f32 v13, v18, v17
	v_mul_f32_e32 v14, 0x3fb8aa3b, v9
	v_cndmask_b32_e32 v13, 0, v13, vcc
	v_cmp_nlt_f32_e32 vcc, s4, v16
	v_fma_f32 v15, v9, s3, -v14
	v_rndne_f32_e32 v16, v14
	v_fmac_f32_e32 v15, 0x32a5705f, v9
	v_sub_f32_e32 v14, v14, v16
	v_add_f32_e32 v14, v14, v15
	v_exp_f32_e32 v17, v14
	v_cvt_i32_f32_e32 v16, v16
	v_add_u32_e32 v0, s5, v0
	v_cndmask_b32_e32 v13, v2, v13, vcc
	v_lshl_add_u64 v[14:15], v[0:1], 2, s[6:7]
	global_store_dword v[14:15], v13, off
	v_ldexp_f32 v13, v17, v16
	v_cmp_ngt_f32_e32 vcc, s2, v9
	v_add_u32_e32 v0, s5, v0
	v_lshl_add_u64 v[14:15], v[0:1], 2, s[6:7]
	v_cndmask_b32_e32 v13, 0, v13, vcc
	v_cmp_nlt_f32_e32 vcc, s4, v9
	v_add_u32_e32 v0, s5, v0
	s_nop 0
	v_cndmask_b32_e32 v9, v2, v13, vcc
	v_mul_f32_e32 v13, 0x4b790600, v9
	global_store_dword v[14:15], v13, off
	v_mov_b32_e32 v13, 0xc106e571
	v_fmac_f32_e32 v13, 0x40900000, v3
	v_fmamk_f32 v13, v4, 0x43fb9bbc, v13
	v_mul_f32_e32 v14, 0x3fb8aa3b, v13
	v_fma_f32 v15, v13, s3, -v14
	v_rndne_f32_e32 v16, v14
	v_fmac_f32_e32 v15, 0x32a5705f, v13
	v_sub_f32_e32 v14, v14, v16
	v_add_f32_e32 v14, v14, v15
	v_exp_f32_e32 v17, v14
	v_cvt_i32_f32_e32 v16, v16
	v_mul_f32_e32 v9, 0x4a790600, v9
	v_lshl_add_u64 v[14:15], v[0:1], 2, s[6:7]
	global_store_dword v[14:15], v9, off
	v_ldexp_f32 v9, v17, v16
	v_cmp_ngt_f32_e32 vcc, s2, v13
	v_add_u32_e32 v0, s5, v0
	s_nop 0
	v_cndmask_b32_e32 v9, 0, v9, vcc
	v_cmp_nlt_f32_e32 vcc, s4, v13
	v_fmaak_f32 v13, 4.0, v3, 0xc0f455f7
	v_fmamk_f32 v13, v4, 0x447b9bbc, v13
	v_mul_f32_e32 v14, 0x3fb8aa3b, v13
	v_fma_f32 v15, v13, s3, -v14
	v_rndne_f32_e32 v16, v14
	v_fmac_f32_e32 v15, 0x32a5705f, v13
	v_sub_f32_e32 v14, v14, v16
	v_add_f32_e32 v14, v14, v15
	v_exp_f32_e32 v17, v14
	v_cvt_i32_f32_e32 v16, v16
	v_cndmask_b32_e32 v9, v2, v9, vcc
	v_lshl_add_u64 v[14:15], v[0:1], 2, s[6:7]
	global_store_dword v[14:15], v9, off
	v_ldexp_f32 v9, v17, v16
	v_cmp_ngt_f32_e32 vcc, s2, v13
	v_add_u32_e32 v0, s5, v0
	s_nop 0
	v_cndmask_b32_e32 v9, 0, v9, vcc
	v_cmp_nlt_f32_e32 vcc, s4, v13
	s_nop 1
	v_cndmask_b32_e32 v13, v2, v9, vcc
	v_mov_b32_e32 v9, 0x4180f1dc
	v_fmac_f32_e32 v9, 2.0, v3
	v_fmamk_f32 v16, v4, 0xc53cb4cd, v9
	v_mul_f32_e32 v14, 0x3fb8aa3b, v16
	v_fma_f32 v15, v16, s3, -v14
	v_rndne_f32_e32 v17, v14
	v_fmac_f32_e32 v15, 0x32a5705f, v16
	v_sub_f32_e32 v14, v14, v17
	v_add_f32_e32 v14, v14, v15
	v_exp_f32_e32 v18, v14
	v_cvt_i32_f32_e32 v17, v17
	v_lshl_add_u64 v[14:15], v[0:1], 2, s[6:7]
	global_store_dword v[14:15], v13, off
	v_mov_b32_e32 v14, 0x42fedc7c
	v_ldexp_f32 v13, v18, v17
	v_cmp_ngt_f32_e32 vcc, s2, v16
	v_fmac_f32_e32 v14, 0xc13d1eb8, v3
	v_add_u32_e32 v0, s5, v0
	v_cndmask_b32_e32 v13, 0, v13, vcc
	v_cmp_nlt_f32_e32 vcc, s4, v16
	v_fmamk_f32 v16, v4, 0xc68c77dd, v14
	v_mul_f32_e32 v14, 0x3fb8aa3b, v16
	v_fma_f32 v15, v16, s3, -v14
	v_rndne_f32_e32 v17, v14
	v_fmac_f32_e32 v15, 0x32a5705f, v16
	v_sub_f32_e32 v14, v14, v17
	v_add_f32_e32 v14, v14, v15
	v_exp_f32_e32 v18, v14
	v_cvt_i32_f32_e32 v17, v17
	v_cndmask_b32_e32 v13, v2, v13, vcc
	v_lshl_add_u64 v[14:15], v[0:1], 2, s[6:7]
	global_store_dword v[14:15], v13, off
	v_ldexp_f32 v13, v18, v17
	v_cmp_ngt_f32_e32 vcc, s2, v16
	v_add_u32_e32 v0, s5, v0
	v_lshl_add_u64 v[14:15], v[0:1], 2, s[6:7]
	v_cndmask_b32_e32 v13, 0, v13, vcc
	v_cmp_nlt_f32_e32 vcc, s4, v16
	v_add_u32_e32 v0, s5, v0
	v_fmac_f32_e32 v9, 0xc57b9bbc, v4
	v_cndmask_b32_e32 v13, v2, v13, vcc
	global_store_dword v[14:15], v13, off
	v_lshl_add_u64 v[14:15], v[0:1], 2, s[6:7]
	v_add_u32_e32 v0, s5, v0
	global_store_dword v[14:15], v12, off
	v_lshl_add_u64 v[14:15], v[0:1], 2, s[6:7]
	v_add_u32_e32 v0, s5, v0
	global_store_dword v[14:15], v12, off
	v_lshl_add_u64 v[14:15], v[0:1], 2, s[6:7]
	global_store_dword v[14:15], v6, off
	v_mov_b32_e32 v6, 0x4205b870
	v_fmac_f32_e32 v6, 0xbd75c28f, v3
	v_fmamk_f32 v6, v4, 0xc585aabc, v6
	v_mul_f32_e32 v13, 0x3fb8aa3b, v6
	v_fma_f32 v14, v6, s3, -v13
	v_rndne_f32_e32 v15, v13
	v_fmac_f32_e32 v14, 0x32a5705f, v6
	v_sub_f32_e32 v13, v13, v15
	v_add_f32_e32 v13, v13, v14
	v_exp_f32_e32 v13, v13
	v_cvt_i32_f32_e32 v16, v15
	v_cmp_ngt_f32_e32 vcc, s2, v6
	v_add_u32_e32 v0, s5, v0
	v_lshl_add_u64 v[14:15], v[0:1], 2, s[6:7]
	v_ldexp_f32 v13, v13, v16
	v_cndmask_b32_e32 v13, 0, v13, vcc
	v_cmp_nlt_f32_e32 vcc, s4, v6
	global_store_dword v[14:15], v11, off
	v_add_u32_e32 v0, s5, v0
	v_cndmask_b32_e32 v6, v2, v13, vcc
	v_mov_b32_e32 v13, 0x41a907a4
	v_fmac_f32_e32 v13, 0x3fb70a3d, v3
	v_fmamk_f32 v13, v4, 0xc4a934e4, v13
	v_mul_f32_e32 v14, 0x3fb8aa3b, v13
	v_fma_f32 v15, v13, s3, -v14
	v_rndne_f32_e32 v16, v14
	v_fmac_f32_e32 v15, 0x32a5705f, v13
	v_sub_f32_e32 v14, v14, v16
	v_add_f32_e32 v14, v14, v15
	v_exp_f32_e32 v17, v14
	v_cvt_i32_f32_e32 v16, v16
	v_lshl_add_u64 v[14:15], v[0:1], 2, s[6:7]
	global_store_dword v[14:15], v6, off
	v_cmp_ngt_f32_e32 vcc, s2, v13
	v_ldexp_f32 v6, v17, v16
	v_add_u32_e32 v0, s0, v0
	v_cndmask_b32_e32 v6, 0, v6, vcc
	v_cmp_nlt_f32_e32 vcc, s4, v13
	v_mul_f32_e32 v13, 0x3fb8aa3b, v7
	v_fma_f32 v14, v7, s3, -v13
	v_rndne_f32_e32 v15, v13
	v_fmac_f32_e32 v14, 0x32a5705f, v7
	v_sub_f32_e32 v13, v13, v15
	v_add_f32_e32 v13, v13, v14
	v_exp_f32_e32 v13, v13
	v_cvt_i32_f32_e32 v16, v15
	v_cndmask_b32_e32 v6, v2, v6, vcc
	v_lshl_add_u64 v[14:15], v[0:1], 2, s[6:7]
	global_store_dword v[14:15], v6, off
	v_ldexp_f32 v6, v13, v16
	v_cmp_ngt_f32_e32 vcc, s2, v7
	v_mul_f32_e32 v14, 0xc47b9bbc, v4
	v_add_u32_e32 v0, s0, v0
	v_cndmask_b32_e32 v6, 0, v6, vcc
	v_cmp_nlt_f32_e32 vcc, s4, v7
	s_nop 1
	v_cndmask_b32_e32 v13, v2, v6, vcc
	v_mul_f32_e32 v6, 0x3fb8aa3b, v14
	v_fma_f32 v7, v14, s3, -v6
	v_rndne_f32_e32 v15, v6
	v_fmac_f32_e32 v7, 0x32a5705f, v14
	v_sub_f32_e32 v6, v6, v15
	v_add_f32_e32 v6, v6, v7
	v_exp_f32_e32 v16, v6
	v_cvt_i32_f32_e32 v15, v15
	v_lshl_add_u64 v[6:7], v[0:1], 2, s[6:7]
	global_store_dword v[6:7], v13, off
	v_cmp_ngt_f32_e32 vcc, s2, v14
	v_ldexp_f32 v6, v16, v15
	v_add_u32_e32 v0, s5, v0
	v_cndmask_b32_e32 v6, 0, v6, vcc
	v_cmp_nlt_f32_e32 vcc, s4, v14
	s_nop 1
	v_cndmask_b32_e32 v13, v2, v6, vcc
	v_mul_f32_e32 v14, 0x54da475b, v13
	v_lshl_add_u64 v[6:7], v[0:1], 2, s[6:7]
	global_store_dword v[6:7], v14, off
	v_mad_u64_u32 v[6:7], s[8:9], s5, 21, v[0:1]
	v_mov_b32_e32 v7, v1
	v_lshl_add_u64 v[14:15], v[6:7], 2, s[6:7]
	v_mad_u64_u32 v[6:7], s[8:9], s5, 34, v[6:7]
	v_mov_b32_e32 v7, 0x41eb7cfb
	v_fmac_f32_e32 v7, 0x3e8a3d71, v3
	v_mul_f32_e32 v16, 0x551184e7, v13
	v_mul_f32_e32 v0, 0x559184e7, v13
	v_fmamk_f32 v13, v4, 0xc30ce692, v7
	v_mul_f32_e32 v7, 0x3fb8aa3b, v13
	global_store_dword v[14:15], v16, off
	v_fma_f32 v14, v13, s3, -v7
	v_rndne_f32_e32 v15, v7
	v_fmac_f32_e32 v14, 0x32a5705f, v13
	v_sub_f32_e32 v7, v7, v15
	v_add_f32_e32 v7, v7, v14
	v_exp_f32_e32 v16, v7
	v_cvt_i32_f32_e32 v17, v15
	v_mov_b32_e32 v7, v1
	v_lshl_add_u64 v[14:15], v[6:7], 2, s[6:7]
	global_store_dword v[14:15], v0, off
	v_ldexp_f32 v0, v16, v17
	v_cmp_ngt_f32_e32 vcc, s2, v13
	v_mov_b32_e32 v15, 0x55db143f
	s_nop 0
	v_cndmask_b32_e32 v0, 0, v0, vcc
	v_cmp_nlt_f32_e32 vcc, s4, v13
	s_nop 1
	v_cndmask_b32_e32 v13, v2, v0, vcc
	v_add_u32_e32 v0, s1, v6
	v_lshl_add_u64 v[6:7], v[0:1], 2, s[6:7]
	v_add_u32_e32 v0, s5, v0
	global_store_dword v[6:7], v13, off
	v_lshl_add_u64 v[6:7], v[0:1], 2, s[6:7]
	v_add_u32_e32 v0, s5, v0
	global_store_dword v[6:7], v8, off
	v_lshl_add_u64 v[6:7], v[0:1], 2, s[6:7]
	v_add_u32_e32 v0, s5, v0
	global_store_dword v[6:7], v10, off
	v_lshl_add_u64 v[6:7], v[0:1], 2, s[6:7]
	v_mov_b32_e32 v8, 0x562e9f7c
	v_add_u32_e32 v0, s5, v0
	global_store_dword v[6:7], v8, off
	v_lshl_add_u64 v[6:7], v[0:1], 2, s[6:7]
	global_store_dword v[6:7], v8, off
	v_mov_b32_e32 v6, 0x4161bb1b
	v_fmac_f32_e32 v6, 0x3fce147b, v3
	v_fmamk_f32 v8, v4, 0x4340eeeb, v6
	v_mul_f32_e32 v6, 0x3fb8aa3b, v8
	v_fma_f32 v7, v8, s3, -v6
	v_rndne_f32_e32 v13, v6
	v_fmac_f32_e32 v7, 0x32a5705f, v8
	v_sub_f32_e32 v6, v6, v13
	v_add_f32_e32 v6, v6, v7
	v_exp_f32_e32 v14, v6
	v_cvt_i32_f32_e32 v13, v13
	v_add_u32_e32 v0, s5, v0
	v_lshl_add_u64 v[6:7], v[0:1], 2, s[6:7]
	global_store_dword v[6:7], v15, off
	v_ldexp_f32 v6, v14, v13
	v_cmp_ngt_f32_e32 vcc, s2, v8
	v_add_u32_e32 v0, s5, v0
	s_nop 0
	v_cndmask_b32_e32 v6, 0, v6, vcc
	v_cmp_nlt_f32_e32 vcc, s4, v8
	s_nop 1
	v_cndmask_b32_e32 v8, v2, v6, vcc
	v_mov_b32_e32 v6, 0x41d36a98
	v_fmac_f32_e32 v6, 0x3e947ae1, v3
	v_fmamk_f32 v13, v4, 0xc0b121dc, v6
	v_mul_f32_e32 v6, 0x3fb8aa3b, v13
	v_fma_f32 v7, v13, s3, -v6
	v_rndne_f32_e32 v14, v6
	v_fmac_f32_e32 v7, 0x32a5705f, v13
	v_sub_f32_e32 v6, v6, v14
	v_add_f32_e32 v6, v6, v7
	v_exp_f32_e32 v15, v6
	v_cvt_i32_f32_e32 v14, v14
	v_lshl_add_u64 v[6:7], v[0:1], 2, s[6:7]
	global_store_dword v[6:7], v8, off
	v_cmp_ngt_f32_e32 vcc, s2, v13
	v_ldexp_f32 v6, v15, v14
	v_add_u32_e32 v0, s5, v0
	v_cndmask_b32_e32 v6, 0, v6, vcc
	v_cmp_nlt_f32_e32 vcc, s4, v13
	s_nop 1
	v_cndmask_b32_e32 v8, v2, v6, vcc
	v_mov_b32_e32 v6, 0x4219783c
	v_fmac_f32_e32 v6, 0xbfb1eb85, v3
	v_fmamk_f32 v13, v4, 0xc3fe1fda, v6
	v_mul_f32_e32 v6, 0x3fb8aa3b, v13
	v_fma_f32 v7, v13, s3, -v6
	v_rndne_f32_e32 v14, v6
	v_fmac_f32_e32 v7, 0x32a5705f, v13
	v_sub_f32_e32 v6, v6, v14
	v_add_f32_e32 v6, v6, v7
	v_exp_f32_e32 v15, v6
	v_cvt_i32_f32_e32 v14, v14
	v_lshl_add_u64 v[6:7], v[0:1], 2, s[6:7]
	global_store_dword v[6:7], v8, off
	v_cmp_ngt_f32_e32 vcc, s2, v13
	v_ldexp_f32 v6, v15, v14
	v_add_u32_e32 v0, s5, v0
	v_cndmask_b32_e32 v6, 0, v6, vcc
	v_cmp_nlt_f32_e32 vcc, s4, v13
	s_nop 1
	v_cndmask_b32_e32 v8, v2, v6, vcc
	v_lshl_add_u64 v[6:7], v[0:1], 2, s[6:7]
	global_store_dword v[6:7], v8, off
	v_mov_b32_e32 v8, 0x41b9bb55
	v_fmac_f32_e32 v8, 0x4395f565, v4
	v_mul_f32_e32 v6, 0x3fb8aa3b, v8
	v_fma_f32 v7, v8, s3, -v6
	v_rndne_f32_e32 v13, v6
	v_fmac_f32_e32 v7, 0x32a5705f, v8
	v_sub_f32_e32 v6, v6, v13
	v_add_f32_e32 v6, v6, v7
	v_exp_f32_e32 v14, v6
	v_cvt_i32_f32_e32 v13, v13
	v_add_u32_e32 v0, s5, v0
	v_lshl_add_u64 v[6:7], v[0:1], 2, s[6:7]
	global_store_dword v[6:7], v11, off
	v_ldexp_f32 v6, v14, v13
	v_cmp_ngt_f32_e32 vcc, s2, v8
	v_add_u32_e32 v0, s5, v0
	v_mov_b32_e32 v14, 0x55b5e621
	v_cndmask_b32_e32 v6, 0, v6, vcc
	v_cmp_nlt_f32_e32 vcc, s4, v8
	s_nop 1
	v_cndmask_b32_e32 v8, v2, v6, vcc
	v_lshl_add_u64 v[6:7], v[0:1], 2, s[6:7]
	v_add_u32_e32 v0, s5, v0
	global_store_dword v[6:7], v8, off
	v_lshl_add_u64 v[6:7], v[0:1], 2, s[6:7]
	v_mov_b32_e32 v8, 0x56a44f2f
	v_add_u32_e32 v0, s5, v0
	global_store_dword v[6:7], v8, off
	v_lshl_add_u64 v[6:7], v[0:1], 2, s[6:7]
	v_mov_b32_e32 v8, 0x52b68a0b
	global_store_dword v[6:7], v8, off
	v_mov_b32_e32 v6, 0x425eab87
	v_fmac_f32_e32 v6, 0xc0351eb8, v3
	v_fmamk_f32 v8, v4, 0xc612638d, v6
	v_mul_f32_e32 v6, 0x3fb8aa3b, v8
	v_fma_f32 v7, v8, s3, -v6
	v_rndne_f32_e32 v11, v6
	v_fmac_f32_e32 v7, 0x32a5705f, v8
	v_sub_f32_e32 v6, v6, v11
	v_add_f32_e32 v6, v6, v7
	v_exp_f32_e32 v13, v6
	v_cvt_i32_f32_e32 v11, v11
	v_add_u32_e32 v0, s5, v0
	v_lshl_add_u64 v[6:7], v[0:1], 2, s[6:7]
	global_store_dword v[6:7], v14, off
	v_ldexp_f32 v6, v13, v11
	v_cmp_ngt_f32_e32 vcc, s2, v8
	v_add_u32_e32 v0, s5, v0
	s_nop 0
	v_cndmask_b32_e32 v6, 0, v6, vcc
	v_cmp_nlt_f32_e32 vcc, s4, v8
	s_nop 1
	v_cndmask_b32_e32 v8, v2, v6, vcc
	v_mov_b32_e32 v6, 0x42c0eb94
	v_fmac_f32_e32 v6, 0xc1125a1d, v3
	v_fmamk_f32 v11, v4, 0xc6b861b9, v6
	v_mul_f32_e32 v6, 0x3fb8aa3b, v11
	v_fma_f32 v7, v11, s3, -v6
	v_rndne_f32_e32 v13, v6
	v_fmac_f32_e32 v7, 0x32a5705f, v11
	v_sub_f32_e32 v6, v6, v13
	v_add_f32_e32 v6, v6, v7
	v_exp_f32_e32 v14, v6
	v_cvt_i32_f32_e32 v13, v13
	v_lshl_add_u64 v[6:7], v[0:1], 2, s[6:7]
	global_store_dword v[6:7], v8, off
	v_cmp_ngt_f32_e32 vcc, s2, v11
	v_ldexp_f32 v6, v14, v13
	v_add_u32_e32 v0, s5, v0
	v_cndmask_b32_e32 v6, 0, v6, vcc
	v_cmp_nlt_f32_e32 vcc, s4, v11
	v_mov_b32_e32 v13, 0x56a3b584
	s_nop 0
	v_cndmask_b32_e32 v8, v2, v6, vcc
	v_lshl_add_u64 v[6:7], v[0:1], 2, s[6:7]
	v_add_u32_e32 v0, s5, v0
	global_store_dword v[6:7], v8, off
	v_lshl_add_u64 v[6:7], v[0:1], 2, s[6:7]
	v_mul_f32_e32 v8, 0xc4fb9bbc, v4
	global_store_dword v[6:7], v12, off
	v_mul_f32_e32 v6, 0x3fb8aa3b, v8
	v_fma_f32 v7, v8, s3, -v6
	v_rndne_f32_e32 v11, v6
	v_fmac_f32_e32 v7, 0x32a5705f, v8
	v_sub_f32_e32 v6, v6, v11
	v_add_f32_e32 v6, v6, v7
	v_exp_f32_e32 v12, v6
	v_cvt_i32_f32_e32 v11, v11
	v_add_u32_e32 v0, s5, v0
	v_lshl_add_u64 v[6:7], v[0:1], 2, s[6:7]
	global_store_dword v[6:7], v13, off
	v_ldexp_f32 v6, v12, v11
	v_cmp_ngt_f32_e32 vcc, s2, v8
	v_add_u32_e32 v0, s5, v0
	v_mov_b32_e32 v13, 0x50861c46
	v_cndmask_b32_e32 v6, 0, v6, vcc
	v_cmp_nlt_f32_e32 vcc, s4, v8
	s_nop 1
	v_cndmask_b32_e32 v6, v2, v6, vcc
	v_mul_f32_e32 v8, 0x559184e7, v6
	v_lshl_add_u64 v[6:7], v[0:1], 2, s[6:7]
	v_add_u32_e32 v0, s5, v0
	global_store_dword v[6:7], v8, off
	v_lshl_add_u64 v[6:7], v[0:1], 2, s[6:7]
	v_add_u32_e32 v0, s0, v0
	global_store_dword v[6:7], v8, off
	v_lshl_add_u64 v[6:7], v[0:1], 2, s[6:7]
	v_mov_b32_e32 v8, 0x5202629a
	global_store_dword v[6:7], v8, off
	v_mov_b32_e32 v6, 0x41edaf07
	v_fmac_f32_e32 v6, 0x3ee147ae, v3
	v_fmamk_f32 v8, v4, 0xc72e7e8b, v6
	v_mul_f32_e32 v6, 0x3fb8aa3b, v8
	v_fma_f32 v7, v8, s3, -v6
	v_rndne_f32_e32 v11, v6
	v_fmac_f32_e32 v7, 0x32a5705f, v8
	v_sub_f32_e32 v6, v6, v11
	v_add_f32_e32 v6, v6, v7
	v_exp_f32_e32 v12, v6
	v_cvt_i32_f32_e32 v11, v11
	v_add_u32_e32 v0, s5, v0
	v_lshl_add_u64 v[6:7], v[0:1], 2, s[6:7]
	global_store_dword v[6:7], v13, off
	v_ldexp_f32 v6, v12, v11
	v_cmp_ngt_f32_e32 vcc, s2, v8
	v_add_u32_e32 v0, s5, v0
	s_nop 0
	v_cndmask_b32_e32 v6, 0, v6, vcc
	v_cmp_nlt_f32_e32 vcc, s4, v8
	s_nop 1
	v_cndmask_b32_e32 v8, v2, v6, vcc
	v_mov_b32_e32 v6, 0x41dda9f3
	v_fmac_f32_e32 v6, 0x3ee872b0, v3
	v_fmamk_f32 v11, v4, 0xc464f6ad, v6
	v_mul_f32_e32 v6, 0x3fb8aa3b, v11
	v_fma_f32 v7, v11, s3, -v6
	v_rndne_f32_e32 v12, v6
	v_fmac_f32_e32 v7, 0x32a5705f, v11
	v_sub_f32_e32 v6, v6, v12
	v_add_f32_e32 v6, v6, v7
	v_exp_f32_e32 v13, v6
	v_cvt_i32_f32_e32 v12, v12
	v_lshl_add_u64 v[6:7], v[0:1], 2, s[6:7]
	global_store_dword v[6:7], v8, off
	v_cmp_ngt_f32_e32 vcc, s2, v11
	v_ldexp_f32 v6, v13, v12
	v_add_u32_e32 v0, s5, v0
	v_cndmask_b32_e32 v6, 0, v6, vcc
	v_cmp_nlt_f32_e32 vcc, s4, v11
	s_nop 1
	v_cndmask_b32_e32 v8, v2, v6, vcc
	v_mov_b32_e32 v6, 0x418dee76
	v_fmac_f32_e32 v6, 0x3ff70a3d, v3
	v_fmamk_f32 v11, v4, 0xc5cba53f, v6
	v_mul_f32_e32 v6, 0x3fb8aa3b, v11
	v_fma_f32 v7, v11, s3, -v6
	v_rndne_f32_e32 v12, v6
	v_fmac_f32_e32 v7, 0x32a5705f, v11
	v_sub_f32_e32 v6, v6, v12
	v_add_f32_e32 v6, v6, v7
	v_exp_f32_e32 v13, v6
	v_cvt_i32_f32_e32 v12, v12
	v_lshl_add_u64 v[6:7], v[0:1], 2, s[6:7]
	global_store_dword v[6:7], v8, off
	v_cmp_ngt_f32_e32 vcc, s2, v11
	v_ldexp_f32 v6, v13, v12
	v_add_u32_e32 v0, s5, v0
	;; [unrolled: 20-line block ×3, first 2 shown]
	v_cndmask_b32_e32 v6, 0, v6, vcc
	v_cmp_nlt_f32_e32 vcc, s4, v11
	s_nop 1
	v_cndmask_b32_e32 v8, v2, v6, vcc
	v_mul_f32_e32 v6, 0xc2dd6a53, v4
	v_fmamk_f32 v11, v3, 0x3fea3d71, v6
	v_mul_f32_e32 v6, 0x3fb8aa3b, v11
	v_fma_f32 v7, v11, s3, -v6
	v_rndne_f32_e32 v12, v6
	v_fmac_f32_e32 v7, 0x32a5705f, v11
	v_sub_f32_e32 v6, v6, v12
	v_add_f32_e32 v6, v6, v7
	v_exp_f32_e32 v13, v6
	v_cvt_i32_f32_e32 v12, v12
	v_lshl_add_u64 v[6:7], v[0:1], 2, s[6:7]
	global_store_dword v[6:7], v8, off
	v_cmp_ngt_f32_e32 vcc, s2, v11
	v_ldexp_f32 v6, v13, v12
	v_add_u32_e32 v0, s5, v0
	v_cndmask_b32_e32 v6, 0, v6, vcc
	v_cmp_nlt_f32_e32 vcc, s4, v11
	s_nop 1
	v_cndmask_b32_e32 v8, v2, v6, vcc
	v_mul_f32_e32 v11, 0x4b927c00, v8
	v_lshl_add_u64 v[6:7], v[0:1], 2, s[6:7]
	global_store_dword v[6:7], v11, off
	v_mov_b32_e32 v6, 0x41718b09
	v_fmac_f32_e32 v6, 2.0, v3
	v_fmamk_f32 v11, v4, 0xc49d4155, v6
	v_mul_f32_e32 v6, 0x3fb8aa3b, v11
	v_fma_f32 v7, v11, s3, -v6
	v_rndne_f32_e32 v12, v6
	v_fmac_f32_e32 v7, 0x32a5705f, v11
	v_sub_f32_e32 v6, v6, v12
	v_add_f32_e32 v6, v6, v7
	v_exp_f32_e32 v13, v6
	v_cvt_i32_f32_e32 v12, v12
	v_add_u32_e32 v0, s5, v0
	v_mul_f32_e32 v8, 0x48bb8000, v8
	v_lshl_add_u64 v[6:7], v[0:1], 2, s[6:7]
	global_store_dword v[6:7], v8, off
	v_ldexp_f32 v6, v13, v12
	v_cmp_ngt_f32_e32 vcc, s2, v11
	v_add_u32_e32 v0, s5, v0
	s_nop 0
	v_cndmask_b32_e32 v6, 0, v6, vcc
	v_cmp_nlt_f32_e32 vcc, s4, v11
	v_mov_b32_e32 v11, 0x41fafccf
	v_fmac_f32_e32 v11, 0xc6ef0726, v4
	v_cndmask_b32_e32 v8, v2, v6, vcc
	v_mul_f32_e32 v6, 0x3fb8aa3b, v11
	v_fma_f32 v7, v11, s3, -v6
	v_rndne_f32_e32 v12, v6
	v_fmac_f32_e32 v7, 0x32a5705f, v11
	v_sub_f32_e32 v6, v6, v12
	v_add_f32_e32 v6, v6, v7
	v_exp_f32_e32 v13, v6
	v_cvt_i32_f32_e32 v12, v12
	v_lshl_add_u64 v[6:7], v[0:1], 2, s[6:7]
	global_store_dword v[6:7], v8, off
	v_cmp_ngt_f32_e32 vcc, s2, v11
	v_ldexp_f32 v6, v13, v12
	v_add_u32_e32 v0, s5, v0
	v_cndmask_b32_e32 v6, 0, v6, vcc
	v_cmp_nlt_f32_e32 vcc, s4, v11
	v_mov_b32_e32 v11, 0x41e297e6
	v_fmac_f32_e32 v11, 0xc5dc2844, v4
	v_cndmask_b32_e32 v8, v2, v6, vcc
	v_mul_f32_e32 v6, 0x3fb8aa3b, v11
	v_fma_f32 v7, v11, s3, -v6
	v_rndne_f32_e32 v12, v6
	v_fmac_f32_e32 v7, 0x32a5705f, v11
	v_sub_f32_e32 v6, v6, v12
	v_add_f32_e32 v6, v6, v7
	v_exp_f32_e32 v13, v6
	v_cvt_i32_f32_e32 v12, v12
	v_lshl_add_u64 v[6:7], v[0:1], 2, s[6:7]
	global_store_dword v[6:7], v8, off
	v_cmp_ngt_f32_e32 vcc, s2, v11
	v_ldexp_f32 v6, v13, v12
	v_add_u32_e32 v0, s5, v0
	v_cndmask_b32_e32 v6, 0, v6, vcc
	v_cmp_nlt_f32_e32 vcc, s4, v11
	s_nop 1
	v_cndmask_b32_e32 v8, v2, v6, vcc
	v_mul_f32_e32 v6, 0x3fb8aa3b, v9
	v_fma_f32 v7, v9, s3, -v6
	v_rndne_f32_e32 v11, v6
	v_fmac_f32_e32 v7, 0x32a5705f, v9
	v_sub_f32_e32 v6, v6, v11
	v_add_f32_e32 v6, v6, v7
	v_exp_f32_e32 v12, v6
	v_cvt_i32_f32_e32 v11, v11
	v_lshl_add_u64 v[6:7], v[0:1], 2, s[6:7]
	global_store_dword v[6:7], v8, off
	v_cmp_ngt_f32_e32 vcc, s2, v9
	v_ldexp_f32 v6, v12, v11
	v_add_u32_e32 v0, s5, v0
	v_cndmask_b32_e32 v6, 0, v6, vcc
	v_cmp_nlt_f32_e32 vcc, s4, v9
	v_mov_b32_e32 v9, 0x41f50397
	v_fmac_f32_e32 v9, 0xc53cb4cd, v4
	v_cndmask_b32_e32 v8, v2, v6, vcc
	v_mul_f32_e32 v6, 0x3fb8aa3b, v9
	v_fma_f32 v7, v9, s3, -v6
	v_rndne_f32_e32 v11, v6
	v_fmac_f32_e32 v7, 0x32a5705f, v9
	v_sub_f32_e32 v6, v6, v11
	v_add_f32_e32 v6, v6, v7
	v_exp_f32_e32 v12, v6
	v_cvt_i32_f32_e32 v11, v11
	v_lshl_add_u64 v[6:7], v[0:1], 2, s[6:7]
	global_store_dword v[6:7], v8, off
	v_cmp_ngt_f32_e32 vcc, s2, v9
	v_ldexp_f32 v6, v12, v11
	v_add_u32_e32 v0, s5, v0
	v_cndmask_b32_e32 v6, 0, v6, vcc
	v_cmp_nlt_f32_e32 vcc, s4, v9
	v_mov_b32_e32 v12, 0x56da475b
	s_nop 0
	v_cndmask_b32_e32 v8, v2, v6, vcc
	v_lshl_add_u64 v[6:7], v[0:1], 2, s[6:7]
	v_add_u32_e32 v0, s5, v0
	global_store_dword v[6:7], v8, off
	v_lshl_add_u64 v[6:7], v[0:1], 2, s[6:7]
	global_store_dword v[6:7], v5, off
	v_mov_b32_e32 v6, 0x414552c3
	v_fmac_f32_e32 v6, 2.0, v3
	v_fmamk_f32 v8, v4, 0xc590acbf, v6
	v_mul_f32_e32 v6, 0x3fb8aa3b, v8
	v_fma_f32 v7, v8, s3, -v6
	v_rndne_f32_e32 v9, v6
	v_fmac_f32_e32 v7, 0x32a5705f, v8
	v_sub_f32_e32 v6, v6, v9
	v_add_f32_e32 v6, v6, v7
	v_exp_f32_e32 v11, v6
	v_cvt_i32_f32_e32 v9, v9
	v_add_u32_e32 v0, s5, v0
	v_lshl_add_u64 v[6:7], v[0:1], 2, s[6:7]
	global_store_dword v[6:7], v5, off
	v_ldexp_f32 v5, v11, v9
	v_cmp_ngt_f32_e32 vcc, s2, v8
	v_add_u32_e32 v0, s5, v0
	s_nop 0
	v_cndmask_b32_e32 v5, 0, v5, vcc
	v_cmp_nlt_f32_e32 vcc, s4, v8
	v_mov_b32_e32 v8, 0x41d42dca
	v_fmac_f32_e32 v8, 0xc5722c4b, v4
	v_mul_f32_e32 v6, 0x3fb8aa3b, v8
	v_fma_f32 v7, v8, s3, -v6
	v_rndne_f32_e32 v9, v6
	v_fmac_f32_e32 v7, 0x32a5705f, v8
	v_sub_f32_e32 v6, v6, v9
	v_add_f32_e32 v6, v6, v7
	v_exp_f32_e32 v11, v6
	v_cvt_i32_f32_e32 v9, v9
	v_cndmask_b32_e32 v5, v2, v5, vcc
	v_lshl_add_u64 v[6:7], v[0:1], 2, s[6:7]
	global_store_dword v[6:7], v5, off
	v_mov_b32_e32 v6, 0x42232d98
	v_ldexp_f32 v5, v11, v9
	v_cmp_ngt_f32_e32 vcc, s2, v8
	v_fmac_f32_e32 v6, 0xbf7d70a4, v3
	v_add_u32_e32 v0, s5, v0
	v_cndmask_b32_e32 v5, 0, v5, vcc
	v_cmp_nlt_f32_e32 vcc, s4, v8
	v_fmamk_f32 v8, v4, 0xc446c545, v6
	v_mul_f32_e32 v6, 0x3fb8aa3b, v8
	v_fma_f32 v7, v8, s3, -v6
	v_rndne_f32_e32 v9, v6
	v_fmac_f32_e32 v7, 0x32a5705f, v8
	v_sub_f32_e32 v6, v6, v9
	v_add_f32_e32 v6, v6, v7
	v_exp_f32_e32 v11, v6
	v_cvt_i32_f32_e32 v9, v9
	v_cndmask_b32_e32 v5, v2, v5, vcc
	v_lshl_add_u64 v[6:7], v[0:1], 2, s[6:7]
	global_store_dword v[6:7], v5, off
	v_ldexp_f32 v5, v11, v9
	v_cmp_ngt_f32_e32 vcc, s2, v8
	v_add_u32_e32 v0, s5, v0
	v_lshl_add_u64 v[6:7], v[0:1], 2, s[6:7]
	v_cndmask_b32_e32 v5, 0, v5, vcc
	v_cmp_nlt_f32_e32 vcc, s4, v8
	v_add_u32_e32 v0, s5, v0
	v_mov_b32_e32 v8, 0x41b717bc
	v_cndmask_b32_e32 v5, v2, v5, vcc
	global_store_dword v[6:7], v5, off
	v_lshl_add_u64 v[6:7], v[0:1], 2, s[6:7]
	v_mov_b32_e32 v5, 0x53e8d4a5
	v_add_u32_e32 v0, s5, v0
	global_store_dword v[6:7], v5, off
	v_lshl_add_u64 v[6:7], v[0:1], 2, s[6:7]
	v_mov_b32_e32 v5, 0x556969a8
	v_add_u32_e32 v0, s5, v0
	;; [unrolled: 4-line block ×5, first 2 shown]
	global_store_dword v[6:7], v5, off
	v_lshl_add_u64 v[6:7], v[0:1], 2, s[6:7]
	v_fmac_f32_e32 v8, 0xc3f51107, v4
	global_store_dword v[6:7], v5, off
	v_mul_f32_e32 v5, 0x3fb8aa3b, v8
	v_fma_f32 v6, v8, s3, -v5
	v_rndne_f32_e32 v7, v5
	v_fmac_f32_e32 v6, 0x32a5705f, v8
	v_sub_f32_e32 v5, v5, v7
	v_add_f32_e32 v5, v5, v6
	v_exp_f32_e32 v9, v5
	v_cvt_i32_f32_e32 v11, v7
	v_add_u32_e32 v0, s5, v0
	v_lshl_add_u64 v[6:7], v[0:1], 2, s[6:7]
	v_mov_b32_e32 v5, 0x55ae9f7c
	global_store_dword v[6:7], v5, off
	v_ldexp_f32 v6, v9, v11
	v_cmp_ngt_f32_e32 vcc, s2, v8
	v_add_u32_e32 v0, s5, v0
	s_nop 0
	v_cndmask_b32_e32 v6, 0, v6, vcc
	v_cmp_nlt_f32_e32 vcc, s4, v8
	s_nop 1
	v_cndmask_b32_e32 v8, v2, v6, vcc
	v_lshl_add_u64 v[6:7], v[0:1], 2, s[6:7]
	global_store_dword v[6:7], v8, off
	v_mov_b32_e32 v6, 0x41947bc9
	v_fmac_f32_e32 v6, 0x3ff33333, v3
	v_fmamk_f32 v8, v4, 0xc56cd38b, v6
	v_mul_f32_e32 v6, 0x3fb8aa3b, v8
	v_fma_f32 v7, v8, s3, -v6
	v_rndne_f32_e32 v9, v6
	v_fmac_f32_e32 v7, 0x32a5705f, v8
	v_sub_f32_e32 v6, v6, v9
	v_add_f32_e32 v6, v6, v7
	v_exp_f32_e32 v11, v6
	v_cvt_i32_f32_e32 v9, v9
	v_add_u32_e32 v0, s5, v0
	v_lshl_add_u64 v[6:7], v[0:1], 2, s[6:7]
	global_store_dword v[6:7], v12, off
	v_ldexp_f32 v6, v11, v9
	v_cmp_ngt_f32_e32 vcc, s2, v8
	v_add_u32_e32 v0, s5, v0
	s_nop 0
	v_cndmask_b32_e32 v6, 0, v6, vcc
	v_cmp_nlt_f32_e32 vcc, s4, v8
	s_nop 1
	v_cndmask_b32_e32 v8, v2, v6, vcc
	v_mov_b32_e32 v6, 0x41928138
	v_fmac_f32_e32 v6, 0x3ff5c28f, v3
	v_fmamk_f32 v9, v4, 0xc532f4d8, v6
	v_mul_f32_e32 v6, 0x3fb8aa3b, v9
	v_fma_f32 v7, v9, s3, -v6
	v_rndne_f32_e32 v11, v6
	v_fmac_f32_e32 v7, 0x32a5705f, v9
	v_sub_f32_e32 v6, v6, v11
	v_add_f32_e32 v6, v6, v7
	v_exp_f32_e32 v12, v6
	v_cvt_i32_f32_e32 v11, v11
	v_lshl_add_u64 v[6:7], v[0:1], 2, s[6:7]
	global_store_dword v[6:7], v8, off
	v_cmp_ngt_f32_e32 vcc, s2, v9
	v_ldexp_f32 v6, v12, v11
	v_add_u32_e32 v0, s5, v0
	v_cndmask_b32_e32 v6, 0, v6, vcc
	v_cmp_nlt_f32_e32 vcc, s4, v9
	s_nop 1
	v_cndmask_b32_e32 v8, v2, v6, vcc
	v_mov_b32_e32 v6, 0x41714632
	v_fmac_f32_e32 v6, 0x4007ae14, v3
	v_fmamk_f32 v9, v4, 0xc3dae635, v6
	v_mul_f32_e32 v6, 0x3fb8aa3b, v9
	v_fma_f32 v7, v9, s3, -v6
	v_rndne_f32_e32 v11, v6
	v_fmac_f32_e32 v7, 0x32a5705f, v9
	v_sub_f32_e32 v6, v6, v11
	v_add_f32_e32 v6, v6, v7
	v_exp_f32_e32 v12, v6
	v_cvt_i32_f32_e32 v11, v11
	v_lshl_add_u64 v[6:7], v[0:1], 2, s[6:7]
	global_store_dword v[6:7], v8, off
	v_cmp_ngt_f32_e32 vcc, s2, v9
	v_ldexp_f32 v6, v12, v11
	v_add_u32_e32 v0, s5, v0
	v_cndmask_b32_e32 v6, 0, v6, vcc
	v_cmp_nlt_f32_e32 vcc, s4, v9
	v_mov_b32_e32 v9, 0x41fa8f28
	v_fmac_f32_e32 v9, 0x438a6274, v4
	v_cndmask_b32_e32 v8, v2, v6, vcc
	v_mul_f32_e32 v6, 0x3fb8aa3b, v9
	v_fma_f32 v7, v9, s3, -v6
	v_rndne_f32_e32 v11, v6
	v_fmac_f32_e32 v7, 0x32a5705f, v9
	v_sub_f32_e32 v6, v6, v11
	v_add_f32_e32 v6, v6, v7
	v_exp_f32_e32 v12, v6
	v_cvt_i32_f32_e32 v11, v11
	v_lshl_add_u64 v[6:7], v[0:1], 2, s[6:7]
	global_store_dword v[6:7], v8, off
	v_cmp_ngt_f32_e32 vcc, s2, v9
	v_ldexp_f32 v6, v12, v11
	v_add_u32_e32 v0, s5, v0
	v_cndmask_b32_e32 v6, 0, v6, vcc
	v_cmp_nlt_f32_e32 vcc, s4, v9
	s_nop 1
	v_cndmask_b32_e32 v8, v2, v6, vcc
	v_mov_b32_e32 v6, 0x417a15da
	v_fmac_f32_e32 v6, 0x3fdeb852, v3
	v_fmamk_f32 v9, v4, 0xc5a454ea, v6
	v_mul_f32_e32 v6, 0x3fb8aa3b, v9
	v_fma_f32 v7, v9, s3, -v6
	v_rndne_f32_e32 v11, v6
	v_fmac_f32_e32 v7, 0x32a5705f, v9
	v_sub_f32_e32 v6, v6, v11
	v_add_f32_e32 v6, v6, v7
	v_exp_f32_e32 v12, v6
	v_cvt_i32_f32_e32 v11, v11
	v_lshl_add_u64 v[6:7], v[0:1], 2, s[6:7]
	global_store_dword v[6:7], v8, off
	v_cmp_ngt_f32_e32 vcc, s2, v9
	v_ldexp_f32 v6, v12, v11
	v_add_u32_e32 v0, s5, v0
	v_cndmask_b32_e32 v6, 0, v6, vcc
	v_cmp_nlt_f32_e32 vcc, s4, v9
	s_nop 1
	v_cndmask_b32_e32 v8, v2, v6, vcc
	v_lshl_add_u64 v[6:7], v[0:1], 2, s[6:7]
	v_add_u32_e32 v0, s5, v0
	global_store_dword v[6:7], v8, off
	v_lshl_add_u64 v[6:7], v[0:1], 2, s[6:7]
	v_mov_b32_e32 v8, 0x5735e621
	v_add_u32_e32 v0, s0, v0
	global_store_dword v[6:7], v8, off
	v_lshl_add_u64 v[6:7], v[0:1], 2, s[6:7]
	v_mov_b32_e32 v8, 0x541ad517
	;; [unrolled: 4-line block ×3, first 2 shown]
	global_store_dword v[6:7], v8, off
	v_mov_b32_e32 v8, 0x41f1c012
	v_fmac_f32_e32 v8, 0xc4cd1ad6, v4
	v_mul_f32_e32 v6, 0x3fb8aa3b, v8
	v_fma_f32 v7, v8, s3, -v6
	v_rndne_f32_e32 v9, v6
	v_fmac_f32_e32 v7, 0x32a5705f, v8
	v_sub_f32_e32 v6, v6, v9
	v_add_f32_e32 v6, v6, v7
	v_exp_f32_e32 v11, v6
	v_cvt_i32_f32_e32 v9, v9
	v_add_u32_e32 v0, s5, v0
	v_lshl_add_u64 v[6:7], v[0:1], 2, s[6:7]
	global_store_dword v[6:7], v10, off
	v_ldexp_f32 v6, v11, v9
	v_cmp_ngt_f32_e32 vcc, s2, v8
	v_add_u32_e32 v0, s5, v0
	s_nop 0
	v_cndmask_b32_e32 v6, 0, v6, vcc
	v_cmp_nlt_f32_e32 vcc, s4, v8
	s_nop 1
	v_cndmask_b32_e32 v8, v2, v6, vcc
	v_mov_b32_e32 v6, 0x424c81ec
	v_fmac_f32_e32 v6, 0xc018f5c3, v3
	v_fmamk_f32 v9, v4, 0xc5afcfb3, v6
	v_mul_f32_e32 v6, 0x3fb8aa3b, v9
	v_fma_f32 v7, v9, s3, -v6
	v_rndne_f32_e32 v10, v6
	v_fmac_f32_e32 v7, 0x32a5705f, v9
	v_sub_f32_e32 v6, v6, v10
	v_add_f32_e32 v6, v6, v7
	v_exp_f32_e32 v11, v6
	v_cvt_i32_f32_e32 v10, v10
	v_lshl_add_u64 v[6:7], v[0:1], 2, s[6:7]
	global_store_dword v[6:7], v8, off
	v_cmp_ngt_f32_e32 vcc, s2, v9
	v_ldexp_f32 v6, v11, v10
	v_add_u32_e32 v0, s5, v0
	v_cndmask_b32_e32 v6, 0, v6, vcc
	v_cmp_nlt_f32_e32 vcc, s4, v9
	s_nop 1
	v_cndmask_b32_e32 v8, v2, v6, vcc
	v_mov_b32_e32 v6, 0x4140b265
	v_fmac_f32_e32 v6, 0x40200000, v3
	v_fmamk_f32 v9, v4, 0xc49ca04e, v6
	v_mul_f32_e32 v6, 0x3fb8aa3b, v9
	v_fma_f32 v7, v9, s3, -v6
	v_rndne_f32_e32 v10, v6
	v_fmac_f32_e32 v7, 0x32a5705f, v9
	v_sub_f32_e32 v6, v6, v10
	v_add_f32_e32 v6, v6, v7
	v_exp_f32_e32 v11, v6
	v_cvt_i32_f32_e32 v10, v10
	v_lshl_add_u64 v[6:7], v[0:1], 2, s[6:7]
	global_store_dword v[6:7], v8, off
	v_cmp_ngt_f32_e32 vcc, s2, v9
	v_ldexp_f32 v6, v11, v10
	v_add_u32_e32 v0, s5, v0
	;; [unrolled: 20-line block ×5, first 2 shown]
	v_cndmask_b32_e32 v6, 0, v6, vcc
	v_cmp_nlt_f32_e32 vcc, s4, v9
	s_nop 1
	v_cndmask_b32_e32 v8, v2, v6, vcc
	v_mov_b32_e32 v6, 0x416f268e
	v_fmac_f32_e32 v6, 2.0, v3
	v_fmamk_f32 v9, v4, 0x4315f565, v6
	v_mul_f32_e32 v6, 0x3fb8aa3b, v9
	v_fma_f32 v7, v9, s3, -v6
	v_rndne_f32_e32 v10, v6
	v_fmac_f32_e32 v7, 0x32a5705f, v9
	v_sub_f32_e32 v6, v6, v10
	v_add_f32_e32 v6, v6, v7
	v_exp_f32_e32 v11, v6
	v_cvt_i32_f32_e32 v10, v10
	v_lshl_add_u64 v[6:7], v[0:1], 2, s[6:7]
	global_store_dword v[6:7], v8, off
	v_cmp_ngt_f32_e32 vcc, s2, v9
	v_ldexp_f32 v6, v11, v10
	v_add_u32_e32 v0, s5, v0
	v_cndmask_b32_e32 v6, 0, v6, vcc
	v_cmp_nlt_f32_e32 vcc, s4, v9
	s_nop 1
	v_cndmask_b32_e32 v8, v2, v6, vcc
	v_mov_b32_e32 v6, 0x4112b659
	v_fmac_f32_e32 v6, 0x40266666, v3
	v_fmamk_f32 v9, v4, 0xc5dabdf3, v6
	v_mul_f32_e32 v6, 0x3fb8aa3b, v9
	v_fma_f32 v7, v9, s3, -v6
	v_rndne_f32_e32 v10, v6
	v_fmac_f32_e32 v7, 0x32a5705f, v9
	v_sub_f32_e32 v6, v6, v10
	v_add_f32_e32 v6, v6, v7
	v_exp_f32_e32 v11, v6
	v_cvt_i32_f32_e32 v10, v10
	v_lshl_add_u64 v[6:7], v[0:1], 2, s[6:7]
	global_store_dword v[6:7], v8, off
	v_cmp_ngt_f32_e32 vcc, s2, v9
	v_ldexp_f32 v6, v11, v10
	v_add_u32_e32 v0, s5, v0
	v_cndmask_b32_e32 v6, 0, v6, vcc
	v_cmp_nlt_f32_e32 vcc, s4, v9
	s_nop 1
	v_cndmask_b32_e32 v8, v2, v6, vcc
	v_mov_b32_e32 v6, 0x3f49d857
	v_fmac_f32_e32 v6, 0x40600000, v3
	;; [unrolled: 20-line block ×3, first 2 shown]
	v_fmamk_f32 v9, v4, 0xc5c4a5cc, v6
	v_mul_f32_e32 v6, 0x3fb8aa3b, v9
	v_fma_f32 v7, v9, s3, -v6
	v_rndne_f32_e32 v10, v6
	v_fmac_f32_e32 v7, 0x32a5705f, v9
	v_sub_f32_e32 v6, v6, v10
	v_add_f32_e32 v6, v6, v7
	v_exp_f32_e32 v11, v6
	v_cvt_i32_f32_e32 v10, v10
	v_lshl_add_u64 v[6:7], v[0:1], 2, s[6:7]
	global_store_dword v[6:7], v8, off
	v_cmp_ngt_f32_e32 vcc, s2, v9
	v_ldexp_f32 v6, v11, v10
	v_add_u32_e32 v0, s5, v0
	v_cndmask_b32_e32 v6, 0, v6, vcc
	v_cmp_nlt_f32_e32 vcc, s4, v9
	s_nop 1
	v_cndmask_b32_e32 v8, v2, v6, vcc
	v_lshl_add_u64 v[6:7], v[0:1], 2, s[6:7]
	v_add_u32_e32 v0, s5, v0
	global_store_dword v[6:7], v8, off
	v_lshl_add_u64 v[6:7], v[0:1], 2, s[6:7]
	v_mov_b32_e32 v8, 0x53d18c2e
	v_add_u32_e32 v0, s5, v0
	global_store_dword v[6:7], v8, off
	v_lshl_add_u64 v[6:7], v[0:1], 2, s[6:7]
	v_mov_b32_e32 v8, 0x56ae9f7c
	v_add_u32_e32 v0, s5, v0
	global_store_dword v[6:7], v8, off
	v_lshl_add_u64 v[6:7], v[0:1], 2, s[6:7]
	v_add_u32_e32 v0, s5, v0
	global_store_dword v[6:7], v5, off
	v_lshl_add_u64 v[6:7], v[0:1], 2, s[6:7]
	v_mov_b32_e32 v8, 0x51a7a358
	v_add_u32_e32 v0, s5, v0
	global_store_dword v[6:7], v8, off
	v_lshl_add_u64 v[6:7], v[0:1], 2, s[6:7]
	global_store_dword v[6:7], v5, off
	v_mov_b32_e32 v5, 0x42961660
	v_fmac_f32_e32 v5, 0xc0a70a3d, v3
	v_fmamk_f32 v3, v4, 0xc61b4414, v5
	v_mul_f32_e32 v4, 0x3fb8aa3b, v3
	v_fma_f32 v5, v3, s3, -v4
	v_rndne_f32_e32 v6, v4
	v_fmac_f32_e32 v5, 0x32a5705f, v3
	v_sub_f32_e32 v4, v4, v6
	v_add_f32_e32 v4, v4, v5
	v_exp_f32_e32 v7, v4
	v_cvt_i32_f32_e32 v6, v6
	v_add_u32_e32 v0, s5, v0
	v_lshl_add_u64 v[4:5], v[0:1], 2, s[6:7]
	v_mov_b32_e32 v8, 0x55201231
	global_store_dword v[4:5], v8, off
	v_ldexp_f32 v4, v7, v6
	v_cmp_ngt_f32_e32 vcc, s2, v3
	v_add_u32_e32 v0, s5, v0
	v_lshl_add_u64 v[0:1], v[0:1], 2, s[6:7]
	v_cndmask_b32_e32 v4, 0, v4, vcc
	v_cmp_nlt_f32_e32 vcc, s4, v3
	s_nop 1
	v_cndmask_b32_e32 v2, v2, v4, vcc
	global_store_dword v[0:1], v2, off
	s_endpgm
	.section	.rodata,"a",@progbits
	.p2align	6, 0x0
	.amdhsa_kernel _Z11ratt_kernelIfEvPKT_PS0_S0_
		.amdhsa_group_segment_fixed_size 0
		.amdhsa_private_segment_fixed_size 0
		.amdhsa_kernarg_size 280
		.amdhsa_user_sgpr_count 2
		.amdhsa_user_sgpr_dispatch_ptr 0
		.amdhsa_user_sgpr_queue_ptr 0
		.amdhsa_user_sgpr_kernarg_segment_ptr 1
		.amdhsa_user_sgpr_dispatch_id 0
		.amdhsa_user_sgpr_kernarg_preload_length 0
		.amdhsa_user_sgpr_kernarg_preload_offset 0
		.amdhsa_user_sgpr_private_segment_size 0
		.amdhsa_uses_dynamic_stack 0
		.amdhsa_enable_private_segment 0
		.amdhsa_system_sgpr_workgroup_id_x 1
		.amdhsa_system_sgpr_workgroup_id_y 0
		.amdhsa_system_sgpr_workgroup_id_z 0
		.amdhsa_system_sgpr_workgroup_info 0
		.amdhsa_system_vgpr_workitem_id 0
		.amdhsa_next_free_vgpr 28
		.amdhsa_next_free_sgpr 12
		.amdhsa_accum_offset 28
		.amdhsa_reserve_vcc 1
		.amdhsa_float_round_mode_32 0
		.amdhsa_float_round_mode_16_64 0
		.amdhsa_float_denorm_mode_32 3
		.amdhsa_float_denorm_mode_16_64 3
		.amdhsa_dx10_clamp 1
		.amdhsa_ieee_mode 1
		.amdhsa_fp16_overflow 0
		.amdhsa_tg_split 0
		.amdhsa_exception_fp_ieee_invalid_op 0
		.amdhsa_exception_fp_denorm_src 0
		.amdhsa_exception_fp_ieee_div_zero 0
		.amdhsa_exception_fp_ieee_overflow 0
		.amdhsa_exception_fp_ieee_underflow 0
		.amdhsa_exception_fp_ieee_inexact 0
		.amdhsa_exception_int_div_zero 0
	.end_amdhsa_kernel
	.section	.text._Z11ratt_kernelIfEvPKT_PS0_S0_,"axG",@progbits,_Z11ratt_kernelIfEvPKT_PS0_S0_,comdat
.Lfunc_end0:
	.size	_Z11ratt_kernelIfEvPKT_PS0_S0_, .Lfunc_end0-_Z11ratt_kernelIfEvPKT_PS0_S0_
                                        ; -- End function
	.set _Z11ratt_kernelIfEvPKT_PS0_S0_.num_vgpr, 28
	.set _Z11ratt_kernelIfEvPKT_PS0_S0_.num_agpr, 0
	.set _Z11ratt_kernelIfEvPKT_PS0_S0_.numbered_sgpr, 12
	.set _Z11ratt_kernelIfEvPKT_PS0_S0_.num_named_barrier, 0
	.set _Z11ratt_kernelIfEvPKT_PS0_S0_.private_seg_size, 0
	.set _Z11ratt_kernelIfEvPKT_PS0_S0_.uses_vcc, 1
	.set _Z11ratt_kernelIfEvPKT_PS0_S0_.uses_flat_scratch, 0
	.set _Z11ratt_kernelIfEvPKT_PS0_S0_.has_dyn_sized_stack, 0
	.set _Z11ratt_kernelIfEvPKT_PS0_S0_.has_recursion, 0
	.set _Z11ratt_kernelIfEvPKT_PS0_S0_.has_indirect_call, 0
	.section	.AMDGPU.csdata,"",@progbits
; Kernel info:
; codeLenInByte = 15100
; TotalNumSgprs: 18
; NumVgprs: 28
; NumAgprs: 0
; TotalNumVgprs: 28
; ScratchSize: 0
; MemoryBound: 0
; FloatMode: 240
; IeeeMode: 1
; LDSByteSize: 0 bytes/workgroup (compile time only)
; SGPRBlocks: 2
; VGPRBlocks: 3
; NumSGPRsForWavesPerEU: 18
; NumVGPRsForWavesPerEU: 28
; AccumOffset: 28
; Occupancy: 8
; WaveLimiterHint : 0
; COMPUTE_PGM_RSRC2:SCRATCH_EN: 0
; COMPUTE_PGM_RSRC2:USER_SGPR: 2
; COMPUTE_PGM_RSRC2:TRAP_HANDLER: 0
; COMPUTE_PGM_RSRC2:TGID_X_EN: 1
; COMPUTE_PGM_RSRC2:TGID_Y_EN: 0
; COMPUTE_PGM_RSRC2:TGID_Z_EN: 0
; COMPUTE_PGM_RSRC2:TIDIG_COMP_CNT: 0
; COMPUTE_PGM_RSRC3_GFX90A:ACCUM_OFFSET: 6
; COMPUTE_PGM_RSRC3_GFX90A:TG_SPLIT: 0
	.section	.text._Z12rdsmh_kernelIfEvPKT_PS0_S0_,"axG",@progbits,_Z12rdsmh_kernelIfEvPKT_PS0_S0_,comdat
	.protected	_Z12rdsmh_kernelIfEvPKT_PS0_S0_ ; -- Begin function _Z12rdsmh_kernelIfEvPKT_PS0_S0_
	.globl	_Z12rdsmh_kernelIfEvPKT_PS0_S0_
	.p2align	8
	.type	_Z12rdsmh_kernelIfEvPKT_PS0_S0_,@function
_Z12rdsmh_kernelIfEvPKT_PS0_S0_:        ; @_Z12rdsmh_kernelIfEvPKT_PS0_S0_
; %bb.0:
	s_load_dword s3, s[0:1], 0x24
	s_load_dwordx4 s[4:7], s[0:1], 0x0
	s_load_dword s8, s[0:1], 0x10
	s_load_dword s9, s[0:1], 0x18
	v_mov_b32_e32 v1, 0
	s_waitcnt lgkmcnt(0)
	s_and_b32 s0, s3, 0xffff
	s_mul_i32 s2, s2, s0
	v_add_u32_e32 v0, s2, v0
	v_lshlrev_b64 v[2:3], 2, v[0:1]
	v_lshl_add_u64 v[4:5], s[4:5], 0, v[2:3]
	global_load_dword v4, v[4:5], off
	s_mov_b32 s1, 0x800000
	v_lshl_add_u64 v[8:9], s[6:7], 0, v[2:3]
	s_mul_i32 s4, s9, s0
	s_mov_b32 s5, 0x3f317217
	s_mov_b32 s10, 0x7f800000
	v_mov_b32_e32 v5, 0x41b17218
	s_mov_b32 s2, 0x447a0000
	s_waitcnt vmcnt(0)
	v_mul_f32_e32 v3, s8, v4
	v_cmp_gt_f32_e32 vcc, s1, v3
	v_div_scale_f32 v4, s[0:1], v3, v3, 1.0
	s_nop 0
	v_cndmask_b32_e64 v2, 0, 32, vcc
	v_ldexp_f32 v2, v3, v2
	v_rcp_f32_e32 v7, v4
	v_log_f32_e32 v2, v2
	v_div_scale_f32 v6, s[0:1], 1.0, v3, 1.0
	v_fma_f32 v10, -v4, v7, 1.0
	v_mul_f32_e32 v11, 0x3f317217, v2
	v_fmac_f32_e32 v7, v10, v7
	v_fma_f32 v10, v2, s5, -v11
	v_mul_f32_e32 v11, v6, v7
	v_fmamk_f32 v10, v2, 0x3377d1cf, v10
	v_fma_f32 v12, -v4, v11, v6
	v_cndmask_b32_e32 v5, 0, v5, vcc
	v_fmac_f32_e32 v10, 0x3f317217, v2
	v_fmac_f32_e32 v11, v12, v7
	v_cmp_lt_f32_e64 vcc, |v2|, s10
	v_fma_f32 v4, -v4, v11, v6
	v_cmp_nlt_f32_e64 s[2:3], s2, v3
	v_cndmask_b32_e32 v2, v2, v10, vcc
	s_mov_b64 vcc, s[0:1]
	v_sub_f32_e32 v2, v2, v5
	v_div_fmas_f32 v4, v4, v7, v11
	v_div_fixup_f32 v4, v4, v3, 1.0
	v_add_f32_e32 v5, -1.0, v2
	v_mul_f32_e32 v7, 0x46c70352, v4
	v_mul_f32_e32 v12, 0x40200000, v5
	v_add_u32_e32 v6, s4, v0
                                        ; implicit-def: $vgpr11
	s_and_saveexec_b64 s[0:1], s[2:3]
	s_xor_b64 s[0:1], exec, s[0:1]
	s_cbranch_execz .LBB1_2
; %bb.1:
	v_mov_b32_e32 v2, 0x3f2ed9c2
	v_fmac_f32_e32 v2, 0x44657bda, v4
	v_fmamk_f32 v10, v5, 0x40160985, v2
	v_mov_b32_e32 v2, 0x30e6dd90
	v_fmac_f32_e32 v2, 0xaacf9e87, v3
	v_fmaak_f32 v2, v3, v2, 0xb659dc04
	v_sub_f32_e32 v7, 0xbee4b39d, v7
	v_fmaak_f32 v2, v3, v2, 0x3b82c0bb
	v_add_f32_e32 v7, v7, v12
	v_mov_b32_e32 v12, 0x20625c41
	v_fmac_f32_e32 v10, v3, v2
	v_fmac_f32_e32 v12, 0x9a604fda, v3
	s_mov_b32 s3, 0x3fb8aa3b
	v_mul_f32_e32 v2, 0x3fb8aa3b, v10
	v_fmaak_f32 v12, v3, v12, 0xa5bfc2f5
	v_fma_f32 v11, v10, s3, -v2
	v_rndne_f32_e32 v13, v2
	v_fmaak_f32 v12, v3, v12, 0x2ac68896
	v_fmac_f32_e32 v11, 0x32a5705f, v10
	v_sub_f32_e32 v2, v2, v13
	v_fmac_f32_e32 v7, v3, v12
	v_add_f32_e32 v2, v2, v11
	v_mul_f32_e32 v12, 0x3fb8aa3b, v7
	v_exp_f32_e32 v2, v2
	v_cvt_i32_f32_e32 v11, v13
	v_fma_f32 v13, v7, s3, -v12
	v_rndne_f32_e32 v14, v12
	v_fmac_f32_e32 v13, 0x32a5705f, v7
	v_sub_f32_e32 v12, v12, v14
	v_add_f32_e32 v12, v12, v13
	s_mov_b32 s2, 0xc2ce8ed0
	v_exp_f32_e32 v12, v12
	v_cvt_i32_f32_e32 v13, v14
	v_ldexp_f32 v2, v2, v11
	v_cmp_ngt_f32_e32 vcc, s2, v10
	s_mov_b32 s5, 0x42b17218
	s_nop 0
	v_cndmask_b32_e32 v11, 0, v2, vcc
	v_mov_b32_e32 v2, 0x7f800000
	v_cmp_nlt_f32_e32 vcc, s5, v10
	s_nop 1
	v_cndmask_b32_e32 v10, v2, v11, vcc
	global_store_dword v[8:9], v10, off
	v_ldexp_f32 v8, v12, v13
	v_cmp_ngt_f32_e32 vcc, s2, v7
	s_nop 1
	v_cndmask_b32_e32 v8, 0, v8, vcc
	v_cmp_nlt_f32_e32 vcc, s5, v7
	v_mov_b32_e32 v7, 0x400352e1
	v_fmac_f32_e32 v7, 0xc6e38485, v4
	v_fmamk_f32 v11, v5, 0x404ac4e3, v7
	v_mov_b32_e32 v7, 0xb00c5f5c
	v_fmac_f32_e32 v7, 0x29eddd45, v3
	v_fmaak_f32 v7, v3, v7, 0x35949a53
	v_fmaak_f32 v7, v3, v7, 0xbad6e9d7
	v_fmac_f32_e32 v11, v3, v7
	v_mul_f32_e32 v7, 0x3fb8aa3b, v11
	v_cndmask_b32_e32 v10, v2, v8, vcc
	v_fma_f32 v8, v11, s3, -v7
	v_rndne_f32_e32 v9, v7
	v_fmac_f32_e32 v8, 0x32a5705f, v11
	v_sub_f32_e32 v7, v7, v9
	v_add_f32_e32 v7, v7, v8
	v_exp_f32_e32 v12, v7
	v_cvt_i32_f32_e32 v13, v9
	v_mov_b32_e32 v7, v1
	v_lshl_add_u64 v[8:9], v[6:7], 2, s[6:7]
	v_cmp_ngt_f32_e32 vcc, s2, v11
	v_ldexp_f32 v7, v12, v13
	global_store_dword v[8:9], v10, off
	v_cndmask_b32_e32 v7, 0, v7, vcc
	v_cmp_nlt_f32_e32 vcc, s5, v11
	v_add_u32_e32 v6, s4, v6
	s_nop 0
	v_cndmask_b32_e32 v10, v2, v7, vcc
	v_mov_b32_e32 v7, 0x406a175c
	v_fmac_f32_e32 v7, 0x4484fe32, v4
	v_fmamk_f32 v11, v5, 0x407213c4, v7
	v_mov_b32_e32 v7, 0xb05dc3b7
	v_fmac_f32_e32 v7, 0x2a369b0d, v3
	v_fmaak_f32 v7, v3, v7, 0x35dc47c9
	v_fmaak_f32 v7, v3, v7, 0xbac464db
	v_fmac_f32_e32 v11, v3, v7
	v_mul_f32_e32 v7, 0x3fb8aa3b, v11
	v_fma_f32 v8, v11, s3, -v7
	v_rndne_f32_e32 v9, v7
	v_fmac_f32_e32 v8, 0x32a5705f, v11
	v_sub_f32_e32 v7, v7, v9
	v_add_f32_e32 v7, v7, v8
	v_exp_f32_e32 v12, v7
	v_cvt_i32_f32_e32 v13, v9
	v_mov_b32_e32 v7, v1
	v_lshl_add_u64 v[8:9], v[6:7], 2, s[6:7]
	v_cmp_ngt_f32_e32 vcc, s2, v11
	v_ldexp_f32 v7, v12, v13
	global_store_dword v[8:9], v10, off
	v_cndmask_b32_e32 v7, 0, v7, vcc
	v_cmp_nlt_f32_e32 vcc, s5, v11
	v_add_u32_e32 v6, s4, v6
	s_nop 0
	v_cndmask_b32_e32 v10, v2, v7, vcc
	v_mov_b32_e32 v7, 0xbdd4d6df
	v_fmac_f32_e32 v7, 0xc561f14a, v4
	v_fmamk_f32 v11, v5, 0x407f7d2e, v7
	v_mov_b32_e32 v7, 0xafb1ce6a
	v_fmac_f32_e32 v7, 0x299995ee, v3
	v_fmaak_f32 v7, v3, v7, 0x354e9a63
	v_fmaak_f32 v7, v3, v7, 0xba9d5f6c
	v_fmac_f32_e32 v11, v3, v7
	v_mul_f32_e32 v7, 0x3fb8aa3b, v11
	;; [unrolled: 26-line block ×27, first 2 shown]
	v_fma_f32 v8, v11, s3, -v7
	v_rndne_f32_e32 v9, v7
	v_fmac_f32_e32 v8, 0x32a5705f, v11
	v_sub_f32_e32 v7, v7, v9
	v_add_f32_e32 v7, v7, v8
	v_exp_f32_e32 v12, v7
	v_cvt_i32_f32_e32 v13, v9
	v_mov_b32_e32 v7, v1
	v_lshl_add_u64 v[8:9], v[6:7], 2, s[6:7]
	v_cmp_ngt_f32_e32 vcc, s2, v11
	v_ldexp_f32 v7, v12, v13
	v_add_u32_e32 v6, s4, v6
	v_cndmask_b32_e32 v7, 0, v7, vcc
	v_cmp_nlt_f32_e32 vcc, s5, v11
	global_store_dword v[8:9], v10, off
	s_mov_b32 s2, 0x3f86497a
	v_cndmask_b32_e32 v2, v2, v7, vcc
	v_mov_b32_e32 v7, v1
	v_lshl_add_u64 v[6:7], v[6:7], 2, s[6:7]
	global_store_dword v[6:7], v2, off
	v_mov_b32_e32 v6, 0x41a91699
	v_fmac_f32_e32 v6, 0xc6212162, v4
	v_mov_b32_e32 v2, v5
	s_mov_b32 s3, 0x2b03e643
	v_mov_b32_e32 v7, 0xb0e06d89
	v_pk_fma_f32 v[10:11], v[2:3], s[2:3], v[6:7]
                                        ; implicit-def: $vgpr4
                                        ; implicit-def: $vgpr8_vgpr9
                                        ; implicit-def: $vgpr7
                                        ; implicit-def: $vgpr12
                                        ; implicit-def: $vgpr6
.LBB1_2:
	s_or_saveexec_b64 s[0:1], s[0:1]
	v_mov_b32_e32 v2, 0x3c5510c5
	v_mov_b32_e32 v13, 0x34d2a7a5
	;; [unrolled: 1-line block ×3, first 2 shown]
	s_xor_b64 exec, exec, s[0:1]
	s_cbranch_execz .LBB1_4
; %bb.3:
	v_mov_b32_e32 v1, 0xc04d1f1a
	v_fmac_f32_e32 v1, 0x446d8a2c, v4
	v_fmamk_f32 v2, v5, 0x405595fb, v1
	v_mov_b32_e32 v1, 0xad839fa2
	v_fmac_f32_e32 v1, 0x26904c99, v3
	v_fmaak_f32 v1, v3, v1, 0x33b2c336
	v_fmaak_f32 v1, v3, v1, 0xb7cf3580
	v_fmac_f32_e32 v2, v3, v1
	s_mov_b32 s3, 0x3fb8aa3b
	v_mul_f32_e32 v1, 0x3fb8aa3b, v2
	v_fma_f32 v10, v2, s3, -v1
	v_rndne_f32_e32 v11, v1
	v_fmac_f32_e32 v10, 0x32a5705f, v2
	v_sub_f32_e32 v1, v1, v11
	v_add_f32_e32 v1, v1, v10
	v_cvt_i32_f32_e32 v10, v11
	v_mov_b32_e32 v11, 0xa0e8edaa
	v_fmac_f32_e32 v11, 0x19f0e9d8, v3
	v_sub_f32_e32 v7, 0xbee4b39f, v7
	v_fmaak_f32 v11, v3, v11, 0x27420788
	v_add_f32_e32 v7, v7, v12
	v_fmaak_f32 v11, v3, v11, 0xad4b0d37
	v_fmac_f32_e32 v7, v3, v11
	v_mul_f32_e32 v11, 0x3fb8aa3b, v7
	v_exp_f32_e32 v1, v1
	v_fma_f32 v12, v7, s3, -v11
	v_rndne_f32_e32 v13, v11
	v_fmac_f32_e32 v12, 0x32a5705f, v7
	v_sub_f32_e32 v11, v11, v13
	v_add_f32_e32 v11, v11, v12
	s_mov_b32 s2, 0xc2ce8ed0
	v_exp_f32_e32 v11, v11
	v_cvt_i32_f32_e32 v12, v13
	v_ldexp_f32 v1, v1, v10
	v_cmp_ngt_f32_e32 vcc, s2, v2
	s_mov_b32 s5, 0x42b17218
	v_mov_b32_e32 v13, 0xb56bddc9
	v_cndmask_b32_e32 v10, 0, v1, vcc
	v_mov_b32_e32 v1, 0x7f800000
	v_cmp_nlt_f32_e32 vcc, s5, v2
	s_nop 1
	v_cndmask_b32_e32 v2, v1, v10, vcc
	global_store_dword v[8:9], v2, off
	v_ldexp_f32 v2, v11, v12
	v_cmp_ngt_f32_e32 vcc, s2, v7
	s_nop 1
	v_cndmask_b32_e32 v2, 0, v2, vcc
	v_cmp_nlt_f32_e32 vcc, s5, v7
	v_mov_b32_e32 v7, 0x4099194d
	v_fmac_f32_e32 v7, 0xc6e44328, v4
	v_fmamk_f32 v10, v5, 0x40247164, v7
	v_mov_b32_e32 v7, 0xab6afac3
	v_fmac_f32_e32 v7, 0x248d9e1b, v3
	v_fmaak_f32 v7, v3, v7, 0x31f03917
	v_fmaak_f32 v7, v3, v7, 0xb8344d00
	v_fmac_f32_e32 v10, v3, v7
	v_mul_f32_e32 v7, 0x3fb8aa3b, v10
	v_fma_f32 v8, v10, s3, -v7
	v_rndne_f32_e32 v9, v7
	v_fmac_f32_e32 v8, 0x32a5705f, v10
	v_sub_f32_e32 v7, v7, v9
	v_add_f32_e32 v7, v7, v8
	v_exp_f32_e32 v11, v7
	v_cvt_i32_f32_e32 v12, v9
	v_mov_b32_e32 v7, 0
	v_cndmask_b32_e32 v2, v1, v2, vcc
	v_lshl_add_u64 v[8:9], v[6:7], 2, s[6:7]
	global_store_dword v[8:9], v2, off
	v_mov_b32_e32 v8, 0x40ae80df
	v_ldexp_f32 v2, v11, v12
	v_cmp_ngt_f32_e32 vcc, s2, v10
	v_fmac_f32_e32 v8, 0x44880ea6, v4
	v_add_u32_e32 v6, s4, v6
	v_cndmask_b32_e32 v2, 0, v2, vcc
	v_cmp_nlt_f32_e32 vcc, s5, v10
	v_fmamk_f32 v10, v5, 0x4052151a, v8
	v_mov_b32_e32 v8, 0x2d998b25
	v_fmac_f32_e32 v8, 0xa69c2960, v3
	v_fmaak_f32 v8, v3, v8, 0xb407a4b7
	v_fmaak_f32 v8, v3, v8, 0x3a426429
	v_fmac_f32_e32 v10, v3, v8
	v_mul_f32_e32 v8, 0x3fb8aa3b, v10
	v_fma_f32 v9, v10, s3, -v8
	v_rndne_f32_e32 v11, v8
	v_fmac_f32_e32 v9, 0x32a5705f, v10
	v_sub_f32_e32 v8, v8, v11
	v_add_f32_e32 v8, v8, v9
	v_exp_f32_e32 v12, v8
	v_cvt_i32_f32_e32 v11, v11
	v_cndmask_b32_e32 v2, v1, v2, vcc
	v_lshl_add_u64 v[8:9], v[6:7], 2, s[6:7]
	global_store_dword v[8:9], v2, off
	v_mov_b32_e32 v8, 0x408f4118
	v_ldexp_f32 v2, v12, v11
	v_cmp_ngt_f32_e32 vcc, s2, v10
	v_fmac_f32_e32 v8, 0xc5712a83, v4
	v_add_u32_e32 v6, s4, v6
	v_cndmask_b32_e32 v2, 0, v2, vcc
	v_cmp_nlt_f32_e32 vcc, s5, v10
	v_fmamk_f32 v10, v5, 0x4045f1df, v8
	v_mov_b32_e32 v8, 0xad00ee31
	v_fmac_f32_e32 v8, 0x26293585, v3
	v_fmaak_f32 v8, v3, v8, 0x32b51ca8
	v_fmaak_f32 v8, v3, v8, 0x398fc47f
	v_fmac_f32_e32 v10, v3, v8
	v_mul_f32_e32 v8, 0x3fb8aa3b, v10
	v_fma_f32 v9, v10, s3, -v8
	v_rndne_f32_e32 v11, v8
	v_fmac_f32_e32 v9, 0x32a5705f, v10
	v_sub_f32_e32 v8, v8, v11
	v_add_f32_e32 v8, v8, v9
	v_exp_f32_e32 v12, v8
	v_cvt_i32_f32_e32 v11, v11
	;; [unrolled: 24-line block ×27, first 2 shown]
	v_cndmask_b32_e32 v2, v1, v2, vcc
	v_lshl_add_u64 v[8:9], v[6:7], 2, s[6:7]
	global_store_dword v[8:9], v2, off
	v_ldexp_f32 v2, v12, v11
	v_cmp_ngt_f32_e32 vcc, s2, v10
	s_mov_b32 s2, 0x45f941ca
	v_add_u32_e32 v6, s4, v6
	v_cndmask_b32_e32 v2, 0, v2, vcc
	v_cmp_nlt_f32_e32 vcc, s5, v10
	s_mov_b32 s3, 0x40f6b641
	v_lshl_add_u64 v[6:7], v[6:7], 2, s[6:7]
	v_cndmask_b32_e32 v1, v1, v2, vcc
	v_pk_mul_f32 v[4:5], v[4:5], s[2:3]
	global_store_dword v[6:7], v1, off
	v_sub_f32_e32 v1, 0xc1783ea8, v4
	v_mov_b32_e32 v11, 0x2e8b111f
	v_add_f32_e32 v10, v1, v5
	v_fmac_f32_e32 v11, 0xa70c0488, v3
	v_mov_b32_e32 v2, 0x3c035476
	v_mov_b32_e32 v1, s4
.LBB1_4:
	s_or_b64 exec, exec, s[0:1]
	v_fmac_f32_e32 v13, v3, v11
	v_fmac_f32_e32 v2, v3, v13
	;; [unrolled: 1-line block ×3, first 2 shown]
	s_mov_b32 s0, 0x3fb8aa3b
	v_mul_f32_e32 v2, 0x3fb8aa3b, v10
	v_fma_f32 v3, v10, s0, -v2
	v_rndne_f32_e32 v4, v2
	v_fmamk_f32 v3, v10, 0x32a5705f, v3
	v_sub_f32_e32 v2, v2, v4
	v_add_f32_e32 v2, v2, v3
	v_exp_f32_e32 v2, v2
	v_cvt_i32_f32_e32 v3, v4
	s_mov_b32 s0, 0xc2ce8ed0
	v_cmp_ngt_f32_e32 vcc, s0, v10
	s_mov_b32 s0, 0x42b17218
	v_ldexp_f32 v2, v2, v3
	v_cndmask_b32_e32 v2, 0, v2, vcc
	v_cmp_nlt_f32_e32 vcc, s0, v10
	v_mad_u64_u32 v[0:1], s[0:1], v1, 30, v[0:1]
	v_mov_b32_e32 v3, 0x7f800000
	v_mov_b32_e32 v1, 0
	v_cndmask_b32_e32 v2, v3, v2, vcc
	v_lshl_add_u64 v[0:1], v[0:1], 2, s[6:7]
	global_store_dword v[0:1], v2, off
	s_endpgm
	.section	.rodata,"a",@progbits
	.p2align	6, 0x0
	.amdhsa_kernel _Z12rdsmh_kernelIfEvPKT_PS0_S0_
		.amdhsa_group_segment_fixed_size 0
		.amdhsa_private_segment_fixed_size 0
		.amdhsa_kernarg_size 280
		.amdhsa_user_sgpr_count 2
		.amdhsa_user_sgpr_dispatch_ptr 0
		.amdhsa_user_sgpr_queue_ptr 0
		.amdhsa_user_sgpr_kernarg_segment_ptr 1
		.amdhsa_user_sgpr_dispatch_id 0
		.amdhsa_user_sgpr_kernarg_preload_length 0
		.amdhsa_user_sgpr_kernarg_preload_offset 0
		.amdhsa_user_sgpr_private_segment_size 0
		.amdhsa_uses_dynamic_stack 0
		.amdhsa_enable_private_segment 0
		.amdhsa_system_sgpr_workgroup_id_x 1
		.amdhsa_system_sgpr_workgroup_id_y 0
		.amdhsa_system_sgpr_workgroup_id_z 0
		.amdhsa_system_sgpr_workgroup_info 0
		.amdhsa_system_vgpr_workitem_id 0
		.amdhsa_next_free_vgpr 15
		.amdhsa_next_free_sgpr 11
		.amdhsa_accum_offset 16
		.amdhsa_reserve_vcc 1
		.amdhsa_float_round_mode_32 0
		.amdhsa_float_round_mode_16_64 0
		.amdhsa_float_denorm_mode_32 3
		.amdhsa_float_denorm_mode_16_64 3
		.amdhsa_dx10_clamp 1
		.amdhsa_ieee_mode 1
		.amdhsa_fp16_overflow 0
		.amdhsa_tg_split 0
		.amdhsa_exception_fp_ieee_invalid_op 0
		.amdhsa_exception_fp_denorm_src 0
		.amdhsa_exception_fp_ieee_div_zero 0
		.amdhsa_exception_fp_ieee_overflow 0
		.amdhsa_exception_fp_ieee_underflow 0
		.amdhsa_exception_fp_ieee_inexact 0
		.amdhsa_exception_int_div_zero 0
	.end_amdhsa_kernel
	.section	.text._Z12rdsmh_kernelIfEvPKT_PS0_S0_,"axG",@progbits,_Z12rdsmh_kernelIfEvPKT_PS0_S0_,comdat
.Lfunc_end1:
	.size	_Z12rdsmh_kernelIfEvPKT_PS0_S0_, .Lfunc_end1-_Z12rdsmh_kernelIfEvPKT_PS0_S0_
                                        ; -- End function
	.set _Z12rdsmh_kernelIfEvPKT_PS0_S0_.num_vgpr, 15
	.set _Z12rdsmh_kernelIfEvPKT_PS0_S0_.num_agpr, 0
	.set _Z12rdsmh_kernelIfEvPKT_PS0_S0_.numbered_sgpr, 11
	.set _Z12rdsmh_kernelIfEvPKT_PS0_S0_.num_named_barrier, 0
	.set _Z12rdsmh_kernelIfEvPKT_PS0_S0_.private_seg_size, 0
	.set _Z12rdsmh_kernelIfEvPKT_PS0_S0_.uses_vcc, 1
	.set _Z12rdsmh_kernelIfEvPKT_PS0_S0_.uses_flat_scratch, 0
	.set _Z12rdsmh_kernelIfEvPKT_PS0_S0_.has_dyn_sized_stack, 0
	.set _Z12rdsmh_kernelIfEvPKT_PS0_S0_.has_recursion, 0
	.set _Z12rdsmh_kernelIfEvPKT_PS0_S0_.has_indirect_call, 0
	.section	.AMDGPU.csdata,"",@progbits
; Kernel info:
; codeLenInByte = 9780
; TotalNumSgprs: 17
; NumVgprs: 15
; NumAgprs: 0
; TotalNumVgprs: 15
; ScratchSize: 0
; MemoryBound: 0
; FloatMode: 240
; IeeeMode: 1
; LDSByteSize: 0 bytes/workgroup (compile time only)
; SGPRBlocks: 2
; VGPRBlocks: 1
; NumSGPRsForWavesPerEU: 17
; NumVGPRsForWavesPerEU: 15
; AccumOffset: 16
; Occupancy: 8
; WaveLimiterHint : 0
; COMPUTE_PGM_RSRC2:SCRATCH_EN: 0
; COMPUTE_PGM_RSRC2:USER_SGPR: 2
; COMPUTE_PGM_RSRC2:TRAP_HANDLER: 0
; COMPUTE_PGM_RSRC2:TGID_X_EN: 1
; COMPUTE_PGM_RSRC2:TGID_Y_EN: 0
; COMPUTE_PGM_RSRC2:TGID_Z_EN: 0
; COMPUTE_PGM_RSRC2:TIDIG_COMP_CNT: 0
; COMPUTE_PGM_RSRC3_GFX90A:ACCUM_OFFSET: 3
; COMPUTE_PGM_RSRC3_GFX90A:TG_SPLIT: 0
	.section	.text._Z7gr_baseIfEvPKT_S2_S2_PS0_S0_S0_,"axG",@progbits,_Z7gr_baseIfEvPKT_S2_S2_PS0_S0_S0_,comdat
	.protected	_Z7gr_baseIfEvPKT_S2_S2_PS0_S0_S0_ ; -- Begin function _Z7gr_baseIfEvPKT_S2_S2_PS0_S0_S0_
	.globl	_Z7gr_baseIfEvPKT_S2_S2_PS0_S0_S0_
	.p2align	8
	.type	_Z7gr_baseIfEvPKT_S2_S2_PS0_S0_S0_,@function
_Z7gr_baseIfEvPKT_S2_S2_PS0_S0_S0_:     ; @_Z7gr_baseIfEvPKT_S2_S2_PS0_S0_S0_
; %bb.0:
	s_load_dword s3, s[0:1], 0x34
	s_load_dwordx8 s[4:11], s[0:1], 0x0
	v_mov_b32_e32 v1, 0
	s_waitcnt lgkmcnt(0)
	s_and_b32 s3, s3, 0xffff
	s_mul_i32 s2, s2, s3
	v_add_u32_e32 v0, s2, v0
	v_lshlrev_b64 v[2:3], 2, v[0:1]
	v_lshl_add_u64 v[4:5], s[8:9], 0, v[2:3]
	global_load_dword v36, v[4:5], off
	s_load_dword s2, s[0:1], 0x28
	v_lshl_add_u64 v[4:5], s[6:7], 0, v[2:3]
	v_lshl_add_u64 v[6:7], s[4:5], 0, v[2:3]
	;; [unrolled: 1-line block ×3, first 2 shown]
	global_load_dword v39, v[4:5], off
	global_load_dword v38, v[6:7], off
	s_waitcnt lgkmcnt(0)
	s_mul_i32 s2, s2, s3
	v_add_u32_e32 v0, s2, v0
	v_lshlrev_b64 v[8:9], 2, v[0:1]
	v_lshl_add_u64 v[4:5], s[8:9], 0, v[8:9]
	v_add_u32_e32 v0, s2, v0
	s_mov_b32 s3, 0x3efdf9cf
	s_load_dwordx2 s[0:1], s[0:1], 0x20
	s_waitcnt vmcnt(2)
	v_mul_f32_e32 v6, 0x3efdf9cf, v36
	global_store_dword v[2:3], v6, off
	global_load_dword v37, v[4:5], off
	v_lshl_add_u64 v[4:5], s[10:11], 0, v[8:9]
	v_lshlrev_b64 v[6:7], 2, v[0:1]
	v_lshl_add_u64 v[8:9], s[8:9], 0, v[6:7]
	v_add_u32_e32 v0, s2, v0
	v_lshl_add_u64 v[6:7], s[10:11], 0, v[6:7]
	s_waitcnt vmcnt(3) lgkmcnt(0)
	v_mul_f32_e32 v39, s0, v39
	s_waitcnt vmcnt(2)
	v_mul_f32_e32 v38, s1, v38
	s_mul_i32 s0, s2, 0xffffffed
	s_waitcnt vmcnt(0)
	v_mul_f32_e32 v10, 0x3f7df9cf, v37
	global_store_dword v[4:5], v10, off
	global_load_dword v40, v[8:9], off
	v_lshlrev_b64 v[8:9], 2, v[0:1]
	v_lshl_add_u64 v[10:11], s[8:9], 0, v[8:9]
	v_add_u32_e32 v0, s2, v0
	s_waitcnt vmcnt(0)
	v_mul_f32_e32 v12, 0x3d80013b, v40
	global_store_dword v[6:7], v12, off
	global_load_dword v42, v[10:11], off
	v_lshl_add_u64 v[6:7], s[10:11], 0, v[8:9]
	v_lshlrev_b64 v[8:9], 2, v[0:1]
	v_lshl_add_u64 v[10:11], s[8:9], 0, v[8:9]
	v_add_u32_e32 v0, s2, v0
	v_lshl_add_u64 v[8:9], s[10:11], 0, v[8:9]
	s_waitcnt vmcnt(0)
	v_mul_f32_e32 v12, 0x3d00013a, v42
	global_store_dword v[6:7], v12, off
	global_load_dword v41, v[10:11], off
	v_lshlrev_b64 v[10:11], 2, v[0:1]
	v_lshl_add_u64 v[12:13], s[8:9], 0, v[10:11]
	v_add_u32_e32 v0, s2, v0
	s_waitcnt vmcnt(0)
	v_mul_f32_e32 v14, 0x3d70d636, v41
	global_store_dword v[8:9], v14, off
	global_load_dword v43, v[12:13], off
	v_lshl_add_u64 v[8:9], s[10:11], 0, v[10:11]
	v_lshlrev_b64 v[10:11], 2, v[0:1]
	v_lshl_add_u64 v[12:13], s[8:9], 0, v[10:11]
	v_add_u32_e32 v0, s2, v0
	v_lshl_add_u64 v[10:11], s[10:11], 0, v[10:11]
	s_waitcnt vmcnt(0)
	v_mul_f32_e32 v14, 0x3d635c9e, v43
	global_store_dword v[8:9], v14, off
	global_load_dword v48, v[12:13], off
	v_lshlrev_b64 v[12:13], 2, v[0:1]
	v_lshl_add_u64 v[14:15], s[8:9], 0, v[12:13]
	v_add_u32_e32 v0, s2, v0
	v_lshl_add_u64 v[12:13], s[10:11], 0, v[12:13]
	s_waitcnt vmcnt(0)
	v_mul_f32_e32 v16, 0x3cf83106, v48
	global_store_dword v[10:11], v16, off
	global_load_dword v49, v[14:15], off
	;; [unrolled: 8-line block ×3, first 2 shown]
	v_lshlrev_b64 v[16:17], 2, v[0:1]
	v_lshl_add_u64 v[18:19], s[8:9], 0, v[16:17]
	v_add_u32_e32 v0, s2, v0
	s_waitcnt vmcnt(0)
	v_mul_f32_e32 v20, 0x3d883707, v50
	global_store_dword v[14:15], v20, off
	global_load_dword v51, v[18:19], off
	v_lshl_add_u64 v[14:15], s[10:11], 0, v[16:17]
	v_lshlrev_b64 v[16:17], 2, v[0:1]
	v_lshl_add_u64 v[18:19], s[8:9], 0, v[16:17]
	v_add_u32_e32 v0, s2, v0
	v_lshl_add_u64 v[16:17], s[10:11], 0, v[16:17]
	s_waitcnt vmcnt(0)
	v_mul_f32_e32 v20, 0x3d7f5039, v51
	global_store_dword v[14:15], v20, off
	global_load_dword v52, v[18:19], off
	v_lshlrev_b64 v[18:19], 2, v[0:1]
	v_lshl_add_u64 v[20:21], s[8:9], 0, v[18:19]
	v_add_u32_e32 v0, s2, v0
	v_lshl_add_u64 v[18:19], s[10:11], 0, v[18:19]
	s_waitcnt vmcnt(0)
	v_mul_f32_e32 v22, 0x3d123b0a, v52
	global_store_dword v[16:17], v22, off
	global_load_dword v53, v[20:21], off
	;; [unrolled: 8-line block ×7, first 2 shown]
	v_lshlrev_b64 v[30:31], 2, v[0:1]
	v_lshl_add_u64 v[32:33], s[8:9], 0, v[30:31]
	v_add_u32_e32 v0, s2, v0
	s_waitcnt vmcnt(0)
	v_mul_f32_e32 v34, 0x3cc7a90f, v58
	global_store_dword v[28:29], v34, off
	global_load_dword v59, v[32:33], off
	v_lshl_add_u64 v[28:29], s[10:11], 0, v[30:31]
	v_lshlrev_b64 v[30:31], 2, v[0:1]
	v_lshl_add_u64 v[32:33], s[8:9], 0, v[30:31]
	v_add_u32_e32 v0, s2, v0
	v_lshl_add_u64 v[30:31], s[10:11], 0, v[30:31]
	s_waitcnt vmcnt(0)
	v_mul_f32_e32 v34, 0x3cc2df7b, v59
	global_store_dword v[28:29], v34, off
	global_load_dword v60, v[32:33], off
	v_lshlrev_b64 v[32:33], 2, v[0:1]
	v_lshl_add_u64 v[34:35], s[8:9], 0, v[32:33]
	v_add_u32_e32 v0, s2, v0
	v_lshl_add_u64 v[32:33], s[10:11], 0, v[32:33]
	s_waitcnt vmcnt(0)
	v_mul_f32_e32 v44, 0x3cb9f493, v60
	global_store_dword v[30:31], v44, off
	global_load_dword v61, v[34:35], off
	v_lshlrev_b64 v[34:35], 2, v[0:1]
	v_add_u32_e32 v0, s2, v0
	s_waitcnt vmcnt(0)
	v_mul_f32_e32 v44, 0x3cc772c4, v61
	global_store_dword v[32:33], v44, off
	v_lshl_add_u64 v[44:45], s[8:9], 0, v[34:35]
	global_load_dword v62, v[44:45], off
	v_lshl_add_u64 v[34:35], s[10:11], 0, v[34:35]
	s_waitcnt vmcnt(0)
	v_mul_f32_e32 v44, 0x3cc2abc2, v62
	global_store_dword v[34:35], v44, off
	v_lshlrev_b64 v[44:45], 2, v[0:1]
	v_lshl_add_u64 v[46:47], s[8:9], 0, v[44:45]
	global_load_dword v46, v[46:47], off
	v_fma_f32 v47, v36, s3, 0
	v_fmac_f32_e32 v47, 0x3f7df9cf, v37
	v_fmac_f32_e32 v47, 0x3d80013b, v40
	v_lshl_add_u64 v[36:37], s[10:11], 0, v[44:45]
	v_fmac_f32_e32 v47, 0x3d00013a, v42
	v_fmac_f32_e32 v47, 0x3d70d636, v41
	;; [unrolled: 1-line block ×18, first 2 shown]
	v_add_u32_e32 v0, s0, v0
	s_waitcnt vmcnt(0)
	v_mul_f32_e32 v40, 0x3d12373b, v46
	global_store_dword v[36:37], v40, off
	global_load_dword v40, v[2:3], off
	v_fmac_f32_e32 v47, 0x3d12373b, v46
	v_mul_f32_e32 v39, v39, v47
	v_mul_f32_e32 v39, 0x4c9e9632, v39
	v_div_scale_f32 v41, s[4:5], v39, v39, 1.0
	v_rcp_f32_e32 v42, v41
	v_div_scale_f32 v43, vcc, 1.0, v39, 1.0
	v_fma_f32 v44, -v41, v42, 1.0
	v_fmac_f32_e32 v42, v44, v42
	v_mul_f32_e32 v44, v43, v42
	v_fma_f32 v45, -v41, v44, v43
	v_fmac_f32_e32 v44, v45, v42
	v_fma_f32 v41, -v41, v44, v43
	v_div_fmas_f32 v41, v41, v42, v44
	v_div_fixup_f32 v39, v41, v39, 1.0
	v_mul_f32_e32 v38, v38, v39
	s_waitcnt vmcnt(0)
	v_max_f32_e32 v39, v40, v40
	v_max_f32_e32 v39, 0x800000, v39
	v_mul_f32_e32 v39, v38, v39
	global_store_dword v[2:3], v39, off
	global_load_dword v39, v[4:5], off
	v_lshl_add_u64 v[2:3], v[0:1], 2, s[10:11]
	v_lshl_add_u32 v0, s2, 1, v0
	s_waitcnt vmcnt(0)
	v_max_f32_e32 v39, v39, v39
	v_max_f32_e32 v39, 0x800000, v39
	v_mul_f32_e32 v39, v38, v39
	global_store_dword v[4:5], v39, off
	global_load_dword v4, v[2:3], off
	s_waitcnt vmcnt(0)
	v_max_f32_e32 v4, v4, v4
	v_max_f32_e32 v4, 0x800000, v4
	v_mul_f32_e32 v4, v38, v4
	global_store_dword v[2:3], v4, off
	global_load_dword v4, v[6:7], off
	v_lshl_add_u64 v[2:3], v[0:1], 2, s[10:11]
	v_lshl_add_u32 v0, s2, 2, v0
	s_waitcnt vmcnt(0)
	v_max_f32_e32 v4, v4, v4
	v_max_f32_e32 v4, 0x800000, v4
	v_mul_f32_e32 v4, v38, v4
	global_store_dword v[6:7], v4, off
	global_load_dword v4, v[2:3], off
	s_waitcnt vmcnt(0)
	v_max_f32_e32 v4, v4, v4
	v_max_f32_e32 v4, 0x800000, v4
	v_mul_f32_e32 v4, v38, v4
	global_store_dword v[2:3], v4, off
	global_load_dword v2, v[8:9], off
	s_waitcnt vmcnt(0)
	v_max_f32_e32 v2, v2, v2
	v_max_f32_e32 v2, 0x800000, v2
	v_mul_f32_e32 v2, v38, v2
	global_store_dword v[8:9], v2, off
	global_load_dword v2, v[10:11], off
	s_waitcnt vmcnt(0)
	v_max_f32_e32 v2, v2, v2
	v_max_f32_e32 v2, 0x800000, v2
	v_mul_f32_e32 v2, v38, v2
	global_store_dword v[10:11], v2, off
	global_load_dword v4, v[12:13], off
	v_lshl_add_u64 v[2:3], v[0:1], 2, s[10:11]
	v_lshl_add_u32 v0, s2, 3, v0
	v_lshl_add_u64 v[0:1], v[0:1], 2, s[10:11]
	s_waitcnt vmcnt(0)
	v_max_f32_e32 v4, v4, v4
	v_max_f32_e32 v4, 0x800000, v4
	v_mul_f32_e32 v4, v38, v4
	global_store_dword v[12:13], v4, off
	global_load_dword v4, v[2:3], off
	s_waitcnt vmcnt(0)
	v_max_f32_e32 v4, v4, v4
	v_max_f32_e32 v4, 0x800000, v4
	v_mul_f32_e32 v4, v38, v4
	global_store_dword v[2:3], v4, off
	global_load_dword v2, v[14:15], off
	;; [unrolled: 6-line block ×14, first 2 shown]
	s_waitcnt vmcnt(0)
	v_max_f32_e32 v0, v0, v0
	v_max_f32_e32 v0, 0x800000, v0
	v_mul_f32_e32 v0, v38, v0
	global_store_dword v[36:37], v0, off
	s_endpgm
	.section	.rodata,"a",@progbits
	.p2align	6, 0x0
	.amdhsa_kernel _Z7gr_baseIfEvPKT_S2_S2_PS0_S0_S0_
		.amdhsa_group_segment_fixed_size 0
		.amdhsa_private_segment_fixed_size 0
		.amdhsa_kernarg_size 296
		.amdhsa_user_sgpr_count 2
		.amdhsa_user_sgpr_dispatch_ptr 0
		.amdhsa_user_sgpr_queue_ptr 0
		.amdhsa_user_sgpr_kernarg_segment_ptr 1
		.amdhsa_user_sgpr_dispatch_id 0
		.amdhsa_user_sgpr_kernarg_preload_length 0
		.amdhsa_user_sgpr_kernarg_preload_offset 0
		.amdhsa_user_sgpr_private_segment_size 0
		.amdhsa_uses_dynamic_stack 0
		.amdhsa_enable_private_segment 0
		.amdhsa_system_sgpr_workgroup_id_x 1
		.amdhsa_system_sgpr_workgroup_id_y 0
		.amdhsa_system_sgpr_workgroup_id_z 0
		.amdhsa_system_sgpr_workgroup_info 0
		.amdhsa_system_vgpr_workitem_id 0
		.amdhsa_next_free_vgpr 63
		.amdhsa_next_free_sgpr 12
		.amdhsa_accum_offset 64
		.amdhsa_reserve_vcc 1
		.amdhsa_float_round_mode_32 0
		.amdhsa_float_round_mode_16_64 0
		.amdhsa_float_denorm_mode_32 3
		.amdhsa_float_denorm_mode_16_64 3
		.amdhsa_dx10_clamp 1
		.amdhsa_ieee_mode 1
		.amdhsa_fp16_overflow 0
		.amdhsa_tg_split 0
		.amdhsa_exception_fp_ieee_invalid_op 0
		.amdhsa_exception_fp_denorm_src 0
		.amdhsa_exception_fp_ieee_div_zero 0
		.amdhsa_exception_fp_ieee_overflow 0
		.amdhsa_exception_fp_ieee_underflow 0
		.amdhsa_exception_fp_ieee_inexact 0
		.amdhsa_exception_int_div_zero 0
	.end_amdhsa_kernel
	.section	.text._Z7gr_baseIfEvPKT_S2_S2_PS0_S0_S0_,"axG",@progbits,_Z7gr_baseIfEvPKT_S2_S2_PS0_S0_S0_,comdat
.Lfunc_end2:
	.size	_Z7gr_baseIfEvPKT_S2_S2_PS0_S0_S0_, .Lfunc_end2-_Z7gr_baseIfEvPKT_S2_S2_PS0_S0_S0_
                                        ; -- End function
	.set _Z7gr_baseIfEvPKT_S2_S2_PS0_S0_S0_.num_vgpr, 63
	.set _Z7gr_baseIfEvPKT_S2_S2_PS0_S0_S0_.num_agpr, 0
	.set _Z7gr_baseIfEvPKT_S2_S2_PS0_S0_S0_.numbered_sgpr, 12
	.set _Z7gr_baseIfEvPKT_S2_S2_PS0_S0_S0_.num_named_barrier, 0
	.set _Z7gr_baseIfEvPKT_S2_S2_PS0_S0_S0_.private_seg_size, 0
	.set _Z7gr_baseIfEvPKT_S2_S2_PS0_S0_S0_.uses_vcc, 1
	.set _Z7gr_baseIfEvPKT_S2_S2_PS0_S0_S0_.uses_flat_scratch, 0
	.set _Z7gr_baseIfEvPKT_S2_S2_PS0_S0_S0_.has_dyn_sized_stack, 0
	.set _Z7gr_baseIfEvPKT_S2_S2_PS0_S0_S0_.has_recursion, 0
	.set _Z7gr_baseIfEvPKT_S2_S2_PS0_S0_S0_.has_indirect_call, 0
	.section	.AMDGPU.csdata,"",@progbits
; Kernel info:
; codeLenInByte = 2476
; TotalNumSgprs: 18
; NumVgprs: 63
; NumAgprs: 0
; TotalNumVgprs: 63
; ScratchSize: 0
; MemoryBound: 0
; FloatMode: 240
; IeeeMode: 1
; LDSByteSize: 0 bytes/workgroup (compile time only)
; SGPRBlocks: 2
; VGPRBlocks: 7
; NumSGPRsForWavesPerEU: 18
; NumVGPRsForWavesPerEU: 63
; AccumOffset: 64
; Occupancy: 8
; WaveLimiterHint : 0
; COMPUTE_PGM_RSRC2:SCRATCH_EN: 0
; COMPUTE_PGM_RSRC2:USER_SGPR: 2
; COMPUTE_PGM_RSRC2:TRAP_HANDLER: 0
; COMPUTE_PGM_RSRC2:TGID_X_EN: 1
; COMPUTE_PGM_RSRC2:TGID_Y_EN: 0
; COMPUTE_PGM_RSRC2:TGID_Z_EN: 0
; COMPUTE_PGM_RSRC2:TIDIG_COMP_CNT: 0
; COMPUTE_PGM_RSRC3_GFX90A:ACCUM_OFFSET: 15
; COMPUTE_PGM_RSRC3_GFX90A:TG_SPLIT: 0
	.section	.text._Z12ratt2_kernelIfEvPKT_S2_PS0_S2_S0_,"axG",@progbits,_Z12ratt2_kernelIfEvPKT_S2_PS0_S2_S0_,comdat
	.protected	_Z12ratt2_kernelIfEvPKT_S2_PS0_S2_S0_ ; -- Begin function _Z12ratt2_kernelIfEvPKT_S2_PS0_S2_S0_
	.globl	_Z12ratt2_kernelIfEvPKT_S2_PS0_S2_S0_
	.p2align	8
	.type	_Z12ratt2_kernelIfEvPKT_S2_PS0_S2_S0_,@function
_Z12ratt2_kernelIfEvPKT_S2_PS0_S2_S0_:  ; @_Z12ratt2_kernelIfEvPKT_S2_PS0_S2_S0_
; %bb.0:
	s_load_dword s3, s[0:1], 0x34
	s_load_dword s12, s[0:1], 0x28
	s_load_dwordx8 s[4:11], s[0:1], 0x0
	v_mov_b32_e32 v1, 0
	s_load_dword s0, s[0:1], 0x20
	s_waitcnt lgkmcnt(0)
	s_and_b32 s3, s3, 0xffff
	s_mul_i32 s2, s2, s3
	v_add_u32_e32 v0, s2, v0
	v_lshlrev_b64 v[20:21], 2, v[0:1]
	v_lshl_add_u64 v[2:3], s[4:5], 0, v[20:21]
	s_mul_i32 s4, s12, s3
	s_lshl_b32 s2, s4, 1
	global_load_dword v34, v[2:3], off
	v_add_u32_e32 v2, s4, v0
	v_mov_b32_e32 v3, v1
	v_add_u32_e32 v0, s2, v0
	v_lshlrev_b64 v[8:9], 2, v[2:3]
	v_add_u32_e32 v2, s2, v2
	v_lshlrev_b64 v[6:7], 2, v[0:1]
	v_add_u32_e32 v0, s2, v0
	v_lshl_add_u64 v[12:13], s[10:11], 0, v[8:9]
	v_lshlrev_b64 v[2:3], 2, v[2:3]
	v_lshl_add_u64 v[18:19], s[10:11], 0, v[6:7]
	v_lshl_add_u64 v[24:25], s[10:11], 0, v[20:21]
	v_lshlrev_b64 v[4:5], 2, v[0:1]
	v_lshl_add_u64 v[14:15], s[10:11], 0, v[2:3]
	global_load_dword v31, v[18:19], off
	global_load_dword v28, v[24:25], off
	v_lshl_add_u64 v[22:23], s[10:11], 0, v[4:5]
	global_load_dword v30, v[12:13], off
	global_load_dword v29, v[14:15], off
	;; [unrolled: 1-line block ×3, first 2 shown]
	v_lshl_add_u64 v[10:11], s[6:7], 0, v[20:21]
	global_load_dword v35, v[10:11], off
	v_lshl_add_u64 v[10:11], s[6:7], 0, v[8:9]
	global_load_dword v36, v[10:11], off
	v_add_u32_e32 v0, s4, v0
	v_lshlrev_b64 v[10:11], 2, v[0:1]
	v_lshl_add_u64 v[16:17], s[10:11], 0, v[10:11]
	global_load_dword v33, v[16:17], off
	v_lshl_add_u64 v[26:27], s[6:7], 0, v[6:7]
	global_load_dword v25, v[24:25], off
	;; [unrolled: 2-line block ×3, first 2 shown]
	global_load_dword v45, v[40:41], off
	global_load_dword v24, v[22:23], off
	;; [unrolled: 1-line block ×5, first 2 shown]
	v_lshl_add_u64 v[42:43], s[6:7], 0, v[4:5]
	v_add_u32_e32 v0, s4, v0
	v_lshl_add_u64 v[20:21], s[8:9], 0, v[20:21]
	v_lshl_add_u64 v[8:9], s[8:9], 0, v[8:9]
	;; [unrolled: 1-line block ×4, first 2 shown]
	s_waitcnt vmcnt(15)
	v_mul_f32_e32 v12, s0, v34
	v_mul_f32_e32 v12, 0x4c9e9632, v12
	v_div_scale_f32 v14, s[0:1], v12, v12, 1.0
	v_rcp_f32_e32 v19, v14
	v_div_scale_f32 v15, vcc, 1.0, v12, 1.0
	v_fma_f32 v47, -v14, v19, 1.0
	v_fmac_f32_e32 v19, v47, v19
	v_mul_f32_e32 v49, v15, v19
	s_waitcnt vmcnt(13)
	v_mul_f32_e32 v13, v31, v28
	s_waitcnt vmcnt(11)
	;; [unrolled: 2-line block ×3, first 2 shown]
	v_mul_f32_e32 v18, v31, v32
	v_mul_f32_e32 v23, v30, v32
	v_div_scale_f32 v26, s[0:1], v18, v18, 1.0
	v_div_scale_f32 v34, s[2:3], v23, v23, 1.0
	v_rcp_f32_e32 v41, v26
	v_rcp_f32_e32 v46, v34
	v_div_scale_f32 v27, s[0:1], 1.0, v18, 1.0
	v_fma_f32 v47, -v26, v41, 1.0
	v_fma_f32 v48, -v34, v46, 1.0
	v_fmac_f32_e32 v41, v47, v41
	v_div_scale_f32 v40, s[2:3], 1.0, v23, 1.0
	v_fmac_f32_e32 v46, v48, v46
	v_fma_f32 v47, -v14, v49, v15
	v_mul_f32_e32 v48, v27, v41
	v_mul_f32_e32 v50, v40, v46
	v_fmac_f32_e32 v49, v47, v19
	v_fma_f32 v47, -v26, v48, v27
	v_fma_f32 v51, -v34, v50, v40
	;; [unrolled: 1-line block ×3, first 2 shown]
	v_fmac_f32_e32 v48, v47, v41
	v_fmac_f32_e32 v50, v51, v46
	v_div_fmas_f32 v14, v14, v19, v49
	v_fma_f32 v15, -v26, v48, v27
	s_mov_b64 vcc, s[0:1]
	v_fma_f32 v19, -v34, v50, v40
	v_div_fixup_f32 v12, v14, v12, 1.0
	v_div_fmas_f32 v14, v15, v41, v48
	s_mov_b64 vcc, s[2:3]
	v_mul_f32_e32 v26, 0x49776020, v12
	v_div_fixup_f32 v12, v14, v18, 1.0
	v_div_fmas_f32 v14, v19, v46, v50
	v_mul_f32_e32 v12, v22, v12
	v_div_fixup_f32 v14, v14, v23, 1.0
	v_min_f32_e32 v12, 0x7cf0bdc2, v12
	v_mul_f32_e32 v13, v14, v13
	s_waitcnt vmcnt(9)
	v_mul_f32_e32 v12, v35, v12
	v_min_f32_e32 v13, 0x7cf0bdc2, v13
	global_load_dword v34, v[42:43], off
	v_lshlrev_b64 v[14:15], 2, v[0:1]
	global_store_dword v[20:21], v12, off
	s_waitcnt vmcnt(10)
	v_mul_f32_e32 v27, v36, v13
	v_lshl_add_u64 v[12:13], s[6:7], 0, v[10:11]
	v_lshl_add_u64 v[18:19], s[6:7], 0, v[14:15]
	v_add_u32_e32 v0, s4, v0
	global_load_dword v35, v[12:13], off
	global_load_dword v36, v[18:19], off
	v_lshlrev_b64 v[18:19], 2, v[0:1]
	v_lshl_add_u64 v[20:21], s[6:7], 0, v[18:19]
	global_load_dword v13, v[20:21], off
	global_load_dword v12, v[16:17], off
	s_waitcnt vmcnt(13)
	v_mul_f32_e32 v16, v30, v33
	v_div_scale_f32 v17, s[0:1], v16, v16, 1.0
	v_rcp_f32_e32 v20, v17
	global_store_dword v[8:9], v27, off
	v_mul_f32_e32 v8, v32, v28
	v_add_u32_e32 v0, s4, v0
	v_fma_f32 v9, -v17, v20, 1.0
	v_fmac_f32_e32 v20, v9, v20
	v_div_scale_f32 v9, vcc, 1.0, v16, 1.0
	v_mul_f32_e32 v21, v9, v20
	v_fma_f32 v27, -v17, v21, v9
	v_fmac_f32_e32 v21, v27, v20
	v_fma_f32 v9, -v17, v21, v9
	v_div_fmas_f32 v9, v9, v20, v21
	v_div_fixup_f32 v9, v9, v16, 1.0
	v_mul_f32_e32 v8, v8, v9
	v_lshlrev_b64 v[16:17], 2, v[0:1]
	v_min_f32_e32 v27, 0x7cf0bdc2, v8
	v_lshl_add_u64 v[8:9], s[6:7], 0, v[16:17]
	global_load_dword v40, v[8:9], off
	v_add_u32_e32 v0, s4, v0
	v_lshlrev_b64 v[20:21], 2, v[0:1]
	v_lshl_add_u64 v[8:9], s[6:7], 0, v[20:21]
	global_load_dword v41, v[8:9], off
	v_mul_f32_e32 v9, v31, v33
	s_waitcnt vmcnt(14)
	v_mul_f32_e32 v8, v44, v27
	v_div_scale_f32 v27, s[0:1], v9, v9, 1.0
	v_rcp_f32_e32 v42, v27
	global_store_dword v[6:7], v8, off
	v_mul_f32_e32 v43, v32, v32
	v_add_u32_e32 v0, s4, v0
	v_fma_f32 v6, -v27, v42, 1.0
	v_fmac_f32_e32 v42, v6, v42
	v_div_scale_f32 v6, vcc, 1.0, v9, 1.0
	v_mul_f32_e32 v7, v6, v42
	v_fma_f32 v8, -v27, v7, v6
	v_fmac_f32_e32 v7, v8, v42
	v_fma_f32 v6, -v27, v7, v6
	v_div_fmas_f32 v6, v6, v42, v7
	v_div_scale_f32 v7, s[0:1], v28, v28, 1.0
	v_div_fixup_f32 v42, v6, v9, 1.0
	v_rcp_f32_e32 v8, v7
	v_mul_f32_e32 v6, v43, v42
	v_min_f32_e32 v6, 0x7cf0bdc2, v6
	s_waitcnt vmcnt(14)
	v_mul_f32_e32 v6, v45, v6
	global_store_dword v[2:3], v6, off
	v_fma_f32 v3, -v7, v8, 1.0
	v_fmac_f32_e32 v8, v3, v8
	v_div_scale_f32 v3, vcc, 1.0, v28, 1.0
	v_mul_f32_e32 v6, v3, v8
	v_fma_f32 v9, -v7, v6, v3
	v_fmac_f32_e32 v6, v9, v8
	v_fma_f32 v3, -v7, v6, v3
	v_mul_f32_e32 v2, v30, v30
	v_div_fmas_f32 v3, v3, v8, v6
	v_mul_f32_e32 v2, v2, v26
	v_div_fixup_f32 v3, v3, v28, 1.0
	v_mul_f32_e32 v2, v2, v3
	v_min_f32_e32 v6, 0x7cf0bdc2, v2
	v_lshl_add_u64 v[2:3], s[8:9], 0, v[4:5]
	s_waitcnt vmcnt(10)
	v_mul_f32_e32 v7, v6, v34
	global_store_dword v[2:3], v7, off
	v_lshl_add_u64 v[2:3], s[8:9], 0, v[10:11]
	v_div_scale_f32 v7, s[0:1], v33, v33, 1.0
	v_rcp_f32_e32 v9, v7
	s_waitcnt vmcnt(9)
	v_mul_f32_e32 v4, v6, v35
	global_store_dword v[2:3], v4, off
	s_waitcnt vmcnt(9)
	v_mul_f32_e32 v4, v6, v36
	v_lshl_add_u64 v[2:3], s[8:9], 0, v[14:15]
	global_store_dword v[2:3], v4, off
	s_waitcnt vmcnt(9)
	v_mul_f32_e32 v4, v6, v13
	v_lshl_add_u64 v[2:3], s[8:9], 0, v[18:19]
	global_store_dword v[2:3], v4, off
	v_lshlrev_b64 v[2:3], 2, v[0:1]
	v_lshl_add_u64 v[4:5], s[6:7], 0, v[2:3]
	global_load_dword v13, v[4:5], off
	v_lshl_add_u64 v[4:5], s[10:11], 0, v[14:15]
	global_load_dword v8, v[4:5], off
	v_fma_f32 v4, -v7, v9, 1.0
	v_fmac_f32_e32 v9, v4, v9
	v_div_scale_f32 v4, vcc, 1.0, v33, 1.0
	v_mul_f32_e32 v5, v4, v9
	v_fma_f32 v10, -v7, v5, v4
	v_fmac_f32_e32 v5, v10, v9
	v_fma_f32 v4, -v7, v5, v4
	v_div_fmas_f32 v4, v4, v9, v5
	v_mul_f32_e32 v6, v26, v23
	v_div_fixup_f32 v4, v4, v33, 1.0
	v_mul_f32_e32 v4, v6, v4
	v_min_f32_e32 v4, 0x7cf0bdc2, v4
	s_waitcnt vmcnt(9)
	v_mul_f32_e32 v6, v4, v40
	v_lshl_add_u64 v[4:5], s[8:9], 0, v[16:17]
	v_add_u32_e32 v0, s4, v0
	global_store_dword v[4:5], v6, off
	v_lshlrev_b64 v[4:5], 2, v[0:1]
	v_add_u32_e32 v0, s4, v0
	v_lshl_add_u64 v[6:7], s[6:7], 0, v[4:5]
	v_lshlrev_b64 v[10:11], 2, v[0:1]
	v_add_u32_e32 v0, s4, v0
	v_lshl_add_u64 v[14:15], s[6:7], 0, v[10:11]
	global_load_dword v33, v[6:7], off
	global_load_dword v34, v[14:15], off
	v_lshlrev_b64 v[6:7], 2, v[0:1]
	v_lshl_add_u64 v[14:15], s[6:7], 0, v[6:7]
	v_add_u32_e32 v0, s4, v0
	global_load_dword v35, v[14:15], off
	v_lshlrev_b64 v[14:15], 2, v[0:1]
	v_lshl_add_u64 v[16:17], s[6:7], 0, v[14:15]
	global_load_dword v36, v[16:17], off
	v_lshl_add_u64 v[16:17], s[10:11], 0, v[18:19]
	global_load_dword v9, v[16:17], off
	v_div_scale_f32 v23, s[0:1], v32, v32, 1.0
	v_rcp_f32_e32 v27, v23
	v_mul_f32_e32 v16, v30, v31
	v_mul_f32_e32 v16, v16, v26
	v_add_u32_e32 v0, s4, v0
	v_fma_f32 v17, -v23, v27, 1.0
	v_fmac_f32_e32 v27, v17, v27
	v_div_scale_f32 v17, vcc, 1.0, v32, 1.0
	v_mul_f32_e32 v18, v17, v27
	v_fma_f32 v19, -v23, v18, v17
	v_fmac_f32_e32 v18, v19, v27
	v_fma_f32 v17, -v23, v18, v17
	v_div_fmas_f32 v17, v17, v27, v18
	v_div_fixup_f32 v17, v17, v32, 1.0
	v_mul_f32_e32 v16, v16, v17
	v_min_f32_e32 v16, 0x7cf0bdc2, v16
	v_div_scale_f32 v19, s[0:1], v29, v29, 1.0
	s_waitcnt vmcnt(14)
	v_mul_f32_e32 v18, v16, v41
	v_lshl_add_u64 v[16:17], s[8:9], 0, v[20:21]
	v_rcp_f32_e32 v20, v19
	global_store_dword v[16:17], v18, off
	v_mul_f32_e32 v16, v31, v31
	v_mul_f32_e32 v21, v16, v26
	v_fma_f32 v16, -v19, v20, 1.0
	v_fmac_f32_e32 v20, v16, v20
	v_div_scale_f32 v16, vcc, 1.0, v29, 1.0
	v_mul_f32_e32 v17, v16, v20
	v_fma_f32 v18, -v19, v17, v16
	v_fmac_f32_e32 v17, v18, v20
	v_fma_f32 v16, -v19, v17, v16
	v_div_fmas_f32 v16, v16, v20, v17
	v_div_fixup_f32 v20, v16, v29, 1.0
	v_lshlrev_b64 v[16:17], 2, v[0:1]
	v_lshl_add_u64 v[18:19], s[6:7], 0, v[16:17]
	global_load_dword v31, v[18:19], off
	v_mul_f32_e32 v18, v20, v21
	v_min_f32_e32 v18, 0x7cf0bdc2, v18
	v_add_u32_e32 v0, s4, v0
	v_lshl_add_u64 v[2:3], s[8:9], 0, v[2:3]
	v_lshl_add_u64 v[16:17], s[8:9], 0, v[16:17]
	s_waitcnt vmcnt(9)
	v_mul_f32_e32 v13, v18, v13
	v_lshlrev_b64 v[18:19], 2, v[0:1]
	v_lshl_add_u64 v[20:21], s[6:7], 0, v[18:19]
	global_load_dword v40, v[20:21], off
	s_waitcnt vmcnt(9)
	v_div_scale_f32 v23, s[0:1], v8, v8, 1.0
	v_rcp_f32_e32 v27, v23
	global_store_dword v[2:3], v13, off
	v_mul_f32_e32 v13, v22, v26
	v_add_u32_e32 v0, s4, v0
	v_fma_f32 v2, -v23, v27, 1.0
	v_fmac_f32_e32 v27, v2, v27
	v_div_scale_f32 v2, vcc, 1.0, v8, 1.0
	v_mul_f32_e32 v22, v2, v27
	v_fma_f32 v3, -v23, v22, v2
	v_fmac_f32_e32 v22, v3, v27
	v_lshlrev_b64 v[20:21], 2, v[0:1]
	v_fma_f32 v23, -v23, v22, v2
	v_lshl_add_u64 v[2:3], s[6:7], 0, v[20:21]
	global_load_dword v41, v[2:3], off
	v_div_fmas_f32 v2, v23, v27, v22
	v_div_fixup_f32 v2, v2, v8, 1.0
	v_mul_f32_e32 v2, v13, v2
	v_min_f32_e32 v13, 0x7cf0bdc2, v2
	s_waitcnt vmcnt(9)
	v_mul_f32_e32 v22, v33, v13
	v_lshl_add_u64 v[2:3], s[8:9], 0, v[4:5]
	global_store_dword v[2:3], v22, off
	s_waitcnt vmcnt(9)
	v_mul_f32_e32 v4, v34, v13
	v_lshl_add_u64 v[2:3], s[8:9], 0, v[10:11]
	v_add_u32_e32 v0, s4, v0
	global_store_dword v[2:3], v4, off
	s_waitcnt vmcnt(9)
	v_mul_f32_e32 v4, v13, v35
	v_lshl_add_u64 v[2:3], s[8:9], 0, v[6:7]
	v_lshlrev_b64 v[10:11], 2, v[0:1]
	global_store_dword v[2:3], v4, off
	v_lshl_add_u64 v[2:3], s[6:7], 0, v[10:11]
	s_waitcnt vmcnt(9)
	v_mul_f32_e32 v4, v13, v36
	global_load_dword v13, v[2:3], off
	s_waitcnt vmcnt(9)
	v_div_scale_f32 v5, s[0:1], v9, v9, 1.0
	v_rcp_f32_e32 v6, v5
	v_lshl_add_u64 v[2:3], s[8:9], 0, v[14:15]
	global_store_dword v[2:3], v4, off
	v_mul_f32_e32 v2, v26, v43
	v_fma_f32 v3, -v5, v6, 1.0
	v_fmac_f32_e32 v6, v3, v6
	v_div_scale_f32 v3, vcc, 1.0, v9, 1.0
	v_mul_f32_e32 v4, v3, v6
	v_fma_f32 v7, -v5, v4, v3
	v_fmac_f32_e32 v4, v7, v6
	v_fma_f32 v3, -v5, v4, v3
	v_div_fmas_f32 v3, v3, v6, v4
	v_div_fixup_f32 v3, v3, v9, 1.0
	v_add_u32_e32 v0, s4, v0
	v_mul_f32_e32 v2, v2, v3
	v_lshlrev_b64 v[14:15], 2, v[0:1]
	v_min_f32_e32 v34, 0x7cf0bdc2, v2
	v_lshl_add_u64 v[2:3], s[6:7], 0, v[14:15]
	global_load_dword v35, v[2:3], off
	v_add_u32_e32 v0, s4, v0
	v_lshlrev_b64 v[6:7], 2, v[0:1]
	v_add_u32_e32 v0, s4, v0
	v_lshlrev_b64 v[4:5], 2, v[0:1]
	v_add_u32_e32 v0, s4, v0
	v_lshl_add_u64 v[22:23], s[6:7], 0, v[6:7]
	v_lshlrev_b64 v[2:3], 2, v[0:1]
	v_lshl_add_u64 v[26:27], s[6:7], 0, v[4:5]
	v_lshl_add_u64 v[32:33], s[6:7], 0, v[2:3]
	global_load_dword v36, v[22:23], off
	global_load_dword v43, v[26:27], off
	;; [unrolled: 1-line block ×3, first 2 shown]
	v_mul_f32_e32 v23, v29, v28
	v_div_scale_f32 v26, s[0:1], v23, v23, 1.0
	s_waitcnt vmcnt(12)
	v_mul_f32_e32 v22, v31, v34
	global_store_dword v[16:17], v22, off
	v_mul_f32_e32 v22, v30, v8
	v_rcp_f32_e32 v27, v26
	v_mul_f32_e32 v16, v42, v22
	v_min_f32_e32 v16, 0x7cf0bdc2, v16
	v_lshl_add_u64 v[10:11], s[8:9], 0, v[10:11]
	v_add_u32_e32 v0, s4, v0
	v_lshl_add_u64 v[14:15], s[8:9], 0, v[14:15]
	s_waitcnt vmcnt(12)
	v_mul_f32_e32 v28, v16, v40
	v_lshl_add_u64 v[16:17], s[8:9], 0, v[18:19]
	global_store_dword v[16:17], v28, off
	v_fma_f32 v16, -v26, v27, 1.0
	v_fmac_f32_e32 v27, v16, v27
	v_div_scale_f32 v16, vcc, 1.0, v23, 1.0
	v_mul_f32_e32 v17, v16, v27
	v_fma_f32 v18, -v26, v17, v16
	v_fmac_f32_e32 v17, v18, v27
	v_fma_f32 v16, -v26, v17, v16
	v_div_fmas_f32 v16, v16, v27, v17
	v_div_fixup_f32 v16, v16, v23, 1.0
	v_mul_f32_e32 v19, v24, v24
	v_mul_f32_e32 v16, v16, v22
	v_div_scale_f32 v22, s[0:1], v19, v19, 1.0
	v_rcp_f32_e32 v23, v22
	v_min_f32_e32 v16, 0x7cf0bdc2, v16
	s_waitcnt vmcnt(11)
	v_mul_f32_e32 v18, v16, v41
	v_lshl_add_u64 v[16:17], s[8:9], 0, v[20:21]
	global_store_dword v[16:17], v18, off
	v_fma_f32 v17, -v22, v23, 1.0
	v_fmac_f32_e32 v23, v17, v23
	v_div_scale_f32 v17, vcc, 1.0, v19, 1.0
	v_mul_f32_e32 v18, v17, v23
	v_fma_f32 v20, -v22, v18, v17
	v_fmac_f32_e32 v18, v20, v23
	v_fma_f32 v17, -v22, v18, v17
	v_div_fmas_f32 v17, v17, v23, v18
	v_mul_f32_e32 v16, v37, v8
	v_div_fixup_f32 v17, v17, v19, 1.0
	v_mul_f32_e32 v16, v16, v17
	v_min_f32_e32 v16, 0x7cf0bdc2, v16
	v_mul_f32_e32 v18, v38, v24
	s_waitcnt vmcnt(8)
	v_mul_f32_e32 v13, v13, v16
	v_div_scale_f32 v16, s[0:1], v18, v18, 1.0
	v_rcp_f32_e32 v19, v16
	global_store_dword v[10:11], v13, off
	v_mul_f32_e32 v13, v39, v8
	v_lshl_add_u64 v[6:7], s[8:9], 0, v[6:7]
	v_fma_f32 v10, -v16, v19, 1.0
	v_fmac_f32_e32 v19, v10, v19
	v_div_scale_f32 v10, vcc, 1.0, v18, 1.0
	v_mul_f32_e32 v20, v10, v19
	v_fma_f32 v11, -v16, v20, v10
	v_fmac_f32_e32 v20, v11, v19
	v_fma_f32 v21, -v16, v20, v10
	v_lshlrev_b64 v[10:11], 2, v[0:1]
	v_lshl_add_u64 v[16:17], s[6:7], 0, v[10:11]
	global_load_dword v16, v[16:17], off
	v_div_fmas_f32 v17, v21, v19, v20
	v_div_fixup_f32 v17, v17, v18, 1.0
	v_mul_f32_e32 v13, v13, v17
	v_min_f32_e32 v13, 0x7cf0bdc2, v13
	v_add_u32_e32 v0, s4, v0
	s_waitcnt vmcnt(8)
	v_mul_f32_e32 v13, v35, v13
	v_lshlrev_b64 v[0:1], 2, v[0:1]
	global_store_dword v[14:15], v13, off
	v_lshl_add_u64 v[14:15], s[6:7], 0, v[0:1]
	global_load_dword v14, v[14:15], off
	v_mul_f32_e32 v13, v38, v12
	v_div_scale_f32 v17, s[0:1], v13, v13, 1.0
	v_rcp_f32_e32 v18, v17
	v_mul_f32_e32 v15, v24, v8
	v_lshl_add_u64 v[4:5], s[8:9], 0, v[4:5]
	v_lshl_add_u64 v[2:3], s[8:9], 0, v[2:3]
	v_fma_f32 v19, -v17, v18, 1.0
	v_fmac_f32_e32 v18, v19, v18
	v_div_scale_f32 v19, vcc, 1.0, v13, 1.0
	v_mul_f32_e32 v20, v19, v18
	v_fma_f32 v21, -v17, v20, v19
	v_fmac_f32_e32 v20, v21, v18
	v_fma_f32 v17, -v17, v20, v19
	v_div_fmas_f32 v17, v17, v18, v20
	v_div_fixup_f32 v13, v17, v13, 1.0
	v_mul_f32_e32 v13, v15, v13
	v_mul_f32_e32 v15, v38, v9
	v_div_scale_f32 v17, s[0:1], v15, v15, 1.0
	v_rcp_f32_e32 v18, v17
	v_min_f32_e32 v13, 0x7cf0bdc2, v13
	s_waitcnt vmcnt(9)
	v_mul_f32_e32 v13, v36, v13
	global_store_dword v[6:7], v13, off
	v_fma_f32 v7, -v17, v18, 1.0
	v_fmac_f32_e32 v18, v7, v18
	v_div_scale_f32 v7, vcc, 1.0, v15, 1.0
	v_mul_f32_e32 v13, v7, v18
	v_fma_f32 v19, -v17, v13, v7
	v_fmac_f32_e32 v13, v19, v18
	v_fma_f32 v7, -v17, v13, v7
	v_div_fmas_f32 v7, v7, v18, v13
	v_mul_f32_e32 v6, v8, v8
	v_div_fixup_f32 v7, v7, v15, 1.0
	v_mul_f32_e32 v6, v6, v7
	v_min_f32_e32 v6, 0x7cf0bdc2, v6
	s_waitcnt vmcnt(9)
	v_mul_f32_e32 v7, v43, v6
	global_store_dword v[4:5], v7, off
	v_mul_f32_e32 v5, v25, v8
	s_waitcnt vmcnt(9)
	v_mul_f32_e32 v4, v44, v6
	v_div_scale_f32 v6, s[0:1], v5, v5, 1.0
	v_rcp_f32_e32 v7, v6
	global_store_dword v[2:3], v4, off
	v_mul_f32_e32 v4, v37, v9
	v_lshl_add_u64 v[0:1], s[8:9], 0, v[0:1]
	v_fma_f32 v2, -v6, v7, 1.0
	v_fmac_f32_e32 v7, v2, v7
	v_div_scale_f32 v2, vcc, 1.0, v5, 1.0
	v_mul_f32_e32 v3, v2, v7
	v_fma_f32 v8, -v6, v3, v2
	v_fmac_f32_e32 v3, v8, v7
	v_fma_f32 v2, -v6, v3, v2
	v_div_fmas_f32 v2, v2, v7, v3
	v_div_fixup_f32 v2, v2, v5, 1.0
	v_mul_f32_e32 v5, v24, v12
	v_div_scale_f32 v6, s[0:1], v5, v5, 1.0
	v_rcp_f32_e32 v7, v6
	v_mul_f32_e32 v2, v4, v2
	v_min_f32_e32 v2, 0x7cf0bdc2, v2
	s_waitcnt vmcnt(5)
	v_mul_f32_e32 v8, v16, v2
	v_lshl_add_u64 v[2:3], s[8:9], 0, v[10:11]
	global_store_dword v[2:3], v8, off
	v_fma_f32 v2, -v6, v7, 1.0
	v_fmac_f32_e32 v7, v2, v7
	v_div_scale_f32 v2, vcc, 1.0, v5, 1.0
	v_mul_f32_e32 v3, v2, v7
	v_fma_f32 v8, -v6, v3, v2
	v_fmac_f32_e32 v3, v8, v7
	v_fma_f32 v2, -v6, v3, v2
	v_div_fmas_f32 v2, v2, v7, v3
	v_div_fixup_f32 v2, v2, v5, 1.0
	v_mul_f32_e32 v2, v4, v2
	v_min_f32_e32 v2, 0x7cf0bdc2, v2
	s_waitcnt vmcnt(4)
	v_mul_f32_e32 v2, v14, v2
	global_store_dword v[0:1], v2, off
	s_endpgm
	.section	.rodata,"a",@progbits
	.p2align	6, 0x0
	.amdhsa_kernel _Z12ratt2_kernelIfEvPKT_S2_PS0_S2_S0_
		.amdhsa_group_segment_fixed_size 0
		.amdhsa_private_segment_fixed_size 0
		.amdhsa_kernarg_size 296
		.amdhsa_user_sgpr_count 2
		.amdhsa_user_sgpr_dispatch_ptr 0
		.amdhsa_user_sgpr_queue_ptr 0
		.amdhsa_user_sgpr_kernarg_segment_ptr 1
		.amdhsa_user_sgpr_dispatch_id 0
		.amdhsa_user_sgpr_kernarg_preload_length 0
		.amdhsa_user_sgpr_kernarg_preload_offset 0
		.amdhsa_user_sgpr_private_segment_size 0
		.amdhsa_uses_dynamic_stack 0
		.amdhsa_enable_private_segment 0
		.amdhsa_system_sgpr_workgroup_id_x 1
		.amdhsa_system_sgpr_workgroup_id_y 0
		.amdhsa_system_sgpr_workgroup_id_z 0
		.amdhsa_system_sgpr_workgroup_info 0
		.amdhsa_system_vgpr_workitem_id 0
		.amdhsa_next_free_vgpr 52
		.amdhsa_next_free_sgpr 13
		.amdhsa_accum_offset 52
		.amdhsa_reserve_vcc 1
		.amdhsa_float_round_mode_32 0
		.amdhsa_float_round_mode_16_64 0
		.amdhsa_float_denorm_mode_32 3
		.amdhsa_float_denorm_mode_16_64 3
		.amdhsa_dx10_clamp 1
		.amdhsa_ieee_mode 1
		.amdhsa_fp16_overflow 0
		.amdhsa_tg_split 0
		.amdhsa_exception_fp_ieee_invalid_op 0
		.amdhsa_exception_fp_denorm_src 0
		.amdhsa_exception_fp_ieee_div_zero 0
		.amdhsa_exception_fp_ieee_overflow 0
		.amdhsa_exception_fp_ieee_underflow 0
		.amdhsa_exception_fp_ieee_inexact 0
		.amdhsa_exception_int_div_zero 0
	.end_amdhsa_kernel
	.section	.text._Z12ratt2_kernelIfEvPKT_S2_PS0_S2_S0_,"axG",@progbits,_Z12ratt2_kernelIfEvPKT_S2_PS0_S2_S0_,comdat
.Lfunc_end3:
	.size	_Z12ratt2_kernelIfEvPKT_S2_PS0_S2_S0_, .Lfunc_end3-_Z12ratt2_kernelIfEvPKT_S2_PS0_S2_S0_
                                        ; -- End function
	.set _Z12ratt2_kernelIfEvPKT_S2_PS0_S2_S0_.num_vgpr, 52
	.set _Z12ratt2_kernelIfEvPKT_S2_PS0_S2_S0_.num_agpr, 0
	.set _Z12ratt2_kernelIfEvPKT_S2_PS0_S2_S0_.numbered_sgpr, 13
	.set _Z12ratt2_kernelIfEvPKT_S2_PS0_S2_S0_.num_named_barrier, 0
	.set _Z12ratt2_kernelIfEvPKT_S2_PS0_S2_S0_.private_seg_size, 0
	.set _Z12ratt2_kernelIfEvPKT_S2_PS0_S2_S0_.uses_vcc, 1
	.set _Z12ratt2_kernelIfEvPKT_S2_PS0_S2_S0_.uses_flat_scratch, 0
	.set _Z12ratt2_kernelIfEvPKT_S2_PS0_S2_S0_.has_dyn_sized_stack, 0
	.set _Z12ratt2_kernelIfEvPKT_S2_PS0_S2_S0_.has_recursion, 0
	.set _Z12ratt2_kernelIfEvPKT_S2_PS0_S2_S0_.has_indirect_call, 0
	.section	.AMDGPU.csdata,"",@progbits
; Kernel info:
; codeLenInByte = 3248
; TotalNumSgprs: 19
; NumVgprs: 52
; NumAgprs: 0
; TotalNumVgprs: 52
; ScratchSize: 0
; MemoryBound: 0
; FloatMode: 240
; IeeeMode: 1
; LDSByteSize: 0 bytes/workgroup (compile time only)
; SGPRBlocks: 2
; VGPRBlocks: 6
; NumSGPRsForWavesPerEU: 19
; NumVGPRsForWavesPerEU: 52
; AccumOffset: 52
; Occupancy: 8
; WaveLimiterHint : 0
; COMPUTE_PGM_RSRC2:SCRATCH_EN: 0
; COMPUTE_PGM_RSRC2:USER_SGPR: 2
; COMPUTE_PGM_RSRC2:TRAP_HANDLER: 0
; COMPUTE_PGM_RSRC2:TGID_X_EN: 1
; COMPUTE_PGM_RSRC2:TGID_Y_EN: 0
; COMPUTE_PGM_RSRC2:TGID_Z_EN: 0
; COMPUTE_PGM_RSRC2:TIDIG_COMP_CNT: 0
; COMPUTE_PGM_RSRC3_GFX90A:ACCUM_OFFSET: 12
; COMPUTE_PGM_RSRC3_GFX90A:TG_SPLIT: 0
	.section	.text._Z12ratt3_kernelIfEvPKT_S2_PS0_S2_S0_,"axG",@progbits,_Z12ratt3_kernelIfEvPKT_S2_PS0_S2_S0_,comdat
	.protected	_Z12ratt3_kernelIfEvPKT_S2_PS0_S2_S0_ ; -- Begin function _Z12ratt3_kernelIfEvPKT_S2_PS0_S2_S0_
	.globl	_Z12ratt3_kernelIfEvPKT_S2_PS0_S2_S0_
	.p2align	8
	.type	_Z12ratt3_kernelIfEvPKT_S2_PS0_S2_S0_,@function
_Z12ratt3_kernelIfEvPKT_S2_PS0_S2_S0_:  ; @_Z12ratt3_kernelIfEvPKT_S2_PS0_S2_S0_
; %bb.0:
	s_load_dword s3, s[0:1], 0x34
	s_load_dword s12, s[0:1], 0x28
	s_load_dwordx8 s[4:11], s[0:1], 0x0
	v_mov_b32_e32 v1, 0
	v_mov_b32_e32 v17, v1
	s_waitcnt lgkmcnt(0)
	s_and_b32 s3, s3, 0xffff
	s_mul_i32 s2, s2, s3
	v_add_u32_e32 v0, s2, v0
	v_lshlrev_b64 v[2:3], 2, v[0:1]
	s_mul_i32 s2, s12, s3
	v_lshl_add_u64 v[4:5], s[4:5], 0, v[2:3]
	s_lshl_b32 s3, s2, 1
	global_load_dword v27, v[4:5], off
	v_add_u32_e32 v4, s3, v0
	v_mov_b32_e32 v5, v1
	v_lshl_add_u64 v[6:7], v[4:5], 2, s[10:11]
	v_mad_u64_u32 v[4:5], s[4:5], s2, 5, v[4:5]
	v_mov_b32_e32 v5, v1
	v_lshl_add_u64 v[8:9], v[4:5], 2, s[10:11]
	v_mad_u64_u32 v[4:5], s[4:5], s2, -3, v[4:5]
	v_mov_b32_e32 v5, v1
	v_lshl_add_u64 v[10:11], v[4:5], 2, s[10:11]
	v_add_u32_e32 v4, s3, v4
	v_lshl_add_u64 v[12:13], v[4:5], 2, s[10:11]
	global_load_dword v22, v[6:7], off
	global_load_dword v28, v[8:9], off
	;; [unrolled: 1-line block ×4, first 2 shown]
	s_mul_i32 s4, s2, 19
	v_add_u32_e32 v8, s4, v4
	s_mul_i32 s3, s2, 0xffffffec
	v_mov_b32_e32 v9, v1
	v_add_u32_e32 v16, s3, v8
	v_lshlrev_b64 v[4:5], 2, v[8:9]
	v_lshl_add_u64 v[8:9], v[16:17], 2, s[10:11]
	global_load_dword v23, v[8:9], off
	v_lshl_add_u64 v[14:15], s[6:7], 0, v[4:5]
	global_load_dword v29, v[14:15], off
	v_add_u32_e32 v0, s2, v0
	v_lshl_add_u64 v[14:15], v[0:1], 2, s[10:11]
	global_load_dword v26, v[14:15], off
	global_load_dword v30, v[6:7], off
	;; [unrolled: 1-line block ×5, first 2 shown]
	v_mad_u64_u32 v[6:7], s[12:13], s2, 21, v[16:17]
	v_mov_b32_e32 v7, v1
	v_add_u32_e32 v16, s2, v6
	v_lshlrev_b64 v[12:13], 2, v[6:7]
	v_lshlrev_b64 v[34:35], 2, v[16:17]
	v_mad_u64_u32 v[6:7], s[12:13], s2, -14, v[16:17]
	v_lshl_add_u64 v[10:11], s[6:7], 0, v[12:13]
	s_load_dword s0, s[0:1], 0x20
	v_lshl_add_u64 v[16:17], s[6:7], 0, v[34:35]
	global_load_dword v38, v[10:11], off
	global_load_dword v39, v[16:17], off
	v_mov_b32_e32 v7, v1
	v_mov_b32_e32 v19, v1
	s_mul_i32 s3, s2, 14
	v_add_u32_e32 v18, s2, v6
	v_lshl_add_u64 v[16:17], v[6:7], 2, s[10:11]
	v_mov_b32_e32 v21, v1
	v_lshl_add_u64 v[36:37], v[18:19], 2, s[10:11]
	v_add_u32_e32 v20, s3, v18
	global_load_dword v11, v[16:17], off
	global_load_dword v10, v[36:37], off
	v_lshlrev_b64 v[18:19], 2, v[20:21]
	v_lshl_add_u64 v[6:7], s[6:7], 0, v[18:19]
	global_load_dword v40, v[6:7], off
	v_lshl_add_u64 v[4:5], s[8:9], 0, v[4:5]
	global_load_dword v8, v[8:9], off
	v_lshl_add_u64 v[2:3], s[10:11], 0, v[2:3]
	s_mul_i32 s5, s2, 0xffffffe5
	s_waitcnt vmcnt(17) lgkmcnt(0)
	v_mul_f32_e32 v6, s0, v27
	v_mul_f32_e32 v6, 0x4c9e9632, v6
	v_div_scale_f32 v7, s[0:1], v6, v6, 1.0
	v_rcp_f32_e32 v27, v7
	v_div_scale_f32 v20, vcc, 1.0, v6, 1.0
	v_fma_f32 v45, -v7, v27, 1.0
	v_fmac_f32_e32 v27, v45, v27
	v_mul_f32_e32 v45, v20, v27
	v_fma_f32 v46, -v7, v45, v20
	v_fmac_f32_e32 v45, v46, v27
	v_fma_f32 v7, -v7, v45, v20
	s_waitcnt vmcnt(13)
	v_mul_f32_e32 v41, v24, v25
	v_div_scale_f32 v42, s[0:1], v41, v41, 1.0
	v_rcp_f32_e32 v44, v42
	v_div_scale_f32 v43, s[0:1], 1.0, v41, 1.0
	v_div_fmas_f32 v7, v7, v27, v45
	v_fma_f32 v47, -v42, v44, 1.0
	v_fmac_f32_e32 v44, v47, v44
	v_mul_f32_e32 v20, v43, v44
	v_fma_f32 v27, -v42, v20, v43
	v_fmac_f32_e32 v20, v27, v44
	v_div_fixup_f32 v6, v7, v6, 1.0
	v_fma_f32 v7, -v42, v20, v43
	s_mov_b64 vcc, s[0:1]
	v_div_fmas_f32 v7, v7, v44, v20
	s_waitcnt vmcnt(12)
	v_mul_f32_e32 v9, v25, v23
	v_mul_f32_e32 v21, v22, v28
	v_div_fixup_f32 v7, v7, v41, 1.0
	v_div_scale_f32 v27, s[0:1], v9, v9, 1.0
	v_mul_f32_e32 v7, v21, v7
	s_mul_i32 s1, s2, 28
	v_min_f32_e32 v7, 0x7cf0bdc2, v7
	v_add_u32_e32 v0, s1, v0
	s_waitcnt vmcnt(11)
	v_mul_f32_e32 v7, v29, v7
	v_lshlrev_b64 v[20:21], 2, v[0:1]
	s_mul_i32 s0, s2, -13
	global_store_dword v[4:5], v7, off
	v_lshl_add_u64 v[4:5], s[6:7], 0, v[20:21]
	v_add_u32_e32 v0, s0, v0
	global_load_dword v41, v[4:5], off
	v_lshl_add_u64 v[4:5], v[0:1], 2, s[10:11]
	global_load_dword v42, v[4:5], off
	v_mul_f32_e32 v7, v28, v24
	v_rcp_f32_e32 v28, v27
	global_load_dword v43, v[2:3], off
	v_add_u32_e32 v0, s3, v0
	v_mul_f32_e32 v6, 0x49776020, v6
	v_fma_f32 v4, -v27, v28, 1.0
	v_fmac_f32_e32 v28, v4, v28
	v_div_scale_f32 v4, vcc, 1.0, v9, 1.0
	v_mul_f32_e32 v5, v4, v28
	v_fma_f32 v29, -v27, v5, v4
	v_fmac_f32_e32 v5, v29, v28
	v_fma_f32 v4, -v27, v5, v4
	v_div_fmas_f32 v4, v4, v28, v5
	v_div_fixup_f32 v4, v4, v9, 1.0
	v_mul_f32_e32 v4, v7, v4
	v_min_f32_e32 v7, 0x7cf0bdc2, v4
	s_waitcnt vmcnt(9)
	v_mul_f32_e32 v9, v38, v7
	v_lshl_add_u64 v[4:5], s[8:9], 0, v[12:13]
	v_lshlrev_b64 v[28:29], 2, v[0:1]
	global_store_dword v[4:5], v9, off
	v_lshl_add_u64 v[4:5], s[8:9], 0, v[34:35]
	v_lshl_add_u64 v[34:35], s[6:7], 0, v[28:29]
	s_waitcnt vmcnt(9)
	v_mul_f32_e32 v9, v39, v7
	global_load_dword v13, v[34:35], off
	global_load_dword v12, v[36:37], off
	;; [unrolled: 1-line block ×3, first 2 shown]
	s_waitcnt vmcnt(10)
	v_div_scale_f32 v16, s[12:13], v10, v10, 1.0
	v_rcp_f32_e32 v17, v16
	global_store_dword v[4:5], v9, off
	v_add_u32_e32 v0, s5, v0
	v_mul_f32_e32 v4, v22, v11
	v_fma_f32 v5, -v16, v17, 1.0
	v_fmac_f32_e32 v17, v5, v17
	v_div_scale_f32 v5, vcc, 1.0, v10, 1.0
	v_mul_f32_e32 v9, v5, v17
	v_fma_f32 v27, -v16, v9, v5
	v_fmac_f32_e32 v9, v27, v17
	v_fma_f32 v5, -v16, v9, v5
	v_lshl_add_u64 v[34:35], v[0:1], 2, s[10:11]
	v_div_fmas_f32 v5, v5, v17, v9
	v_mul_f32_e32 v4, v6, v4
	global_load_dword v27, v[34:35], off
	v_div_fixup_f32 v5, v5, v10, 1.0
	v_mul_f32_e32 v4, v4, v5
	v_mul_f32_e32 v9, v10, v26
	v_min_f32_e32 v4, 0x7cf0bdc2, v4
	v_div_scale_f32 v36, s[12:13], v9, v9, 1.0
	v_add_u32_e32 v0, s1, v0
	s_waitcnt vmcnt(11)
	v_mul_f32_e32 v5, v40, v4
	global_load_dword v4, v[14:15], off
	v_lshlrev_b64 v[14:15], 2, v[0:1]
	v_rcp_f32_e32 v37, v36
	v_lshl_add_u64 v[16:17], s[6:7], 0, v[14:15]
	global_load_dword v38, v[16:17], off
	v_lshl_add_u64 v[16:17], s[8:9], 0, v[18:19]
	global_store_dword v[16:17], v5, off
	v_fma_f32 v16, -v36, v37, 1.0
	v_fmac_f32_e32 v37, v16, v37
	v_div_scale_f32 v16, vcc, 1.0, v9, 1.0
	v_mul_f32_e32 v17, v16, v37
	v_fma_f32 v18, -v36, v17, v16
	v_fmac_f32_e32 v17, v18, v37
	v_fma_f32 v16, -v36, v17, v16
	v_div_fmas_f32 v16, v16, v37, v17
	v_div_fixup_f32 v9, v16, v9, 1.0
	v_lshl_add_u64 v[16:17], s[8:9], 0, v[20:21]
	v_mul_f32_e32 v5, v24, v11
	v_mul_f32_e32 v5, v5, v9
	v_min_f32_e32 v5, 0x7cf0bdc2, v5
	v_add_u32_e32 v0, s2, v0
	s_mul_i32 s1, s2, 0xffffffe8
	v_lshl_add_u64 v[14:15], s[8:9], 0, v[14:15]
	s_waitcnt vmcnt(11)
	v_mul_f32_e32 v9, v41, v5
	global_load_dword v5, v[2:3], off
	s_waitcnt vmcnt(11)
	v_div_scale_f32 v20, s[12:13], v42, v42, 1.0
	v_rcp_f32_e32 v21, v20
	global_store_dword v[16:17], v9, off
	v_div_scale_f32 v17, vcc, 1.0, v42, 1.0
	v_fma_f32 v2, -v20, v21, 1.0
	v_fmac_f32_e32 v21, v2, v21
	v_lshlrev_b64 v[2:3], 2, v[0:1]
	v_lshl_add_u64 v[18:19], s[6:7], 0, v[2:3]
	global_load_dword v40, v[18:19], off
	v_mul_f32_e32 v36, v17, v21
	v_fma_f32 v18, -v20, v36, v17
	v_fmac_f32_e32 v36, v18, v21
	v_fma_f32 v17, -v20, v36, v17
	v_add_u32_e32 v0, s1, v0
	v_lshl_add_u64 v[18:19], v[0:1], 2, s[10:11]
	v_div_fmas_f32 v17, v17, v21, v36
	v_mad_u64_u32 v[20:21], s[12:13], s2, 25, v[0:1]
	global_load_dword v44, v[18:19], off
	v_mov_b32_e32 v21, v1
	s_mul_i32 s1, s2, 0xffffffee
	v_lshl_add_u64 v[18:19], s[8:9], 0, v[28:29]
	v_lshlrev_b64 v[28:29], 2, v[20:21]
	v_add_u32_e32 v0, s1, v20
	v_lshl_add_u64 v[36:37], s[6:7], 0, v[28:29]
	v_lshl_add_u64 v[20:21], v[0:1], 2, s[10:11]
	global_load_dword v45, v[36:37], off
	global_load_dword v46, v[20:21], off
	s_waitcnt vmcnt(15)
	v_mul_f32_e32 v16, v11, v43
	v_mul_f32_e32 v9, v6, v16
	v_div_fixup_f32 v17, v17, v42, 1.0
	v_mul_f32_e32 v9, v9, v17
	v_min_f32_e32 v9, 0x7cf0bdc2, v9
	s_waitcnt vmcnt(13)
	v_mul_f32_e32 v9, v13, v9
	v_mul_f32_e32 v13, v22, v10
	v_div_scale_f32 v39, s[12:13], v13, v13, 1.0
	v_rcp_f32_e32 v41, v39
	global_store_dword v[18:19], v9, off
	global_load_dword v9, v[34:35], off
	v_add_u32_e32 v0, s4, v0
	v_fma_f32 v19, -v39, v41, 1.0
	v_fmac_f32_e32 v41, v19, v41
	v_div_scale_f32 v19, vcc, 1.0, v13, 1.0
	v_mul_f32_e32 v34, v19, v41
	v_fma_f32 v35, -v39, v34, v19
	v_fmac_f32_e32 v34, v35, v41
	v_fma_f32 v19, -v39, v34, v19
	v_div_fmas_f32 v19, v19, v41, v34
	s_waitcnt vmcnt(11)
	v_mul_f32_e32 v18, v11, v27
	v_div_fixup_f32 v13, v19, v13, 1.0
	v_mul_f32_e32 v13, v13, v18
	v_lshlrev_b64 v[18:19], 2, v[0:1]
	v_lshl_add_u64 v[34:35], s[6:7], 0, v[18:19]
	s_mul_i32 s1, s2, 0xffffffe7
	global_load_dword v41, v[34:35], off
	v_mul_f32_e32 v36, v24, v10
	v_add_u32_e32 v0, s1, v0
	v_min_f32_e32 v13, 0x7cf0bdc2, v13
	v_div_scale_f32 v37, s[12:13], v36, v36, 1.0
	v_lshl_add_u64 v[34:35], v[0:1], 2, s[10:11]
	s_waitcnt vmcnt(10)
	v_mul_f32_e32 v13, v38, v13
	v_rcp_f32_e32 v38, v37
	global_load_dword v47, v[34:35], off
	v_lshl_add_u64 v[2:3], s[8:9], 0, v[2:3]
	global_store_dword v[14:15], v13, off
	v_fma_f32 v14, -v37, v38, 1.0
	v_fmac_f32_e32 v38, v14, v38
	v_div_scale_f32 v14, vcc, 1.0, v36, 1.0
	v_mul_f32_e32 v15, v14, v38
	v_mul_f32_e32 v13, v25, v11
	v_fma_f32 v25, -v37, v15, v14
	v_fmac_f32_e32 v15, v25, v38
	v_fma_f32 v14, -v37, v15, v14
	v_div_fmas_f32 v14, v14, v38, v15
	v_div_fixup_f32 v25, v14, v36, 1.0
	v_mad_u64_u32 v[14:15], s[4:5], s2, 26, v[0:1]
	v_mov_b32_e32 v15, v1
	v_mul_f32_e32 v0, v13, v25
	v_mul_f32_e32 v13, v11, v26
	v_lshlrev_b64 v[36:37], 2, v[14:15]
	v_div_scale_f32 v15, s[4:5], v13, v13, 1.0
	v_rcp_f32_e32 v25, v15
	v_lshl_add_u64 v[38:39], s[6:7], 0, v[36:37]
	global_load_dword v38, v[38:39], off
	v_min_f32_e32 v0, 0x7cf0bdc2, v0
	s_waitcnt vmcnt(9)
	v_mul_f32_e32 v0, v0, v40
	global_store_dword v[2:3], v0, off
	v_fma_f32 v0, -v15, v25, 1.0
	v_fmac_f32_e32 v25, v0, v25
	v_div_scale_f32 v0, vcc, 1.0, v13, 1.0
	v_mul_f32_e32 v2, v0, v25
	v_fma_f32 v3, -v15, v2, v0
	v_fmac_f32_e32 v2, v3, v25
	v_fma_f32 v0, -v15, v2, v0
	v_div_fmas_f32 v0, v0, v25, v2
	s_waitcnt vmcnt(9)
	v_mul_f32_e32 v39, v22, v44
	v_div_fixup_f32 v13, v0, v13, 1.0
	v_add_u32_e32 v0, s2, v14
	v_lshlrev_b64 v[2:3], 2, v[0:1]
	v_mul_f32_e32 v13, v13, v39
	v_lshl_add_u64 v[14:15], s[6:7], 0, v[2:3]
	v_min_f32_e32 v13, 0x7cf0bdc2, v13
	global_load_dword v40, v[14:15], off
	s_waitcnt vmcnt(9)
	v_mul_f32_e32 v14, v45, v13
	s_waitcnt vmcnt(8)
	v_mul_f32_e32 v45, v26, v46
	v_div_scale_f32 v25, s[4:5], v45, v45, 1.0
	v_rcp_f32_e32 v39, v25
	global_load_dword v15, v[20:21], off
	global_load_dword v13, v[20:21], off
	v_lshl_add_u64 v[20:21], s[8:9], 0, v[28:29]
	global_store_dword v[20:21], v14, off
	v_fma_f32 v20, -v25, v39, 1.0
	v_fmac_f32_e32 v39, v20, v39
	v_div_scale_f32 v20, vcc, 1.0, v45, 1.0
	v_mul_f32_e32 v21, v20, v39
	v_mul_f32_e32 v14, v24, v44
	v_fma_f32 v24, -v25, v21, v20
	v_fmac_f32_e32 v21, v24, v39
	v_fma_f32 v20, -v25, v21, v20
	v_div_fmas_f32 v20, v20, v39, v21
	v_div_fixup_f32 v20, v20, v45, 1.0
	v_add_u32_e32 v0, s2, v0
	v_mul_f32_e32 v14, v14, v20
	v_lshlrev_b64 v[20:21], 2, v[0:1]
	v_lshl_add_u64 v[24:25], s[6:7], 0, v[20:21]
	v_add_u32_e32 v0, s0, v0
	global_load_dword v28, v[24:25], off
	v_lshl_add_u64 v[24:25], v[0:1], 2, s[10:11]
	global_load_dword v29, v[24:25], off
	v_min_f32_e32 v14, 0x7cf0bdc2, v14
	s_waitcnt vmcnt(10)
	v_mul_f32_e32 v24, v41, v14
	global_load_dword v14, v[34:35], off
	v_lshl_add_u64 v[18:19], s[8:9], 0, v[18:19]
	global_store_dword v[18:19], v24, off
	v_mul_f32_e32 v18, v43, v44
	v_add_u32_e32 v0, s3, v0
	v_mul_f32_e32 v23, v23, v44
	s_waitcnt vmcnt(11)
	v_mul_f32_e32 v25, v26, v47
	v_div_scale_f32 v34, s[0:1], v25, v25, 1.0
	v_rcp_f32_e32 v35, v34
	v_mul_f32_e32 v26, v26, v42
	v_lshl_add_u64 v[2:3], s[8:9], 0, v[2:3]
	v_mul_f32_e32 v10, v10, v44
	v_fma_f32 v19, -v34, v35, 1.0
	v_fmac_f32_e32 v35, v19, v35
	v_div_scale_f32 v19, vcc, 1.0, v25, 1.0
	v_mul_f32_e32 v24, v19, v35
	v_fma_f32 v39, -v34, v24, v19
	v_fmac_f32_e32 v24, v39, v35
	v_fma_f32 v19, -v34, v24, v19
	v_div_fmas_f32 v19, v19, v35, v24
	v_div_scale_f32 v34, s[0:1], v26, v26, 1.0
	v_div_fixup_f32 v19, v19, v25, 1.0
	v_rcp_f32_e32 v35, v34
	v_mul_f32_e32 v18, v18, v19
	v_min_f32_e32 v18, 0x7cf0bdc2, v18
	v_mul_f32_e32 v12, v4, v12
	v_mul_f32_e32 v8, v8, v7
	s_waitcnt vmcnt(9)
	v_mul_f32_e32 v24, v38, v18
	v_lshl_add_u64 v[18:19], s[8:9], 0, v[36:37]
	global_store_dword v[18:19], v24, off
	v_fma_f32 v18, -v34, v35, 1.0
	v_fmac_f32_e32 v35, v18, v35
	v_lshlrev_b64 v[18:19], 2, v[0:1]
	v_div_scale_f32 v36, vcc, 1.0, v26, 1.0
	v_lshl_add_u64 v[24:25], s[6:7], 0, v[18:19]
	global_load_dword v42, v[24:25], off
	v_mul_f32_e32 v24, v36, v35
	v_fma_f32 v25, -v34, v24, v36
	v_fmac_f32_e32 v24, v25, v35
	v_fma_f32 v25, -v34, v24, v36
	v_div_fmas_f32 v24, v25, v35, v24
	v_div_fixup_f32 v24, v24, v26, 1.0
	v_mul_f32_e32 v23, v24, v23
	v_min_f32_e32 v23, 0x7cf0bdc2, v23
	v_mul_f32_e32 v26, v27, v44
	v_mul_f32_e32 v27, v22, v46
	s_waitcnt vmcnt(9)
	v_mul_f32_e32 v23, v23, v40
	v_add_u32_e32 v0, s2, v0
	global_store_dword v[2:3], v23, off
	v_div_scale_f32 v34, s[0:1], v27, v27, 1.0
	v_lshlrev_b64 v[22:23], 2, v[0:1]
	v_rcp_f32_e32 v35, v34
	v_lshl_add_u64 v[2:3], s[6:7], 0, v[22:23]
	global_load_dword v43, v[2:3], off
	v_add_u32_e32 v0, s2, v0
	v_fma_f32 v2, -v34, v35, 1.0
	v_fmac_f32_e32 v35, v2, v35
	v_div_scale_f32 v36, vcc, 1.0, v27, 1.0
	v_lshlrev_b64 v[24:25], 2, v[0:1]
	v_mul_f32_e32 v37, v36, v35
	v_lshl_add_u64 v[2:3], s[6:7], 0, v[24:25]
	global_load_dword v47, v[2:3], off
	v_fma_f32 v2, -v34, v37, v36
	v_fmac_f32_e32 v37, v2, v35
	v_fma_f32 v2, -v34, v37, v36
	v_div_fmas_f32 v2, v2, v35, v37
	v_div_fixup_f32 v2, v2, v27, 1.0
	v_mul_f32_e32 v2, v26, v2
	v_min_f32_e32 v2, 0x7cf0bdc2, v2
	v_add_u32_e32 v0, s2, v0
	s_waitcnt vmcnt(8)
	v_mul_f32_e32 v28, v2, v28
	v_lshl_add_u64 v[2:3], s[8:9], 0, v[20:21]
	v_lshlrev_b64 v[20:21], 2, v[0:1]
	s_waitcnt vmcnt(7)
	v_div_scale_f32 v34, s[0:1], v29, v29, 1.0
	v_lshl_add_u64 v[26:27], s[6:7], 0, v[20:21]
	global_load_dword v48, v[26:27], off
	v_rcp_f32_e32 v26, v34
	global_store_dword v[2:3], v28, off
	v_mul_f32_e32 v2, v11, v44
	v_mul_f32_e32 v2, v6, v2
	v_fma_f32 v3, -v34, v26, 1.0
	v_fmac_f32_e32 v26, v3, v26
	v_div_scale_f32 v3, vcc, 1.0, v29, 1.0
	v_mul_f32_e32 v27, v3, v26
	v_fma_f32 v28, -v34, v27, v3
	v_fmac_f32_e32 v27, v28, v26
	v_fma_f32 v3, -v34, v27, v3
	v_div_fmas_f32 v3, v3, v26, v27
	v_div_fixup_f32 v3, v3, v29, 1.0
	v_add_u32_e32 v0, s2, v0
	v_mul_f32_e32 v2, v2, v3
	v_lshlrev_b64 v[26:27], 2, v[0:1]
	v_min_f32_e32 v49, 0x7cf0bdc2, v2
	v_lshl_add_u64 v[2:3], s[6:7], 0, v[26:27]
	global_load_dword v50, v[2:3], off
	v_add_u32_e32 v0, s2, v0
	v_lshlrev_b64 v[28:29], 2, v[0:1]
	v_add_u32_e32 v0, s2, v0
	v_lshlrev_b64 v[36:37], 2, v[0:1]
	v_add_u32_e32 v0, s2, v0
	v_lshl_add_u64 v[34:35], s[6:7], 0, v[28:29]
	v_lshlrev_b64 v[2:3], 2, v[0:1]
	v_lshl_add_u64 v[38:39], s[6:7], 0, v[36:37]
	v_lshl_add_u64 v[40:41], s[6:7], 0, v[2:3]
	global_load_dword v51, v[34:35], off
	global_load_dword v52, v[38:39], off
	;; [unrolled: 1-line block ×3, first 2 shown]
	v_mul_f32_e32 v11, v11, v46
	v_div_scale_f32 v35, s[0:1], v11, v11, 1.0
	v_rcp_f32_e32 v38, v35
	v_lshl_add_u64 v[18:19], s[8:9], 0, v[18:19]
	v_add_u32_e32 v0, s2, v0
	s_waitcnt vmcnt(9)
	v_mul_f32_e32 v34, v42, v49
	global_store_dword v[18:19], v34, off
	v_fma_f32 v18, -v35, v38, 1.0
	v_fmac_f32_e32 v38, v18, v38
	v_div_scale_f32 v18, vcc, 1.0, v11, 1.0
	v_mul_f32_e32 v19, v18, v38
	v_fma_f32 v34, -v35, v19, v18
	v_fmac_f32_e32 v19, v34, v38
	v_fma_f32 v18, -v35, v19, v18
	v_div_fmas_f32 v18, v18, v38, v19
	v_div_fixup_f32 v11, v18, v11, 1.0
	v_mul_f32_e32 v10, v10, v11
	v_min_f32_e32 v10, 0x7cf0bdc2, v10
	v_lshl_add_u64 v[2:3], s[8:9], 0, v[2:3]
	s_waitcnt vmcnt(8)
	v_mul_f32_e32 v18, v10, v43
	v_lshl_add_u64 v[10:11], s[8:9], 0, v[22:23]
	global_store_dword v[10:11], v18, off
	v_mul_f32_e32 v10, v6, v45
	v_mul_f32_e32 v10, v17, v10
	v_div_scale_f32 v17, s[0:1], v16, v16, 1.0
	v_rcp_f32_e32 v18, v17
	v_min_f32_e32 v10, 0x7cf0bdc2, v10
	s_waitcnt vmcnt(8)
	v_mul_f32_e32 v19, v10, v47
	v_lshl_add_u64 v[10:11], s[8:9], 0, v[24:25]
	global_store_dword v[10:11], v19, off
	v_fma_f32 v10, -v17, v18, 1.0
	v_fmac_f32_e32 v18, v10, v18
	v_div_scale_f32 v10, vcc, 1.0, v16, 1.0
	v_mul_f32_e32 v11, v10, v18
	v_fma_f32 v19, -v17, v11, v10
	v_fmac_f32_e32 v11, v19, v18
	v_fma_f32 v10, -v17, v11, v10
	v_mul_f32_e32 v17, v33, v7
	v_div_fmas_f32 v10, v10, v18, v11
	v_div_scale_f32 v18, s[0:1], v17, v17, 1.0
	v_div_fixup_f32 v10, v10, v16, 1.0
	v_rcp_f32_e32 v19, v18
	v_mul_f32_e32 v10, v10, v45
	v_min_f32_e32 v10, 0x7cf0bdc2, v10
	s_waitcnt vmcnt(8)
	v_mul_f32_e32 v16, v10, v48
	v_lshl_add_u64 v[10:11], s[8:9], 0, v[20:21]
	global_store_dword v[10:11], v16, off
	v_fma_f32 v10, -v18, v19, 1.0
	v_fmac_f32_e32 v19, v10, v19
	v_div_scale_f32 v10, vcc, 1.0, v17, 1.0
	v_mul_f32_e32 v11, v10, v19
	v_fma_f32 v20, -v18, v11, v10
	v_fmac_f32_e32 v11, v20, v19
	v_fma_f32 v10, -v18, v11, v10
	v_div_fmas_f32 v10, v10, v19, v11
	v_div_fixup_f32 v10, v10, v17, 1.0
	v_div_scale_f32 v17, s[0:1], v12, v12, 1.0
	v_mul_f32_e32 v16, v30, v15
	v_rcp_f32_e32 v18, v17
	v_mul_f32_e32 v10, v16, v10
	v_min_f32_e32 v10, 0x7cf0bdc2, v10
	s_waitcnt vmcnt(7)
	v_mul_f32_e32 v19, v50, v10
	v_lshl_add_u64 v[10:11], s[8:9], 0, v[26:27]
	global_store_dword v[10:11], v19, off
	v_fma_f32 v10, -v17, v18, 1.0
	v_fmac_f32_e32 v18, v10, v18
	v_div_scale_f32 v10, vcc, 1.0, v12, 1.0
	v_mul_f32_e32 v11, v10, v18
	v_fma_f32 v19, -v17, v11, v10
	v_fmac_f32_e32 v11, v19, v18
	v_fma_f32 v10, -v17, v11, v10
	v_div_fmas_f32 v10, v10, v18, v11
	v_div_fixup_f32 v10, v10, v12, 1.0
	v_mul_f32_e32 v10, v16, v10
	v_min_f32_e32 v10, 0x7cf0bdc2, v10
	s_waitcnt vmcnt(7)
	v_mul_f32_e32 v12, v51, v10
	v_lshlrev_b64 v[10:11], 2, v[0:1]
	s_mul_i32 s0, s2, 0xffffffdd
	v_lshl_add_u64 v[16:17], s[6:7], 0, v[10:11]
	v_add_u32_e32 v0, s0, v0
	global_load_dword v22, v[16:17], off
	v_lshl_add_u64 v[16:17], v[0:1], 2, s[10:11]
	global_load_dword v23, v[16:17], off
	v_div_scale_f32 v24, s[0:1], v8, v8, 1.0
	v_rcp_f32_e32 v25, v24
	v_lshl_add_u64 v[16:17], s[8:9], 0, v[28:29]
	global_store_dword v[16:17], v12, off
	v_div_scale_f32 v26, vcc, 1.0, v8, 1.0
	v_fma_f32 v16, -v24, v25, 1.0
	v_fmac_f32_e32 v25, v16, v25
	v_mad_u64_u32 v[16:17], s[0:1], s2, 36, v[0:1]
	v_mov_b32_e32 v17, v1
	v_lshlrev_b64 v[18:19], 2, v[16:17]
	v_mul_f32_e32 v27, v26, v25
	v_lshl_add_u64 v[20:21], s[6:7], 0, v[18:19]
	global_load_dword v28, v[20:21], off
	v_fma_f32 v0, -v24, v27, v26
	v_fmac_f32_e32 v27, v0, v25
	v_fma_f32 v0, -v24, v27, v26
	v_div_fmas_f32 v0, v0, v25, v27
	v_mul_f32_e32 v12, v33, v15
	v_div_fixup_f32 v0, v0, v8, 1.0
	v_mul_f32_e32 v0, v12, v0
	v_min_f32_e32 v0, 0x7cf0bdc2, v0
	s_waitcnt vmcnt(10)
	v_mul_f32_e32 v0, v52, v0
	v_lshl_add_u64 v[20:21], s[8:9], 0, v[36:37]
	global_store_dword v[20:21], v0, off
	v_add_u32_e32 v0, s2, v16
	v_mul_f32_e32 v8, v4, v7
	v_lshlrev_b64 v[16:17], 2, v[0:1]
	v_div_scale_f32 v12, s[0:1], v8, v8, 1.0
	v_lshl_add_u64 v[20:21], s[6:7], 0, v[16:17]
	v_rcp_f32_e32 v24, v12
	global_load_dword v27, v[20:21], off
	v_div_scale_f32 v20, vcc, 1.0, v8, 1.0
	v_fma_f32 v26, -v12, v24, 1.0
	v_fmac_f32_e32 v24, v26, v24
	v_mul_f32_e32 v21, v20, v24
	v_fma_f32 v26, -v12, v21, v20
	v_fmac_f32_e32 v21, v26, v24
	v_add_u32_e32 v0, s2, v0
	v_fma_f32 v12, -v12, v21, v20
	v_lshlrev_b64 v[0:1], 2, v[0:1]
	v_div_fmas_f32 v12, v12, v24, v21
	v_lshl_add_u64 v[20:21], s[6:7], 0, v[0:1]
	global_load_dword v20, v[20:21], off
	v_mul_f32_e32 v7, v31, v7
	v_div_fixup_f32 v8, v12, v8, 1.0
	v_div_scale_f32 v12, s[0:1], v7, v7, 1.0
	v_mul_f32_e32 v25, v6, v15
	v_rcp_f32_e32 v24, v12
	v_mul_f32_e32 v8, v25, v8
	v_min_f32_e32 v8, 0x7cf0bdc2, v8
	s_waitcnt vmcnt(12)
	v_mul_f32_e32 v8, v53, v8
	global_store_dword v[2:3], v8, off
	v_fma_f32 v3, -v12, v24, 1.0
	v_fmac_f32_e32 v24, v3, v24
	v_div_scale_f32 v3, vcc, 1.0, v7, 1.0
	v_mul_f32_e32 v8, v3, v24
	v_mul_f32_e32 v2, v9, v15
	v_fma_f32 v9, -v12, v8, v3
	v_fmac_f32_e32 v8, v9, v24
	v_fma_f32 v3, -v12, v8, v3
	v_div_fmas_f32 v3, v3, v24, v8
	v_div_fixup_f32 v3, v3, v7, 1.0
	v_mul_f32_e32 v2, v2, v3
	v_min_f32_e32 v2, 0x7cf0bdc2, v2
	v_lshl_add_u64 v[0:1], s[8:9], 0, v[0:1]
	s_waitcnt vmcnt(7)
	v_mul_f32_e32 v7, v22, v2
	v_lshl_add_u64 v[2:3], s[8:9], 0, v[10:11]
	s_waitcnt vmcnt(6)
	v_div_scale_f32 v8, s[0:1], v23, v23, 1.0
	v_rcp_f32_e32 v9, v8
	global_store_dword v[2:3], v7, off
	v_mul_f32_e32 v2, v4, v14
	v_mul_f32_e32 v2, v6, v2
	v_fma_f32 v3, -v8, v9, 1.0
	v_fmac_f32_e32 v9, v3, v9
	v_div_scale_f32 v3, vcc, 1.0, v23, 1.0
	v_mul_f32_e32 v6, v3, v9
	v_fma_f32 v7, -v8, v6, v3
	v_fmac_f32_e32 v6, v7, v9
	v_fma_f32 v3, -v8, v6, v3
	v_mul_f32_e32 v7, v4, v23
	v_div_fmas_f32 v3, v3, v9, v6
	v_div_scale_f32 v8, s[0:1], v7, v7, 1.0
	v_div_fixup_f32 v3, v3, v23, 1.0
	v_rcp_f32_e32 v9, v8
	v_mul_f32_e32 v2, v2, v3
	v_min_f32_e32 v2, 0x7cf0bdc2, v2
	s_waitcnt vmcnt(5)
	v_mul_f32_e32 v6, v28, v2
	v_lshl_add_u64 v[2:3], s[8:9], 0, v[18:19]
	global_store_dword v[2:3], v6, off
	v_fma_f32 v3, -v8, v9, 1.0
	v_fmac_f32_e32 v9, v3, v9
	v_div_scale_f32 v3, vcc, 1.0, v7, 1.0
	v_mul_f32_e32 v2, v5, v14
	v_mul_f32_e32 v5, v3, v9
	v_fma_f32 v6, -v8, v5, v3
	v_fmac_f32_e32 v5, v6, v9
	v_fma_f32 v3, -v8, v5, v3
	v_mul_f32_e32 v4, v4, v13
	v_div_fmas_f32 v3, v3, v9, v5
	v_div_scale_f32 v6, s[0:1], v4, v4, 1.0
	v_div_fixup_f32 v3, v3, v7, 1.0
	v_rcp_f32_e32 v7, v6
	v_mul_f32_e32 v2, v2, v3
	v_min_f32_e32 v2, 0x7cf0bdc2, v2
	s_waitcnt vmcnt(4)
	v_mul_f32_e32 v5, v27, v2
	v_lshl_add_u64 v[2:3], s[8:9], 0, v[16:17]
	global_store_dword v[2:3], v5, off
	v_fma_f32 v3, -v6, v7, 1.0
	v_fmac_f32_e32 v7, v3, v7
	v_div_scale_f32 v3, vcc, 1.0, v4, 1.0
	v_mul_f32_e32 v5, v3, v7
	v_fma_f32 v8, -v6, v5, v3
	v_fmac_f32_e32 v5, v8, v7
	v_fma_f32 v3, -v6, v5, v3
	v_div_fmas_f32 v3, v3, v7, v5
	v_mul_f32_e32 v2, v32, v14
	v_div_fixup_f32 v3, v3, v4, 1.0
	v_mul_f32_e32 v2, v2, v3
	v_min_f32_e32 v2, 0x7cf0bdc2, v2
	s_waitcnt vmcnt(4)
	v_mul_f32_e32 v2, v20, v2
	global_store_dword v[0:1], v2, off
	s_endpgm
	.section	.rodata,"a",@progbits
	.p2align	6, 0x0
	.amdhsa_kernel _Z12ratt3_kernelIfEvPKT_S2_PS0_S2_S0_
		.amdhsa_group_segment_fixed_size 0
		.amdhsa_private_segment_fixed_size 0
		.amdhsa_kernarg_size 296
		.amdhsa_user_sgpr_count 2
		.amdhsa_user_sgpr_dispatch_ptr 0
		.amdhsa_user_sgpr_queue_ptr 0
		.amdhsa_user_sgpr_kernarg_segment_ptr 1
		.amdhsa_user_sgpr_dispatch_id 0
		.amdhsa_user_sgpr_kernarg_preload_length 0
		.amdhsa_user_sgpr_kernarg_preload_offset 0
		.amdhsa_user_sgpr_private_segment_size 0
		.amdhsa_uses_dynamic_stack 0
		.amdhsa_enable_private_segment 0
		.amdhsa_system_sgpr_workgroup_id_x 1
		.amdhsa_system_sgpr_workgroup_id_y 0
		.amdhsa_system_sgpr_workgroup_id_z 0
		.amdhsa_system_sgpr_workgroup_info 0
		.amdhsa_system_vgpr_workitem_id 0
		.amdhsa_next_free_vgpr 54
		.amdhsa_next_free_sgpr 14
		.amdhsa_accum_offset 56
		.amdhsa_reserve_vcc 1
		.amdhsa_float_round_mode_32 0
		.amdhsa_float_round_mode_16_64 0
		.amdhsa_float_denorm_mode_32 3
		.amdhsa_float_denorm_mode_16_64 3
		.amdhsa_dx10_clamp 1
		.amdhsa_ieee_mode 1
		.amdhsa_fp16_overflow 0
		.amdhsa_tg_split 0
		.amdhsa_exception_fp_ieee_invalid_op 0
		.amdhsa_exception_fp_denorm_src 0
		.amdhsa_exception_fp_ieee_div_zero 0
		.amdhsa_exception_fp_ieee_overflow 0
		.amdhsa_exception_fp_ieee_underflow 0
		.amdhsa_exception_fp_ieee_inexact 0
		.amdhsa_exception_int_div_zero 0
	.end_amdhsa_kernel
	.section	.text._Z12ratt3_kernelIfEvPKT_S2_PS0_S2_S0_,"axG",@progbits,_Z12ratt3_kernelIfEvPKT_S2_PS0_S2_S0_,comdat
.Lfunc_end4:
	.size	_Z12ratt3_kernelIfEvPKT_S2_PS0_S2_S0_, .Lfunc_end4-_Z12ratt3_kernelIfEvPKT_S2_PS0_S2_S0_
                                        ; -- End function
	.set _Z12ratt3_kernelIfEvPKT_S2_PS0_S2_S0_.num_vgpr, 54
	.set _Z12ratt3_kernelIfEvPKT_S2_PS0_S2_S0_.num_agpr, 0
	.set _Z12ratt3_kernelIfEvPKT_S2_PS0_S2_S0_.numbered_sgpr, 14
	.set _Z12ratt3_kernelIfEvPKT_S2_PS0_S2_S0_.num_named_barrier, 0
	.set _Z12ratt3_kernelIfEvPKT_S2_PS0_S2_S0_.private_seg_size, 0
	.set _Z12ratt3_kernelIfEvPKT_S2_PS0_S2_S0_.uses_vcc, 1
	.set _Z12ratt3_kernelIfEvPKT_S2_PS0_S2_S0_.uses_flat_scratch, 0
	.set _Z12ratt3_kernelIfEvPKT_S2_PS0_S2_S0_.has_dyn_sized_stack, 0
	.set _Z12ratt3_kernelIfEvPKT_S2_PS0_S2_S0_.has_recursion, 0
	.set _Z12ratt3_kernelIfEvPKT_S2_PS0_S2_S0_.has_indirect_call, 0
	.section	.AMDGPU.csdata,"",@progbits
; Kernel info:
; codeLenInByte = 4216
; TotalNumSgprs: 20
; NumVgprs: 54
; NumAgprs: 0
; TotalNumVgprs: 54
; ScratchSize: 0
; MemoryBound: 0
; FloatMode: 240
; IeeeMode: 1
; LDSByteSize: 0 bytes/workgroup (compile time only)
; SGPRBlocks: 2
; VGPRBlocks: 6
; NumSGPRsForWavesPerEU: 20
; NumVGPRsForWavesPerEU: 54
; AccumOffset: 56
; Occupancy: 8
; WaveLimiterHint : 0
; COMPUTE_PGM_RSRC2:SCRATCH_EN: 0
; COMPUTE_PGM_RSRC2:USER_SGPR: 2
; COMPUTE_PGM_RSRC2:TRAP_HANDLER: 0
; COMPUTE_PGM_RSRC2:TGID_X_EN: 1
; COMPUTE_PGM_RSRC2:TGID_Y_EN: 0
; COMPUTE_PGM_RSRC2:TGID_Z_EN: 0
; COMPUTE_PGM_RSRC2:TIDIG_COMP_CNT: 0
; COMPUTE_PGM_RSRC3_GFX90A:ACCUM_OFFSET: 13
; COMPUTE_PGM_RSRC3_GFX90A:TG_SPLIT: 0
	.section	.text._Z12ratt4_kernelIfEvPKT_S2_PS0_S2_S0_,"axG",@progbits,_Z12ratt4_kernelIfEvPKT_S2_PS0_S2_S0_,comdat
	.protected	_Z12ratt4_kernelIfEvPKT_S2_PS0_S2_S0_ ; -- Begin function _Z12ratt4_kernelIfEvPKT_S2_PS0_S2_S0_
	.globl	_Z12ratt4_kernelIfEvPKT_S2_PS0_S2_S0_
	.p2align	8
	.type	_Z12ratt4_kernelIfEvPKT_S2_PS0_S2_S0_,@function
_Z12ratt4_kernelIfEvPKT_S2_PS0_S2_S0_:  ; @_Z12ratt4_kernelIfEvPKT_S2_PS0_S2_S0_
; %bb.0:
	s_load_dword s3, s[0:1], 0x34
	s_load_dword s12, s[0:1], 0x28
	s_load_dwordx8 s[4:11], s[0:1], 0x0
	v_mov_b32_e32 v1, 0
	v_mov_b32_e32 v7, v1
	s_waitcnt lgkmcnt(0)
	s_and_b32 s3, s3, 0xffff
	s_mul_i32 s2, s2, s3
	v_add_u32_e32 v0, s2, v0
	v_lshlrev_b64 v[2:3], 2, v[0:1]
	s_mul_i32 s2, s12, s3
	v_lshl_add_u64 v[4:5], s[4:5], 0, v[2:3]
	s_mul_i32 s4, s2, 3
	v_add_u32_e32 v6, s4, v0
	global_load_dword v29, v[4:5], off
	v_mad_u64_u32 v[8:9], s[12:13], s2, 6, v[6:7]
	v_mov_b32_e32 v9, v1
	v_mad_u64_u32 v[10:11], s[12:13], s2, -5, v[8:9]
	v_mov_b32_e32 v11, v1
	v_mad_u64_u32 v[12:13], s[12:13], s2, 11, v[10:11]
	v_lshl_add_u64 v[4:5], v[6:7], 2, s[10:11]
	v_mov_b32_e32 v13, v1
	v_lshl_add_u64 v[6:7], v[8:9], 2, s[10:11]
	v_lshl_add_u64 v[8:9], v[10:11], 2, s[10:11]
	;; [unrolled: 1-line block ×3, first 2 shown]
	global_load_dword v24, v[4:5], off
	global_load_dword v28, v[6:7], off
	;; [unrolled: 1-line block ×4, first 2 shown]
	v_add_u32_e32 v0, s2, v0
	v_mad_u64_u32 v[18:19], s[12:13], s2, 13, v[0:1]
	v_lshl_add_u64 v[14:15], v[0:1], 2, s[10:11]
	v_mov_b32_e32 v19, v1
	v_lshl_add_u64 v[16:17], v[18:19], 2, s[10:11]
	global_load_dword v26, v[14:15], off
	global_load_dword v30, v[16:17], off
	v_mad_u64_u32 v[12:13], s[12:13], s2, 35, v[12:13]
	v_mov_b32_e32 v13, v1
	v_lshlrev_b64 v[12:13], 2, v[12:13]
	v_lshl_add_u64 v[20:21], s[6:7], 0, v[12:13]
	global_load_dword v31, v[20:21], off
	v_mad_u64_u32 v[18:19], s[12:13], s2, 37, v[18:19]
	s_load_dword s0, s[0:1], 0x20
	s_mul_i32 s1, s2, 0xffffffdd
	v_mov_b32_e32 v19, v1
	v_add_u32_e32 v0, s1, v18
	v_lshlrev_b64 v[18:19], 2, v[18:19]
	global_load_dword v33, v[16:17], off
	global_load_dword v35, v[14:15], off
	v_lshl_add_u64 v[14:15], s[6:7], 0, v[18:19]
	global_load_dword v41, v[14:15], off
	v_lshl_add_u64 v[20:21], v[0:1], 2, s[10:11]
	s_mul_i32 s3, s2, 0xffffffd1
	v_mad_u64_u32 v[14:15], s[12:13], s2, 36, v[0:1]
	global_load_dword v39, v[20:21], off
	v_mov_b32_e32 v15, v1
	v_add_u32_e32 v0, s3, v14
	v_lshlrev_b64 v[14:15], 2, v[14:15]
	v_lshl_add_u64 v[16:17], v[0:1], 2, s[10:11]
	v_add_u32_e32 v0, s4, v0
	v_lshl_add_u64 v[22:23], s[6:7], 0, v[14:15]
	v_lshl_add_u64 v[42:43], v[0:1], 2, s[10:11]
	global_load_dword v32, v[10:11], off
	global_load_dword v34, v[8:9], off
	;; [unrolled: 1-line block ×7, first 2 shown]
	s_mul_i32 s4, s2, 48
	v_lshl_add_u64 v[14:15], s[8:9], 0, v[14:15]
	s_waitcnt vmcnt(18) lgkmcnt(0)
	v_mul_f32_e32 v4, s0, v29
	v_mul_f32_e32 v4, 0x4c9e9632, v4
	v_div_scale_f32 v5, s[0:1], v4, v4, 1.0
	v_rcp_f32_e32 v6, v5
	v_div_scale_f32 v7, vcc, 1.0, v4, 1.0
	v_fma_f32 v10, -v5, v6, 1.0
	v_fmac_f32_e32 v6, v10, v6
	v_mul_f32_e32 v23, v7, v6
	v_fma_f32 v29, -v5, v23, v7
	v_fmac_f32_e32 v23, v29, v6
	v_fma_f32 v5, -v5, v23, v7
	s_waitcnt vmcnt(14)
	v_mul_f32_e32 v9, v25, v27
	v_div_scale_f32 v11, s[0:1], v9, v9, 1.0
	v_rcp_f32_e32 v10, v11
	v_div_scale_f32 v22, s[0:1], 1.0, v9, 1.0
	v_div_fmas_f32 v5, v5, v6, v23
	v_fma_f32 v7, -v11, v10, 1.0
	v_fmac_f32_e32 v10, v7, v10
	v_div_fixup_f32 v4, v5, v4, 1.0
	v_mul_f32_e32 v5, v22, v10
	v_mul_f32_e32 v6, 0x49776020, v4
	v_fma_f32 v4, -v11, v5, v22
	v_fmac_f32_e32 v5, v4, v10
	v_fma_f32 v4, -v11, v5, v22
	s_mov_b64 vcc, s[0:1]
	v_div_fmas_f32 v4, v4, v10, v5
	s_waitcnt vmcnt(13)
	v_mul_f32_e32 v5, v26, v26
	s_waitcnt vmcnt(12)
	v_mul_f32_e32 v5, v5, v30
	v_mul_f32_e32 v7, v6, v5
	v_div_fixup_f32 v4, v4, v9, 1.0
	v_div_scale_f32 v9, s[0:1], v7, v7, 1.0
	v_mul_f32_e32 v8, v24, v28
	v_rcp_f32_e32 v10, v9
	v_mul_f32_e32 v4, v8, v4
	v_min_f32_e32 v4, 0x7cf0bdc2, v4
	s_waitcnt vmcnt(11)
	v_mul_f32_e32 v11, v31, v4
	v_lshl_add_u64 v[4:5], s[8:9], 0, v[12:13]
	global_store_dword v[4:5], v11, off
	v_fma_f32 v4, -v9, v10, 1.0
	v_fmac_f32_e32 v10, v4, v10
	v_div_scale_f32 v4, vcc, 1.0, v7, 1.0
	v_mul_f32_e32 v5, v4, v10
	v_fma_f32 v11, -v9, v5, v4
	v_fmac_f32_e32 v5, v11, v10
	v_fma_f32 v4, -v9, v5, v4
	v_div_fmas_f32 v4, v4, v10, v5
	v_div_fixup_f32 v4, v4, v7, 1.0
	v_mul_f32_e32 v7, v8, v4
	v_mad_u64_u32 v[8:9], s[0:1], s2, 45, v[0:1]
	v_mov_b32_e32 v9, v1
	v_lshlrev_b64 v[10:11], 2, v[8:9]
	v_lshl_add_u64 v[4:5], s[6:7], 0, v[10:11]
	global_load_dword v29, v[4:5], off
	v_min_f32_e32 v0, 0x7cf0bdc2, v7
	s_waitcnt vmcnt(10)
	v_mul_f32_e32 v5, v41, v0
	v_add_u32_e32 v0, s3, v8
	v_lshl_add_u64 v[8:9], v[0:1], 2, s[10:11]
	global_load_dword v30, v[8:9], off
	v_lshl_add_u64 v[12:13], s[8:9], 0, v[18:19]
	v_add_u32_e32 v0, s4, v0
	global_store_dword v[12:13], v5, off
	v_lshlrev_b64 v[12:13], 2, v[0:1]
	v_lshl_add_u64 v[18:19], s[6:7], 0, v[12:13]
	global_load_dword v42, v[18:19], off
	s_waitcnt vmcnt(12)
	v_mul_f32_e32 v22, v26, v39
	v_div_scale_f32 v23, s[0:1], v22, v22, 1.0
	s_mul_i32 s0, s2, 0xffffffd7
	s_nop 0
	v_add_u32_e32 v0, s0, v0
	v_rcp_f32_e32 v31, v23
	v_mad_u64_u32 v[18:19], s[0:1], s2, 12, v[0:1]
	v_mov_b32_e32 v19, v1
	global_load_dword v4, v[20:21], off
	v_lshl_add_u64 v[20:21], v[18:19], 2, s[10:11]
	global_load_dword v45, v[20:21], off
	v_fma_f32 v5, -v23, v31, 1.0
	v_fmac_f32_e32 v31, v5, v31
	v_div_scale_f32 v5, vcc, 1.0, v22, 1.0
	v_mul_f32_e32 v43, v5, v31
	v_fma_f32 v19, -v23, v43, v5
	v_fmac_f32_e32 v43, v19, v31
	v_lshl_add_u64 v[20:21], v[0:1], 2, s[10:11]
	v_fma_f32 v0, -v23, v43, v5
	v_div_fmas_f32 v0, v0, v31, v43
	v_mul_f32_e32 v41, v28, v25
	v_div_fixup_f32 v31, v0, v22, 1.0
	v_mul_f32_e32 v0, v41, v31
	v_min_f32_e32 v0, 0x7cf0bdc2, v0
	s_waitcnt vmcnt(9)
	v_mul_f32_e32 v43, v44, v0
	s_waitcnt vmcnt(7)
	v_mul_f32_e32 v44, v38, v40
	global_load_dword v5, v[16:17], off
	v_div_scale_f32 v46, s[0:1], v44, v44, 1.0
	v_mad_u64_u32 v[16:17], s[0:1], s2, 30, v[18:19]
	v_rcp_f32_e32 v47, v46
	s_mul_i32 s0, s2, 0xffffffdb
	v_mov_b32_e32 v17, v1
	v_add_u32_e32 v0, s0, v16
	v_lshlrev_b64 v[18:19], 2, v[16:17]
	v_lshl_add_u64 v[16:17], v[0:1], 2, s[10:11]
	global_load_dword v7, v[20:21], off
	global_load_dword v49, v[16:17], off
	v_lshl_add_u64 v[22:23], s[6:7], 0, v[18:19]
	global_store_dword v[14:15], v43, off
	v_fma_f32 v14, -v46, v47, 1.0
	v_fmac_f32_e32 v47, v14, v47
	v_div_scale_f32 v14, vcc, 1.0, v44, 1.0
	v_mul_f32_e32 v15, v14, v47
	v_fma_f32 v16, -v46, v15, v14
	global_load_dword v48, v[22:23], off
	v_fmac_f32_e32 v15, v16, v47
	v_fma_f32 v14, -v46, v15, v14
	v_div_fmas_f32 v14, v14, v47, v15
	v_div_fixup_f32 v14, v14, v44, 1.0
	v_mul_f32_e32 v41, v41, v14
	v_mad_u64_u32 v[14:15], s[0:1], s2, 38, v[0:1]
	v_mov_b32_e32 v15, v1
	v_lshlrev_b64 v[16:17], 2, v[14:15]
	v_lshl_add_u64 v[22:23], s[6:7], 0, v[16:17]
	global_load_dword v43, v[22:23], off
	v_lshl_add_u64 v[22:23], s[10:11], 0, v[2:3]
	v_lshl_add_u64 v[2:3], s[8:9], 0, v[10:11]
	v_mul_f32_e32 v10, v25, v39
	v_div_scale_f32 v11, s[0:1], v10, v10, 1.0
	v_rcp_f32_e32 v15, v11
	global_load_dword v44, v[22:23], off
	v_min_f32_e32 v0, 0x7cf0bdc2, v41
	s_waitcnt vmcnt(12)
	v_mul_f32_e32 v0, v29, v0
	global_store_dword v[2:3], v0, off
	v_fma_f32 v3, -v11, v15, 1.0
	v_fmac_f32_e32 v15, v3, v15
	v_div_scale_f32 v3, vcc, 1.0, v10, 1.0
	global_load_dword v2, v[8:9], off
	v_mul_f32_e32 v8, v3, v15
	v_fma_f32 v9, -v11, v8, v3
	v_fmac_f32_e32 v8, v9, v15
	v_fma_f32 v3, -v11, v8, v3
	v_div_fmas_f32 v3, v3, v15, v8
	s_waitcnt vmcnt(13)
	v_mul_f32_e32 v0, v28, v30
	v_div_fixup_f32 v3, v3, v10, 1.0
	v_mul_f32_e32 v0, v3, v0
	v_min_f32_e32 v0, 0x7cf0bdc2, v0
	s_waitcnt vmcnt(11)
	v_mul_f32_e32 v15, v42, v0
	v_add_u32_e32 v0, s2, v14
	v_lshlrev_b64 v[10:11], 2, v[0:1]
	v_lshl_add_u64 v[8:9], s[6:7], 0, v[10:11]
	global_load_dword v29, v[8:9], off
	v_lshl_add_u64 v[8:9], s[8:9], 0, v[12:13]
	s_waitcnt vmcnt(10)
	v_div_scale_f32 v12, s[0:1], v45, v45, 1.0
	v_rcp_f32_e32 v13, v12
	global_store_dword v[8:9], v15, off
	v_add_u32_e32 v0, s3, v0
	global_load_dword v3, v[20:21], off
	v_fma_f32 v9, -v12, v13, 1.0
	v_fmac_f32_e32 v13, v9, v13
	v_div_scale_f32 v9, vcc, 1.0, v45, 1.0
	v_mul_f32_e32 v14, v9, v13
	v_fma_f32 v15, -v12, v14, v9
	v_fmac_f32_e32 v14, v15, v13
	v_fma_f32 v9, -v12, v14, v9
	v_div_fmas_f32 v9, v9, v13, v14
	v_lshl_add_u64 v[12:13], v[0:1], 2, s[10:11]
	v_add_u32_e32 v0, s4, v0
	v_div_fixup_f32 v30, v9, v45, 1.0
	global_load_dword v9, v[12:13], off
	v_lshlrev_b64 v[14:15], 2, v[0:1]
	v_lshl_add_u64 v[20:21], s[6:7], 0, v[14:15]
	global_load_dword v39, v[20:21], off
	v_lshl_add_u64 v[18:19], s[8:9], 0, v[18:19]
	v_add_u32_e32 v0, s2, v0
	v_lshl_add_u64 v[16:17], s[8:9], 0, v[16:17]
	v_lshl_add_u64 v[10:11], s[8:9], 0, v[10:11]
	v_mul_f32_e32 v27, v27, v26
	s_waitcnt vmcnt(13)
	v_mul_f32_e32 v5, v5, v32
	s_waitcnt vmcnt(12)
	;; [unrolled: 2-line block ×3, first 2 shown]
	v_mul_f32_e32 v20, v26, v49
	v_mul_f32_e32 v8, v6, v8
	v_div_scale_f32 v21, s[0:1], v20, v20, 1.0
	v_mul_f32_e32 v8, v8, v30
	v_rcp_f32_e32 v30, v21
	v_min_f32_e32 v8, 0x7cf0bdc2, v8
	s_waitcnt vmcnt(9)
	v_mul_f32_e32 v8, v48, v8
	global_store_dword v[18:19], v8, off
	v_fma_f32 v18, -v21, v30, 1.0
	v_fmac_f32_e32 v30, v18, v30
	v_div_scale_f32 v18, vcc, 1.0, v20, 1.0
	v_mul_f32_e32 v19, v18, v30
	v_fma_f32 v41, -v21, v19, v18
	v_fmac_f32_e32 v19, v41, v30
	v_fma_f32 v18, -v21, v19, v18
	v_div_fmas_f32 v18, v18, v30, v19
	v_mul_f32_e32 v8, v28, v40
	v_div_fixup_f32 v18, v18, v20, 1.0
	v_mul_f32_e32 v8, v8, v18
	v_min_f32_e32 v8, 0x7cf0bdc2, v8
	s_waitcnt vmcnt(9)
	v_mul_f32_e32 v30, v43, v8
	global_load_dword v8, v[22:23], off
	v_lshlrev_b64 v[18:19], 2, v[0:1]
	s_waitcnt vmcnt(9)
	v_mul_f32_e32 v22, v49, v44
	v_div_scale_f32 v23, s[0:1], v22, v22, 1.0
	v_rcp_f32_e32 v41, v23
	v_lshl_add_u64 v[20:21], s[6:7], 0, v[18:19]
	global_load_dword v42, v[20:21], off
	s_mul_i32 s0, s2, 0xffffffc7
	v_fma_f32 v21, -v23, v41, 1.0
	v_fmac_f32_e32 v41, v21, v41
	v_div_scale_f32 v21, vcc, 1.0, v22, 1.0
	v_mul_f32_e32 v43, v21, v41
	v_fma_f32 v45, -v23, v43, v21
	v_add_u32_e32 v0, s0, v0
	v_fmac_f32_e32 v43, v45, v41
	global_store_dword v[16:17], v30, off
	v_lshl_add_u64 v[16:17], v[0:1], 2, s[10:11]
	v_fma_f32 v21, -v23, v43, v21
	global_load_dword v30, v[16:17], off
	v_div_fmas_f32 v21, v21, v41, v43
	v_mul_f32_e32 v20, v28, v28
	v_div_fixup_f32 v21, v21, v22, 1.0
	v_mul_f32_e32 v20, v20, v21
	v_min_f32_e32 v20, 0x7cf0bdc2, v20
	s_waitcnt vmcnt(9)
	v_mul_f32_e32 v20, v29, v20
	global_store_dword v[10:11], v20, off
	v_mad_u64_u32 v[10:11], s[0:1], s2, 58, v[0:1]
	v_mov_b32_e32 v11, v1
	v_lshlrev_b64 v[20:21], 2, v[10:11]
	v_lshl_add_u64 v[22:23], s[6:7], 0, v[20:21]
	global_load_dword v43, v[22:23], off
	v_div_scale_f32 v29, s[0:1], v28, v28, 1.0
	v_rcp_f32_e32 v41, v29
	global_load_dword v45, v[12:13], off
	s_waitcnt vmcnt(10)
	v_mul_f32_e32 v3, v3, v4
	v_fma_f32 v0, -v29, v41, 1.0
	v_fmac_f32_e32 v41, v0, v41
	v_div_scale_f32 v0, vcc, 1.0, v28, 1.0
	v_mul_f32_e32 v11, v0, v41
	v_fma_f32 v22, -v29, v11, v0
	v_fmac_f32_e32 v11, v22, v41
	v_fma_f32 v0, -v29, v11, v0
	v_div_fmas_f32 v0, v0, v41, v11
	v_div_fixup_f32 v0, v0, v28, 1.0
	s_waitcnt vmcnt(9)
	v_mul_f32_e32 v0, v0, v9
	v_min_f32_e32 v0, 0x7cf0bdc2, v0
	s_waitcnt vmcnt(8)
	v_mul_f32_e32 v28, v39, v0
	v_add_u32_e32 v0, s2, v10
	v_mul_f32_e32 v29, v40, v44
	v_lshlrev_b64 v[12:13], 2, v[0:1]
	v_lshl_add_u64 v[10:11], s[6:7], 0, v[12:13]
	v_div_scale_f32 v40, s[0:1], v29, v29, 1.0
	v_add_u32_e32 v0, s2, v0
	global_load_dword v39, v[10:11], off
	v_lshlrev_b64 v[22:23], 2, v[0:1]
	s_mul_i32 s0, s2, 0xffffffcd
	v_lshl_add_u64 v[10:11], s[6:7], 0, v[22:23]
	v_add_u32_e32 v0, s0, v0
	global_load_dword v41, v[10:11], off
	v_lshl_add_u64 v[10:11], v[0:1], 2, s[10:11]
	global_load_dword v46, v[10:11], off
	v_rcp_f32_e32 v47, v40
	v_lshl_add_u64 v[10:11], s[8:9], 0, v[14:15]
	global_store_dword v[10:11], v28, off
	v_mul_f32_e32 v28, v7, v44
	v_fma_f32 v11, -v40, v47, 1.0
	v_fmac_f32_e32 v47, v11, v47
	v_div_scale_f32 v11, vcc, 1.0, v29, 1.0
	v_mul_f32_e32 v14, v11, v47
	v_fma_f32 v15, -v40, v14, v11
	v_fmac_f32_e32 v14, v15, v47
	v_fma_f32 v11, -v40, v14, v11
	v_div_fmas_f32 v11, v11, v47, v14
	v_div_fixup_f32 v11, v11, v29, 1.0
	v_div_scale_f32 v29, s[0:1], v28, v28, 1.0
	v_mul_f32_e32 v10, v26, v9
	v_rcp_f32_e32 v40, v29
	v_mul_f32_e32 v10, v11, v10
	v_min_f32_e32 v10, 0x7cf0bdc2, v10
	s_waitcnt vmcnt(9)
	v_mul_f32_e32 v14, v42, v10
	v_lshl_add_u64 v[10:11], s[8:9], 0, v[18:19]
	global_store_dword v[10:11], v14, off
	v_fma_f32 v14, -v29, v40, 1.0
	v_fmac_f32_e32 v40, v14, v40
	v_mad_u64_u32 v[14:15], s[0:1], s2, 52, v[0:1]
	v_mov_b32_e32 v15, v1
	global_load_dword v10, v[16:17], off
	v_lshlrev_b64 v[16:17], 2, v[14:15]
	v_div_scale_f32 v15, s[0:1], v27, v27, 1.0
	s_waitcnt vmcnt(9)
	v_mul_f32_e32 v11, v9, v30
	v_div_scale_f32 v30, vcc, 1.0, v28, 1.0
	v_mul_f32_e32 v42, v30, v40
	v_fma_f32 v0, -v29, v42, v30
	v_fmac_f32_e32 v42, v0, v40
	v_fma_f32 v0, -v29, v42, v30
	v_div_fmas_f32 v0, v0, v40, v42
	v_lshl_add_u64 v[18:19], s[6:7], 0, v[16:17]
	v_div_fixup_f32 v0, v0, v28, 1.0
	v_rcp_f32_e32 v28, v15
	global_load_dword v47, v[18:19], off
	v_mul_f32_e32 v0, v0, v11
	v_min_f32_e32 v0, 0x7cf0bdc2, v0
	s_waitcnt vmcnt(8)
	v_mul_f32_e32 v0, v43, v0
	v_lshl_add_u64 v[18:19], s[8:9], 0, v[20:21]
	global_store_dword v[18:19], v0, off
	v_fma_f32 v0, -v15, v28, 1.0
	v_fmac_f32_e32 v28, v0, v28
	v_div_scale_f32 v0, vcc, 1.0, v27, 1.0
	v_mul_f32_e32 v20, v0, v28
	v_fma_f32 v18, -v15, v20, v0
	v_fmac_f32_e32 v20, v18, v28
	v_fma_f32 v21, -v15, v20, v0
	v_add_u32_e32 v0, s2, v14
	v_lshlrev_b64 v[14:15], 2, v[0:1]
	v_lshl_add_u64 v[18:19], s[6:7], 0, v[14:15]
	global_load_dword v48, v[18:19], off
	v_div_fmas_f32 v18, v21, v28, v20
	v_div_fixup_f32 v18, v18, v27, 1.0
	v_mul_f32_e32 v11, v18, v11
	v_min_f32_e32 v11, 0x7cf0bdc2, v11
	v_lshl_add_u64 v[12:13], s[8:9], 0, v[12:13]
	v_add_u32_e32 v0, s2, v0
	v_lshl_add_u64 v[16:17], s[8:9], 0, v[16:17]
	v_lshl_add_u64 v[14:15], s[8:9], 0, v[14:15]
	s_waitcnt vmcnt(8)
	v_mul_f32_e32 v11, v39, v11
	global_store_dword v[12:13], v11, off
	v_mul_f32_e32 v11, v25, v9
	v_mul_f32_e32 v11, v31, v11
	v_min_f32_e32 v11, 0x7cf0bdc2, v11
	s_waitcnt vmcnt(8)
	v_mul_f32_e32 v11, v11, v41
	v_lshl_add_u64 v[12:13], s[8:9], 0, v[22:23]
	s_waitcnt vmcnt(7)
	v_mul_f32_e32 v20, v26, v46
	v_div_scale_f32 v21, s[0:1], v20, v20, 1.0
	global_store_dword v[12:13], v11, off
	v_rcp_f32_e32 v22, v21
	v_lshlrev_b64 v[12:13], 2, v[0:1]
	v_lshl_add_u64 v[18:19], s[6:7], 0, v[12:13]
	global_load_dword v27, v[18:19], off
	v_fma_f32 v18, -v21, v22, 1.0
	v_fmac_f32_e32 v22, v18, v22
	v_div_scale_f32 v18, vcc, 1.0, v20, 1.0
	v_mul_f32_e32 v19, v18, v22
	v_fma_f32 v23, -v21, v19, v18
	v_fmac_f32_e32 v19, v23, v22
	v_fma_f32 v18, -v21, v19, v18
	v_div_fmas_f32 v18, v18, v22, v19
	v_mul_f32_e32 v11, v44, v9
	v_div_fixup_f32 v18, v18, v20, 1.0
	v_add_u32_e32 v0, s2, v0
	v_mul_f32_e32 v11, v11, v18
	v_lshlrev_b64 v[18:19], 2, v[0:1]
	v_lshl_add_u64 v[20:21], s[6:7], 0, v[18:19]
	global_load_dword v39, v[20:21], off
	v_add_u32_e32 v0, s2, v0
	v_lshlrev_b64 v[20:21], 2, v[0:1]
	v_add_u32_e32 v0, s2, v0
	v_lshlrev_b64 v[28:29], 2, v[0:1]
	v_add_u32_e32 v0, s2, v0
	v_lshl_add_u64 v[22:23], s[6:7], 0, v[20:21]
	v_lshlrev_b64 v[40:41], 2, v[0:1]
	v_lshl_add_u64 v[30:31], s[6:7], 0, v[28:29]
	v_lshl_add_u64 v[42:43], s[6:7], 0, v[40:41]
	global_load_dword v44, v[22:23], off
	global_load_dword v46, v[30:31], off
	;; [unrolled: 1-line block ×3, first 2 shown]
	v_mul_f32_e32 v22, v25, v26
	v_mul_f32_e32 v22, v22, v7
	;; [unrolled: 1-line block ×3, first 2 shown]
	v_div_scale_f32 v23, s[0:1], v22, v22, 1.0
	v_rcp_f32_e32 v25, v23
	v_min_f32_e32 v11, 0x7cf0bdc2, v11
	v_mul_f32_e32 v7, v38, v7
	v_lshl_add_u64 v[12:13], s[8:9], 0, v[12:13]
	s_waitcnt vmcnt(9)
	v_mul_f32_e32 v11, v47, v11
	global_store_dword v[16:17], v11, off
	v_fma_f32 v16, -v23, v25, 1.0
	v_fmac_f32_e32 v25, v16, v25
	v_div_scale_f32 v16, vcc, 1.0, v22, 1.0
	v_mul_f32_e32 v17, v16, v25
	v_mul_f32_e32 v11, v24, v9
	v_fma_f32 v24, -v23, v17, v16
	v_fmac_f32_e32 v17, v24, v25
	v_fma_f32 v16, -v23, v17, v16
	v_div_fmas_f32 v16, v16, v25, v17
	v_div_scale_f32 v17, s[0:1], v7, v7, 1.0
	v_div_fixup_f32 v16, v16, v22, 1.0
	v_rcp_f32_e32 v22, v17
	v_mul_f32_e32 v16, v16, v11
	v_min_f32_e32 v16, 0x7cf0bdc2, v16
	s_waitcnt vmcnt(8)
	v_mul_f32_e32 v16, v16, v48
	s_mul_i32 s0, s2, 0xffffffcc
	global_store_dword v[14:15], v16, off
	v_fma_f32 v14, -v17, v22, 1.0
	v_add_u32_e32 v0, s0, v0
	v_fmac_f32_e32 v22, v14, v22
	v_lshl_add_u64 v[14:15], v[0:1], 2, s[10:11]
	global_load_dword v23, v[14:15], off
	v_div_scale_f32 v14, vcc, 1.0, v7, 1.0
	v_mul_f32_e32 v15, v14, v22
	v_fma_f32 v16, -v17, v15, v14
	v_fmac_f32_e32 v15, v16, v22
	v_fma_f32 v14, -v17, v15, v14
	v_div_fmas_f32 v14, v14, v22, v15
	v_div_fixup_f32 v7, v14, v7, 1.0
	v_mul_f32_e32 v7, v7, v11
	v_div_scale_f32 v11, s[0:1], v37, v37, 1.0
	v_rcp_f32_e32 v22, v11
	v_min_f32_e32 v7, 0x7cf0bdc2, v7
	s_waitcnt vmcnt(7)
	v_mul_f32_e32 v7, v7, v27
	global_store_dword v[12:13], v7, off
	v_mad_u64_u32 v[12:13], s[0:1], s2, 53, v[0:1]
	v_fma_f32 v7, -v11, v22, 1.0
	v_mov_b32_e32 v13, v1
	v_fmac_f32_e32 v22, v7, v22
	v_div_scale_f32 v7, vcc, 1.0, v37, 1.0
	v_lshlrev_b64 v[14:15], 2, v[12:13]
	v_lshl_add_u64 v[16:17], s[6:7], 0, v[14:15]
	v_mul_f32_e32 v0, v7, v22
	global_load_dword v24, v[16:17], off
	v_fma_f32 v13, -v11, v0, v7
	v_fmac_f32_e32 v0, v13, v22
	v_fma_f32 v7, -v11, v0, v7
	v_div_fmas_f32 v0, v7, v22, v0
	v_div_fixup_f32 v7, v0, v37, 1.0
	v_mul_f32_e32 v0, v9, v7
	v_min_f32_e32 v0, 0x7cf0bdc2, v0
	s_waitcnt vmcnt(8)
	v_mul_f32_e32 v0, v39, v0
	v_lshl_add_u64 v[16:17], s[8:9], 0, v[18:19]
	global_store_dword v[16:17], v0, off
	v_add_u32_e32 v0, s2, v12
	v_lshlrev_b64 v[12:13], 2, v[0:1]
	v_lshl_add_u64 v[16:17], s[6:7], 0, v[12:13]
	global_load_dword v11, v[16:17], off
	v_mul_f32_e32 v7, v45, v7
	v_min_f32_e32 v7, 0x7cf0bdc2, v7
	s_waitcnt vmcnt(9)
	v_mul_f32_e32 v9, v44, v7
	v_lshl_add_u64 v[16:17], s[8:9], 0, v[20:21]
	global_store_dword v[16:17], v9, off
	v_div_scale_f32 v9, s[0:1], v3, v3, 1.0
	v_rcp_f32_e32 v20, v9
	s_waitcnt vmcnt(9)
	v_mul_f32_e32 v7, v46, v7
	v_lshl_add_u64 v[16:17], s[8:9], 0, v[28:29]
	global_store_dword v[16:17], v7, off
	v_fma_f32 v16, -v9, v20, 1.0
	v_add_u32_e32 v0, s2, v0
	v_fmac_f32_e32 v20, v16, v20
	v_lshlrev_b64 v[16:17], 2, v[0:1]
	v_lshl_add_u64 v[18:19], s[6:7], 0, v[16:17]
	v_div_scale_f32 v21, vcc, 1.0, v3, 1.0
	global_load_dword v22, v[18:19], off
	v_mul_f32_e32 v18, v21, v20
	v_fma_f32 v19, -v9, v18, v21
	v_fmac_f32_e32 v18, v19, v20
	v_fma_f32 v9, -v9, v18, v21
	v_div_fmas_f32 v9, v9, v20, v18
	v_mul_f32_e32 v7, v45, v33
	v_div_fixup_f32 v3, v9, v3, 1.0
	v_mul_f32_e32 v3, v7, v3
	v_min_f32_e32 v3, 0x7cf0bdc2, v3
	s_waitcnt vmcnt(10)
	v_mul_f32_e32 v3, v49, v3
	v_lshl_add_u64 v[18:19], s[8:9], 0, v[40:41]
	global_store_dword v[18:19], v3, off
	v_mul_f32_e32 v3, v35, v4
	v_add_u32_e32 v0, s2, v0
	v_mul_f32_e32 v9, v6, v3
	v_lshlrev_b64 v[6:7], 2, v[0:1]
	s_waitcnt vmcnt(8)
	v_div_scale_f32 v20, s[0:1], v23, v23, 1.0
	v_rcp_f32_e32 v21, v20
	v_lshl_add_u64 v[18:19], s[6:7], 0, v[6:7]
	global_load_dword v18, v[18:19], off
	v_add_u32_e32 v0, s2, v0
	v_fma_f32 v19, -v20, v21, 1.0
	v_fmac_f32_e32 v21, v19, v21
	v_div_scale_f32 v19, vcc, 1.0, v23, 1.0
	v_mul_f32_e32 v25, v19, v21
	v_fma_f32 v26, -v20, v25, v19
	v_fmac_f32_e32 v25, v26, v21
	v_fma_f32 v19, -v20, v25, v19
	v_div_fmas_f32 v19, v19, v21, v25
	v_div_fixup_f32 v19, v19, v23, 1.0
	v_mul_f32_e32 v9, v9, v19
	v_lshlrev_b64 v[0:1], 2, v[0:1]
	v_min_f32_e32 v19, 0x7cf0bdc2, v9
	v_mul_f32_e32 v20, v8, v32
	v_lshl_add_u64 v[8:9], s[6:7], 0, v[0:1]
	global_load_dword v25, v[8:9], off
	v_div_scale_f32 v21, s[0:1], v20, v20, 1.0
	v_rcp_f32_e32 v23, v21
	v_lshl_add_u64 v[8:9], s[8:9], 0, v[14:15]
	v_lshl_add_u64 v[0:1], s[8:9], 0, v[0:1]
	s_waitcnt vmcnt(8)
	v_mul_f32_e32 v19, v24, v19
	global_store_dword v[8:9], v19, off
	v_fma_f32 v8, -v21, v23, 1.0
	v_fmac_f32_e32 v23, v8, v23
	v_div_scale_f32 v8, vcc, 1.0, v20, 1.0
	v_mul_f32_e32 v9, v8, v23
	v_fma_f32 v14, -v21, v9, v8
	v_fmac_f32_e32 v9, v14, v23
	v_fma_f32 v8, -v21, v9, v8
	v_div_fmas_f32 v8, v8, v23, v9
	v_div_fixup_f32 v8, v8, v20, 1.0
	v_mul_f32_e32 v3, v3, v8
	v_min_f32_e32 v3, 0x7cf0bdc2, v3
	s_waitcnt vmcnt(7)
	v_mul_f32_e32 v3, v11, v3
	v_mul_f32_e32 v11, v34, v32
	v_div_scale_f32 v14, s[0:1], v11, v11, 1.0
	v_rcp_f32_e32 v15, v14
	v_lshl_add_u64 v[8:9], s[8:9], 0, v[12:13]
	global_store_dword v[8:9], v3, off
	v_mul_f32_e32 v3, v10, v4
	v_fma_f32 v8, -v14, v15, 1.0
	v_fmac_f32_e32 v15, v8, v15
	v_div_scale_f32 v8, vcc, 1.0, v11, 1.0
	v_mul_f32_e32 v9, v8, v15
	v_fma_f32 v10, -v14, v9, v8
	v_fmac_f32_e32 v9, v10, v15
	v_fma_f32 v8, -v14, v9, v8
	v_div_fmas_f32 v8, v8, v15, v9
	v_div_scale_f32 v10, s[0:1], v5, v5, 1.0
	v_div_fixup_f32 v8, v8, v11, 1.0
	v_rcp_f32_e32 v11, v10
	v_mul_f32_e32 v3, v3, v8
	v_min_f32_e32 v3, 0x7cf0bdc2, v3
	s_waitcnt vmcnt(5)
	v_mul_f32_e32 v3, v22, v3
	v_lshl_add_u64 v[8:9], s[8:9], 0, v[16:17]
	global_store_dword v[8:9], v3, off
	v_fma_f32 v8, -v10, v11, 1.0
	v_fmac_f32_e32 v11, v8, v11
	v_div_scale_f32 v8, vcc, 1.0, v5, 1.0
	v_mul_f32_e32 v9, v8, v11
	v_fma_f32 v12, -v10, v9, v8
	v_fmac_f32_e32 v9, v12, v11
	v_fma_f32 v8, -v10, v9, v8
	v_div_fmas_f32 v8, v8, v11, v9
	v_div_fixup_f32 v5, v8, v5, 1.0
	v_mul_f32_e32 v8, v2, v32
	v_div_scale_f32 v9, s[0:1], v8, v8, 1.0
	v_mul_f32_e32 v3, v34, v4
	v_rcp_f32_e32 v10, v9
	v_mul_f32_e32 v3, v3, v5
	v_min_f32_e32 v3, 0x7cf0bdc2, v3
	s_waitcnt vmcnt(4)
	v_mul_f32_e32 v5, v18, v3
	v_lshl_add_u64 v[2:3], s[8:9], 0, v[6:7]
	global_store_dword v[2:3], v5, off
	v_fma_f32 v3, -v9, v10, 1.0
	v_fmac_f32_e32 v10, v3, v10
	v_div_scale_f32 v3, vcc, 1.0, v8, 1.0
	v_mul_f32_e32 v2, v36, v4
	v_mul_f32_e32 v4, v3, v10
	v_fma_f32 v5, -v9, v4, v3
	v_fmac_f32_e32 v4, v5, v10
	v_fma_f32 v3, -v9, v4, v3
	v_div_fmas_f32 v3, v3, v10, v4
	v_div_fixup_f32 v3, v3, v8, 1.0
	v_mul_f32_e32 v2, v2, v3
	v_min_f32_e32 v2, 0x7cf0bdc2, v2
	s_waitcnt vmcnt(4)
	v_mul_f32_e32 v2, v25, v2
	global_store_dword v[0:1], v2, off
	s_endpgm
	.section	.rodata,"a",@progbits
	.p2align	6, 0x0
	.amdhsa_kernel _Z12ratt4_kernelIfEvPKT_S2_PS0_S2_S0_
		.amdhsa_group_segment_fixed_size 0
		.amdhsa_private_segment_fixed_size 0
		.amdhsa_kernarg_size 296
		.amdhsa_user_sgpr_count 2
		.amdhsa_user_sgpr_dispatch_ptr 0
		.amdhsa_user_sgpr_queue_ptr 0
		.amdhsa_user_sgpr_kernarg_segment_ptr 1
		.amdhsa_user_sgpr_dispatch_id 0
		.amdhsa_user_sgpr_kernarg_preload_length 0
		.amdhsa_user_sgpr_kernarg_preload_offset 0
		.amdhsa_user_sgpr_private_segment_size 0
		.amdhsa_uses_dynamic_stack 0
		.amdhsa_enable_private_segment 0
		.amdhsa_system_sgpr_workgroup_id_x 1
		.amdhsa_system_sgpr_workgroup_id_y 0
		.amdhsa_system_sgpr_workgroup_id_z 0
		.amdhsa_system_sgpr_workgroup_info 0
		.amdhsa_system_vgpr_workitem_id 0
		.amdhsa_next_free_vgpr 50
		.amdhsa_next_free_sgpr 14
		.amdhsa_accum_offset 52
		.amdhsa_reserve_vcc 1
		.amdhsa_float_round_mode_32 0
		.amdhsa_float_round_mode_16_64 0
		.amdhsa_float_denorm_mode_32 3
		.amdhsa_float_denorm_mode_16_64 3
		.amdhsa_dx10_clamp 1
		.amdhsa_ieee_mode 1
		.amdhsa_fp16_overflow 0
		.amdhsa_tg_split 0
		.amdhsa_exception_fp_ieee_invalid_op 0
		.amdhsa_exception_fp_denorm_src 0
		.amdhsa_exception_fp_ieee_div_zero 0
		.amdhsa_exception_fp_ieee_overflow 0
		.amdhsa_exception_fp_ieee_underflow 0
		.amdhsa_exception_fp_ieee_inexact 0
		.amdhsa_exception_int_div_zero 0
	.end_amdhsa_kernel
	.section	.text._Z12ratt4_kernelIfEvPKT_S2_PS0_S2_S0_,"axG",@progbits,_Z12ratt4_kernelIfEvPKT_S2_PS0_S2_S0_,comdat
.Lfunc_end5:
	.size	_Z12ratt4_kernelIfEvPKT_S2_PS0_S2_S0_, .Lfunc_end5-_Z12ratt4_kernelIfEvPKT_S2_PS0_S2_S0_
                                        ; -- End function
	.set _Z12ratt4_kernelIfEvPKT_S2_PS0_S2_S0_.num_vgpr, 50
	.set _Z12ratt4_kernelIfEvPKT_S2_PS0_S2_S0_.num_agpr, 0
	.set _Z12ratt4_kernelIfEvPKT_S2_PS0_S2_S0_.numbered_sgpr, 14
	.set _Z12ratt4_kernelIfEvPKT_S2_PS0_S2_S0_.num_named_barrier, 0
	.set _Z12ratt4_kernelIfEvPKT_S2_PS0_S2_S0_.private_seg_size, 0
	.set _Z12ratt4_kernelIfEvPKT_S2_PS0_S2_S0_.uses_vcc, 1
	.set _Z12ratt4_kernelIfEvPKT_S2_PS0_S2_S0_.uses_flat_scratch, 0
	.set _Z12ratt4_kernelIfEvPKT_S2_PS0_S2_S0_.has_dyn_sized_stack, 0
	.set _Z12ratt4_kernelIfEvPKT_S2_PS0_S2_S0_.has_recursion, 0
	.set _Z12ratt4_kernelIfEvPKT_S2_PS0_S2_S0_.has_indirect_call, 0
	.section	.AMDGPU.csdata,"",@progbits
; Kernel info:
; codeLenInByte = 4228
; TotalNumSgprs: 20
; NumVgprs: 50
; NumAgprs: 0
; TotalNumVgprs: 50
; ScratchSize: 0
; MemoryBound: 0
; FloatMode: 240
; IeeeMode: 1
; LDSByteSize: 0 bytes/workgroup (compile time only)
; SGPRBlocks: 2
; VGPRBlocks: 6
; NumSGPRsForWavesPerEU: 20
; NumVGPRsForWavesPerEU: 50
; AccumOffset: 52
; Occupancy: 8
; WaveLimiterHint : 0
; COMPUTE_PGM_RSRC2:SCRATCH_EN: 0
; COMPUTE_PGM_RSRC2:USER_SGPR: 2
; COMPUTE_PGM_RSRC2:TRAP_HANDLER: 0
; COMPUTE_PGM_RSRC2:TGID_X_EN: 1
; COMPUTE_PGM_RSRC2:TGID_Y_EN: 0
; COMPUTE_PGM_RSRC2:TGID_Z_EN: 0
; COMPUTE_PGM_RSRC2:TIDIG_COMP_CNT: 0
; COMPUTE_PGM_RSRC3_GFX90A:ACCUM_OFFSET: 12
; COMPUTE_PGM_RSRC3_GFX90A:TG_SPLIT: 0
	.section	.text._Z12ratt5_kernelIfEvPKT_S2_PS0_S2_S0_,"axG",@progbits,_Z12ratt5_kernelIfEvPKT_S2_PS0_S2_S0_,comdat
	.protected	_Z12ratt5_kernelIfEvPKT_S2_PS0_S2_S0_ ; -- Begin function _Z12ratt5_kernelIfEvPKT_S2_PS0_S2_S0_
	.globl	_Z12ratt5_kernelIfEvPKT_S2_PS0_S2_S0_
	.p2align	8
	.type	_Z12ratt5_kernelIfEvPKT_S2_PS0_S2_S0_,@function
_Z12ratt5_kernelIfEvPKT_S2_PS0_S2_S0_:  ; @_Z12ratt5_kernelIfEvPKT_S2_PS0_S2_S0_
; %bb.0:
	s_load_dword s3, s[0:1], 0x34
	s_load_dword s12, s[0:1], 0x28
	s_load_dwordx8 s[4:11], s[0:1], 0x0
	v_mov_b32_e32 v1, 0
	s_load_dword s0, s[0:1], 0x20
	s_waitcnt lgkmcnt(0)
	s_and_b32 s3, s3, 0xffff
	s_mul_i32 s2, s2, s3
	v_add_u32_e32 v0, s2, v0
	v_lshlrev_b64 v[2:3], 2, v[0:1]
	v_lshl_add_u64 v[4:5], s[4:5], 0, v[2:3]
	s_mul_i32 s2, s12, s3
	global_load_dword v16, v[4:5], off
	v_mad_u64_u32 v[4:5], s[4:5], s2, 6, v[0:1]
	v_mov_b32_e32 v5, v1
	v_mad_u64_u32 v[8:9], s[4:5], s2, 10, v[4:5]
	v_mov_b32_e32 v9, v1
	v_lshl_add_u64 v[6:7], v[4:5], 2, s[10:11]
	v_lshl_add_u64 v[4:5], v[8:9], 2, s[10:11]
	v_mad_u64_u32 v[8:9], s[4:5], s2, -9, v[8:9]
	v_mov_b32_e32 v9, v1
	v_lshl_add_u64 v[10:11], v[8:9], 2, s[10:11]
	v_lshl_add_u32 v8, s2, 3, v8
	v_lshl_add_u64 v[12:13], v[8:9], 2, s[10:11]
	global_load_dword v27, v[6:7], off
	global_load_dword v22, v[4:5], off
	;; [unrolled: 1-line block ×4, first 2 shown]
	v_add_u32_e32 v0, s2, v0
	v_mad_u64_u32 v[12:13], s[4:5], s2, 24, v[0:1]
	v_mov_b32_e32 v13, v1
	v_lshl_add_u64 v[6:7], v[12:13], 2, s[10:11]
	v_lshl_add_u64 v[10:11], v[0:1], 2, s[10:11]
	global_load_dword v18, v[6:7], off
	global_load_dword v24, v[10:11], off
	v_mad_u64_u32 v[14:15], s[4:5], s2, 60, v[8:9]
	v_mov_b32_e32 v15, v1
	v_lshlrev_b64 v[6:7], 2, v[14:15]
	v_lshl_add_u64 v[20:21], s[6:7], 0, v[6:7]
	global_load_dword v17, v[20:21], off
	s_mul_i32 s3, s2, 0xffffffbd
	v_add_u32_e32 v8, s3, v14
	v_lshl_add_u64 v[8:9], v[8:9], 2, s[10:11]
	global_load_dword v29, v[8:9], off
	v_mad_u64_u32 v[8:9], s[4:5], s2, 51, v[12:13]
	s_mul_i32 s3, s2, 0xffffffbf
	v_mov_b32_e32 v9, v1
	v_add_u32_e32 v0, s3, v8
	v_lshlrev_b64 v[12:13], 2, v[8:9]
	v_lshl_add_u64 v[14:15], v[0:1], 2, s[10:11]
	v_add_u32_e32 v0, s2, v0
	v_lshl_add_u64 v[8:9], s[6:7], 0, v[12:13]
	v_lshl_add_u64 v[20:21], v[0:1], 2, s[10:11]
	global_load_dword v19, v[8:9], off
	global_load_dword v25, v[14:15], off
	;; [unrolled: 1-line block ×3, first 2 shown]
	s_mul_i32 s1, s2, 0x41
	v_add_u32_e32 v0, s1, v0
	v_lshlrev_b64 v[8:9], 2, v[0:1]
	global_load_dword v30, v[4:5], off
	v_lshl_add_u64 v[4:5], s[6:7], 0, v[8:9]
	global_load_dword v37, v[4:5], off
	global_load_dword v31, v[10:11], off
	v_lshl_add_u64 v[8:9], s[8:9], 0, v[8:9]
	s_mul_i32 s12, s2, 0x45
	v_lshl_add_u64 v[2:3], s[10:11], 0, v[2:3]
	s_waitcnt vmcnt(14)
	v_mul_f32_e32 v4, s0, v16
	v_mul_f32_e32 v4, 0x4c9e9632, v4
	v_div_scale_f32 v5, s[0:1], v4, v4, 1.0
	v_rcp_f32_e32 v11, v5
	v_div_scale_f32 v10, vcc, 1.0, v4, 1.0
	v_fma_f32 v33, -v5, v11, 1.0
	v_fmac_f32_e32 v11, v33, v11
	v_mul_f32_e32 v33, v10, v11
	v_fma_f32 v38, -v5, v33, v10
	v_fmac_f32_e32 v33, v38, v11
	v_fma_f32 v5, -v5, v33, v10
	v_div_fmas_f32 v5, v5, v11, v33
	s_waitcnt vmcnt(10)
	v_mul_f32_e32 v20, v26, v23
	v_div_scale_f32 v21, s[0:1], v20, v20, 1.0
	v_rcp_f32_e32 v34, v21
	v_div_scale_f32 v32, s[0:1], 1.0, v20, 1.0
	v_div_fixup_f32 v4, v5, v4, 1.0
	v_fma_f32 v38, -v21, v34, 1.0
	v_fmac_f32_e32 v34, v38, v34
	v_mul_f32_e32 v10, v32, v34
	v_fma_f32 v5, -v21, v10, v32
	v_fmac_f32_e32 v10, v5, v34
	s_waitcnt vmcnt(8)
	v_mul_f32_e32 v18, v24, v18
	v_mul_f32_e32 v33, 0x49776020, v4
	v_fma_f32 v4, -v21, v10, v32
	s_mov_b64 vcc, s[0:1]
	v_div_scale_f32 v35, s[4:5], v18, v18, 1.0
	v_div_fmas_f32 v4, v4, v34, v10
	v_mul_f32_e32 v16, v27, v22
	v_rcp_f32_e32 v36, v35
	v_div_fixup_f32 v4, v4, v20, 1.0
	v_mul_f32_e32 v4, v16, v4
	s_mul_i32 s0, s2, 0xffffffb5
	v_min_f32_e32 v4, 0x7cf0bdc2, v4
	v_add_u32_e32 v0, s0, v0
	s_waitcnt vmcnt(7)
	v_mul_f32_e32 v10, v17, v4
	v_lshl_add_u64 v[4:5], s[8:9], 0, v[6:7]
	v_lshl_add_u64 v[20:21], v[0:1], 2, s[10:11]
	s_mul_i32 s0, s2, 0x4c
	global_store_dword v[4:5], v10, off
	v_fma_f32 v4, -v35, v36, 1.0
	global_load_dword v42, v[20:21], off
	v_add_u32_e32 v0, s0, v0
	v_fmac_f32_e32 v36, v4, v36
	v_lshlrev_b64 v[4:5], 2, v[0:1]
	s_mul_i32 s0, s2, 0xffffffb6
	v_lshl_add_u64 v[6:7], s[6:7], 0, v[4:5]
	v_add_u32_e32 v0, s0, v0
	global_load_dword v43, v[6:7], off
	v_lshl_add_u64 v[10:11], v[0:1], 2, s[10:11]
	v_add_u32_e32 v0, s2, v0
	v_lshl_add_u64 v[16:17], v[0:1], 2, s[10:11]
	v_lshl_add_u32 v0, s2, 2, v0
	v_div_scale_f32 v38, vcc, 1.0, v18, 1.0
	v_lshl_add_u64 v[6:7], v[0:1], 2, s[10:11]
	global_load_dword v44, v[16:17], off
	global_load_dword v34, v[6:7], off
	v_mul_f32_e32 v6, v38, v36
	v_fma_f32 v7, -v35, v6, v38
	v_fmac_f32_e32 v6, v7, v36
	v_fma_f32 v7, -v35, v6, v38
	v_div_fmas_f32 v6, v7, v36, v6
	s_waitcnt vmcnt(11)
	v_mul_f32_e32 v32, v22, v29
	v_div_fixup_f32 v6, v6, v18, 1.0
	v_mul_f32_e32 v6, v32, v6
	v_min_f32_e32 v6, 0x7cf0bdc2, v6
	s_waitcnt vmcnt(10)
	v_mul_f32_e32 v18, v19, v6
	s_waitcnt vmcnt(8)
	v_div_scale_f32 v19, s[0:1], v28, v28, 1.0
	v_rcp_f32_e32 v38, v19
	v_lshl_add_u64 v[6:7], s[8:9], 0, v[12:13]
	global_store_dword v[6:7], v18, off
	v_mul_f32_e32 v6, v24, v25
	s_mul_i32 s0, s2, 0x46
	v_mul_f32_e32 v18, v33, v6
	v_fma_f32 v6, -v19, v38, 1.0
	v_add_u32_e32 v0, s0, v0
	s_mul_i32 s1, s2, 0xffffffbb
	v_fmac_f32_e32 v38, v6, v38
	v_lshlrev_b64 v[6:7], 2, v[0:1]
	v_add_u32_e32 v0, s1, v0
	global_load_dword v32, v[14:15], off
	v_lshl_add_u64 v[14:15], v[0:1], 2, s[10:11]
	global_load_dword v35, v[14:15], off
	global_load_dword v36, v[10:11], off
	v_lshl_add_u64 v[12:13], s[6:7], 0, v[6:7]
	v_div_scale_f32 v39, vcc, 1.0, v28, 1.0
	global_load_dword v45, v[12:13], off
	v_mul_f32_e32 v40, v39, v38
	v_fma_f32 v12, -v19, v40, v39
	v_fmac_f32_e32 v40, v12, v38
	v_fma_f32 v12, -v19, v40, v39
	v_div_fmas_f32 v12, v12, v38, v40
	v_div_fixup_f32 v12, v12, v28, 1.0
	v_add_u32_e32 v0, s0, v0
	s_mul_i32 s4, s2, 0xffffffb3
	v_mul_f32_e32 v46, v18, v12
	v_lshlrev_b64 v[12:13], 2, v[0:1]
	v_add_u32_e32 v0, s4, v0
	v_mad_u64_u32 v[40:41], s[4:5], s2, 14, v[0:1]
	v_lshl_add_u64 v[18:19], s[6:7], 0, v[12:13]
	v_lshl_add_u64 v[38:39], v[0:1], 2, s[10:11]
	v_mov_b32_e32 v41, v1
	global_load_dword v47, v[18:19], off
	v_lshl_add_u64 v[18:19], v[40:41], 2, s[10:11]
	global_load_dword v41, v[38:39], off
	global_load_dword v48, v[18:19], off
	v_min_f32_e32 v0, 0x7cf0bdc2, v46
	s_waitcnt vmcnt(14)
	v_mul_f32_e32 v0, v37, v0
	v_mul_f32_e32 v37, v22, v24
	v_div_scale_f32 v38, s[4:5], v37, v37, 1.0
	v_rcp_f32_e32 v39, v38
	global_store_dword v[8:9], v0, off
	global_load_dword v9, v[20:21], off
	v_lshl_add_u64 v[4:5], s[8:9], 0, v[4:5]
	v_fma_f32 v8, -v38, v39, 1.0
	v_fmac_f32_e32 v39, v8, v39
	v_div_scale_f32 v8, vcc, 1.0, v37, 1.0
	v_mul_f32_e32 v20, v8, v39
	v_fma_f32 v21, -v38, v20, v8
	v_fmac_f32_e32 v20, v21, v39
	v_fma_f32 v8, -v38, v20, v8
	v_div_fmas_f32 v8, v8, v39, v20
	s_waitcnt vmcnt(13)
	v_mul_f32_e32 v0, v25, v42
	v_div_fixup_f32 v8, v8, v37, 1.0
	v_mul_f32_e32 v0, v8, v0
	v_min_f32_e32 v0, 0x7cf0bdc2, v0
	s_waitcnt vmcnt(12)
	v_mul_f32_e32 v21, v43, v0
	v_lshl_add_u32 v0, s2, 6, v40
	global_load_dword v20, v[16:17], off
	global_load_dword v8, v[10:11], off
	v_lshlrev_b64 v[10:11], 2, v[0:1]
	v_lshl_add_u64 v[16:17], s[6:7], 0, v[10:11]
	global_load_dword v40, v[16:17], off
	s_waitcnt vmcnt(13)
	v_mul_f32_e32 v37, v44, v34
	v_div_scale_f32 v38, s[4:5], v37, v37, 1.0
	v_rcp_f32_e32 v39, v38
	global_store_dword v[4:5], v21, off
	v_add_u32_e32 v0, s2, v0
	v_lshlrev_b64 v[16:17], 2, v[0:1]
	v_fma_f32 v4, -v38, v39, 1.0
	v_fmac_f32_e32 v39, v4, v39
	v_div_scale_f32 v4, vcc, 1.0, v37, 1.0
	v_mul_f32_e32 v43, v4, v39
	v_fma_f32 v5, -v38, v43, v4
	v_fmac_f32_e32 v43, v5, v39
	v_fma_f32 v38, -v38, v43, v4
	v_lshl_add_u64 v[4:5], s[6:7], 0, v[16:17]
	global_load_dword v46, v[4:5], off
	v_div_fmas_f32 v4, v38, v39, v43
	global_load_dword v5, v[14:15], off
	v_div_fixup_f32 v4, v4, v37, 1.0
	v_lshl_add_u64 v[6:7], s[8:9], 0, v[6:7]
	v_add_u32_e32 v0, s2, v0
	v_lshl_add_u64 v[10:11], s[8:9], 0, v[10:11]
	s_waitcnt vmcnt(13)
	v_mul_f32_e32 v14, v44, v35
	v_div_scale_f32 v15, s[4:5], v14, v14, 1.0
	s_waitcnt vmcnt(12)
	v_mul_f32_e32 v21, v25, v36
	v_rcp_f32_e32 v37, v15
	v_mul_f32_e32 v4, v21, v4
	v_min_f32_e32 v4, 0x7cf0bdc2, v4
	s_waitcnt vmcnt(11)
	v_mul_f32_e32 v4, v45, v4
	global_store_dword v[6:7], v4, off
	v_fma_f32 v4, -v15, v37, 1.0
	v_fmac_f32_e32 v37, v4, v37
	v_div_scale_f32 v4, vcc, 1.0, v14, 1.0
	v_mul_f32_e32 v6, v4, v37
	v_fma_f32 v7, -v15, v6, v4
	v_fmac_f32_e32 v6, v7, v37
	v_fma_f32 v4, -v15, v6, v4
	v_div_fmas_f32 v4, v4, v37, v6
	v_div_fixup_f32 v4, v4, v14, 1.0
	v_mul_f32_e32 v4, v21, v4
	v_min_f32_e32 v4, 0x7cf0bdc2, v4
	v_lshl_add_u64 v[6:7], s[8:9], 0, v[12:13]
	s_waitcnt vmcnt(11)
	v_mul_f32_e32 v4, v47, v4
	global_store_dword v[6:7], v4, off
	s_waitcnt vmcnt(10)
	v_mul_f32_e32 v14, v42, v48
	v_div_scale_f32 v15, s[4:5], v14, v14, 1.0
	global_load_dword v4, v[18:19], off
	v_rcp_f32_e32 v18, v15
	v_lshlrev_b64 v[6:7], 2, v[0:1]
	v_lshl_add_u64 v[12:13], s[6:7], 0, v[6:7]
	global_load_dword v21, v[12:13], off
	v_fma_f32 v12, -v15, v18, 1.0
	v_fmac_f32_e32 v18, v12, v18
	v_div_scale_f32 v12, vcc, 1.0, v14, 1.0
	v_mul_f32_e32 v13, v12, v18
	v_fma_f32 v19, -v15, v13, v12
	v_fmac_f32_e32 v13, v19, v18
	v_fma_f32 v12, -v15, v13, v12
	v_div_fmas_f32 v12, v12, v18, v13
	v_add_u32_e32 v0, s2, v0
	v_div_fixup_f32 v18, v12, v14, 1.0
	v_lshlrev_b64 v[12:13], 2, v[0:1]
	v_lshl_add_u64 v[14:15], s[6:7], 0, v[12:13]
	global_load_dword v38, v[14:15], off
	v_mul_f32_e32 v42, v22, v36
	v_mul_f32_e32 v37, v25, v41
	v_div_scale_f32 v43, s[4:5], v42, v42, 1.0
	v_mul_f32_e32 v14, v37, v18
	v_rcp_f32_e32 v44, v43
	v_add_u32_e32 v0, s2, v0
	v_min_f32_e32 v39, 0x7cf0bdc2, v14
	v_lshlrev_b64 v[14:15], 2, v[0:1]
	v_lshl_add_u64 v[18:19], s[6:7], 0, v[14:15]
	global_load_dword v45, v[18:19], off
	s_waitcnt vmcnt(9)
	v_mul_f32_e32 v18, v40, v39
	global_store_dword v[10:11], v18, off
	v_fma_f32 v10, -v43, v44, 1.0
	v_fmac_f32_e32 v44, v10, v44
	v_div_scale_f32 v10, vcc, 1.0, v42, 1.0
	v_mul_f32_e32 v11, v10, v44
	v_fma_f32 v18, -v43, v11, v10
	v_fmac_f32_e32 v11, v18, v44
	v_fma_f32 v10, -v43, v11, v10
	v_div_fmas_f32 v10, v10, v44, v11
	v_div_fixup_f32 v10, v10, v42, 1.0
	v_mul_f32_e32 v10, v10, v37
	v_min_f32_e32 v10, 0x7cf0bdc2, v10
	v_add_u32_e32 v0, s3, v0
	s_waitcnt vmcnt(8)
	v_mul_f32_e32 v18, v10, v46
	v_mul_f32_e32 v19, v28, v41
	v_lshl_add_u64 v[10:11], v[0:1], 2, s[10:11]
	global_load_dword v37, v[10:11], off
	v_div_scale_f32 v39, s[4:5], v19, v19, 1.0
	v_rcp_f32_e32 v40, v39
	v_lshl_add_u64 v[10:11], s[8:9], 0, v[16:17]
	global_store_dword v[10:11], v18, off
	v_mul_f32_e32 v18, v27, v25
	v_fma_f32 v10, -v39, v40, 1.0
	v_fmac_f32_e32 v40, v10, v40
	v_div_scale_f32 v10, vcc, 1.0, v19, 1.0
	v_mul_f32_e32 v11, v10, v40
	v_fma_f32 v16, -v39, v11, v10
	v_fmac_f32_e32 v11, v16, v40
	v_fma_f32 v10, -v39, v11, v10
	v_div_fmas_f32 v10, v10, v40, v11
	v_div_fixup_f32 v10, v10, v19, 1.0
	s_mul_i32 s3, s2, 0x42
	v_mul_f32_e32 v10, v18, v10
	v_add_u32_e32 v0, s3, v0
	v_min_f32_e32 v19, 0x7cf0bdc2, v10
	v_lshlrev_b64 v[10:11], 2, v[0:1]
	v_lshl_add_u64 v[16:17], s[6:7], 0, v[10:11]
	global_load_dword v39, v[16:17], off
	s_mul_i32 s3, s2, 0xffffffb7
	v_add_u32_e32 v0, s3, v0
	v_mul_f32_e32 v36, v36, v48
	v_lshl_add_u64 v[16:17], v[0:1], 2, s[10:11]
	v_div_scale_f32 v41, s[4:5], v36, v36, 1.0
	global_load_dword v40, v[16:17], off
	v_rcp_f32_e32 v42, v41
	v_lshl_add_u64 v[6:7], s[8:9], 0, v[6:7]
	s_mul_i32 s3, s2, 0x4a
	v_add_u32_e32 v0, s3, v0
	s_mul_i32 s3, s2, 0xffffffc4
	s_waitcnt vmcnt(7)
	v_mul_f32_e32 v19, v19, v21
	global_store_dword v[6:7], v19, off
	v_fma_f32 v6, -v41, v42, 1.0
	v_fmac_f32_e32 v42, v6, v42
	v_div_scale_f32 v6, vcc, 1.0, v36, 1.0
	v_mul_f32_e32 v7, v6, v42
	v_fma_f32 v19, -v41, v7, v6
	v_fmac_f32_e32 v7, v19, v42
	v_fma_f32 v6, -v41, v7, v6
	v_div_fmas_f32 v6, v6, v42, v7
	v_div_fixup_f32 v6, v6, v36, 1.0
	v_mul_f32_e32 v6, v18, v6
	v_min_f32_e32 v6, 0x7cf0bdc2, v6
	s_waitcnt vmcnt(7)
	v_mul_f32_e32 v21, v6, v38
	v_lshlrev_b64 v[6:7], 2, v[0:1]
	v_lshl_add_u64 v[18:19], s[6:7], 0, v[6:7]
	global_load_dword v36, v[18:19], off
	v_add_u32_e32 v0, s3, v0
	v_lshl_add_u64 v[18:19], v[0:1], 2, s[10:11]
	global_load_dword v38, v[18:19], off
	v_mul_f32_e32 v27, v27, v28
	v_div_scale_f32 v18, s[4:5], v27, v27, 1.0
	v_rcp_f32_e32 v19, v18
	v_lshl_add_u64 v[12:13], s[8:9], 0, v[12:13]
	global_store_dword v[12:13], v21, off
	v_mul_f32_e32 v12, v26, v25
	v_fma_f32 v13, -v18, v19, 1.0
	v_fmac_f32_e32 v19, v13, v19
	v_div_scale_f32 v13, vcc, 1.0, v27, 1.0
	v_mul_f32_e32 v21, v13, v19
	v_fma_f32 v26, -v18, v21, v13
	v_fmac_f32_e32 v21, v26, v19
	v_fma_f32 v13, -v18, v21, v13
	v_div_fmas_f32 v13, v13, v19, v21
	v_div_fixup_f32 v13, v13, v27, 1.0
	v_mul_f32_e32 v12, v12, v13
	v_min_f32_e32 v12, 0x7cf0bdc2, v12
	s_waitcnt vmcnt(9)
	v_mul_f32_e32 v21, v12, v45
	v_mad_u64_u32 v[12:13], s[4:5], s2, 61, v[0:1]
	v_mov_b32_e32 v13, v1
	s_waitcnt vmcnt(7)
	v_mul_f32_e32 v37, v24, v37
	v_div_scale_f32 v41, s[4:5], v37, v37, 1.0
	v_rcp_f32_e32 v0, v41
	v_lshlrev_b64 v[18:19], 2, v[12:13]
	v_lshl_add_u64 v[26:27], s[6:7], 0, v[18:19]
	global_load_dword v26, v[26:27], off
	v_lshl_add_u64 v[14:15], s[8:9], 0, v[14:15]
	global_store_dword v[14:15], v21, off
	v_fma_f32 v14, -v41, v0, 1.0
	v_fmac_f32_e32 v0, v14, v0
	v_div_scale_f32 v14, vcc, 1.0, v37, 1.0
	v_mul_f32_e32 v15, v14, v0
	v_fma_f32 v21, -v41, v15, v14
	v_fmac_f32_e32 v15, v21, v0
	v_fma_f32 v14, -v41, v15, v14
	v_div_fmas_f32 v0, v14, v0, v15
	v_mul_f32_e32 v13, v29, v25
	v_div_fixup_f32 v0, v0, v37, 1.0
	v_mul_f32_e32 v0, v13, v0
	v_min_f32_e32 v0, 0x7cf0bdc2, v0
	s_mul_i32 s3, s2, 0xffffffbc
	s_waitcnt vmcnt(7)
	v_mul_f32_e32 v21, v39, v0
	v_add_u32_e32 v0, s2, v12
	v_lshlrev_b64 v[12:13], 2, v[0:1]
	v_lshl_add_u64 v[14:15], s[6:7], 0, v[12:13]
	v_add_u32_e32 v0, s3, v0
	global_load_dword v37, v[14:15], off
	v_lshl_add_u64 v[14:15], v[0:1], 2, s[10:11]
	global_load_dword v27, v[16:17], off
	global_load_dword v39, v[14:15], off
	s_waitcnt vmcnt(9)
	v_mul_f32_e32 v16, v28, v40
	v_div_scale_f32 v17, s[4:5], v16, v16, 1.0
	v_rcp_f32_e32 v29, v17
	v_lshl_add_u64 v[10:11], s[8:9], 0, v[10:11]
	global_store_dword v[10:11], v21, off
	v_mul_f32_e32 v14, v23, v25
	v_fma_f32 v10, -v17, v29, 1.0
	v_fmac_f32_e32 v29, v10, v29
	v_div_scale_f32 v10, vcc, 1.0, v16, 1.0
	v_mul_f32_e32 v11, v10, v29
	v_fma_f32 v15, -v17, v11, v10
	v_fmac_f32_e32 v11, v15, v29
	v_fma_f32 v10, -v17, v11, v10
	v_div_fmas_f32 v10, v10, v29, v11
	v_div_fixup_f32 v10, v10, v16, 1.0
	v_mul_f32_e32 v10, v14, v10
	v_min_f32_e32 v10, 0x7cf0bdc2, v10
	v_lshl_add_u64 v[6:7], s[8:9], 0, v[6:7]
	v_add_u32_e32 v0, s12, v0
	s_waitcnt vmcnt(8)
	v_mul_f32_e32 v10, v36, v10
	global_store_dword v[6:7], v10, off
	v_lshlrev_b64 v[6:7], 2, v[0:1]
	v_lshl_add_u64 v[10:11], s[6:7], 0, v[6:7]
	global_load_dword v21, v[10:11], off
	s_waitcnt vmcnt(9)
	v_div_scale_f32 v16, s[4:5], v38, v38, 1.0
	v_rcp_f32_e32 v17, v16
	v_div_scale_f32 v36, vcc, 1.0, v38, 1.0
	v_add_u32_e32 v0, s2, v0
	v_fma_f32 v10, -v16, v17, 1.0
	v_fmac_f32_e32 v17, v10, v17
	v_mul_f32_e32 v40, v36, v17
	v_fma_f32 v10, -v16, v40, v36
	v_fmac_f32_e32 v40, v10, v17
	v_lshlrev_b64 v[10:11], 2, v[0:1]
	v_mul_f32_e32 v29, v33, v14
	v_lshl_add_u64 v[14:15], s[6:7], 0, v[10:11]
	v_add_u32_e32 v0, s3, v0
	global_load_dword v41, v[14:15], off
	v_lshl_add_u64 v[14:15], v[0:1], 2, s[10:11]
	global_load_dword v42, v[14:15], off
	v_fma_f32 v14, -v16, v40, v36
	v_div_fmas_f32 v14, v14, v17, v40
	v_div_fixup_f32 v14, v14, v38, 1.0
	v_mul_f32_e32 v14, v29, v14
	v_mul_f32_e32 v23, v23, v28
	v_add_u32_e32 v0, s12, v0
	s_mul_i32 s3, s2, 0xffffffba
	v_min_f32_e32 v14, 0x7cf0bdc2, v14
	v_div_scale_f32 v28, s[4:5], v23, v23, 1.0
	v_lshlrev_b64 v[16:17], 2, v[0:1]
	v_add_u32_e32 v0, s3, v0
	s_waitcnt vmcnt(9)
	v_mul_f32_e32 v26, v26, v14
	v_lshl_add_u64 v[14:15], s[8:9], 0, v[18:19]
	v_rcp_f32_e32 v29, v28
	v_lshl_add_u64 v[18:19], v[0:1], 2, s[10:11]
	global_load_dword v36, v[18:19], off
	v_mul_f32_e32 v18, v22, v25
	global_store_dword v[14:15], v26, off
	v_fma_f32 v14, -v28, v29, 1.0
	v_fmac_f32_e32 v29, v14, v29
	v_lshl_add_u64 v[14:15], s[6:7], 0, v[16:17]
	global_load_dword v22, v[14:15], off
	v_div_scale_f32 v19, vcc, 1.0, v23, 1.0
	v_mul_f32_e32 v14, v19, v29
	v_fma_f32 v15, -v28, v14, v19
	v_fmac_f32_e32 v14, v15, v29
	v_fma_f32 v15, -v28, v14, v19
	v_div_fmas_f32 v14, v15, v29, v14
	v_div_fixup_f32 v14, v14, v23, 1.0
	v_mul_f32_e32 v14, v18, v14
	s_mul_i32 s3, s2, 0x47
	v_min_f32_e32 v14, 0x7cf0bdc2, v14
	v_add_u32_e32 v0, s3, v0
	s_waitcnt vmcnt(10)
	v_mul_f32_e32 v23, v14, v37
	s_waitcnt vmcnt(8)
	v_mul_f32_e32 v24, v24, v39
	v_lshlrev_b64 v[14:15], 2, v[0:1]
	v_div_scale_f32 v26, s[4:5], v24, v24, 1.0
	v_lshl_add_u64 v[18:19], s[6:7], 0, v[14:15]
	v_rcp_f32_e32 v28, v26
	global_load_dword v18, v[18:19], off
	v_lshl_add_u64 v[12:13], s[8:9], 0, v[12:13]
	global_store_dword v[12:13], v23, off
	v_fma_f32 v12, -v26, v28, 1.0
	v_add_u32_e32 v0, s1, v0
	v_fmac_f32_e32 v28, v12, v28
	v_lshl_add_u64 v[12:13], v[0:1], 2, s[10:11]
	global_load_dword v23, v[12:13], off
	v_div_scale_f32 v12, vcc, 1.0, v24, 1.0
	v_mul_f32_e32 v13, v12, v28
	v_fma_f32 v29, -v26, v13, v12
	v_fmac_f32_e32 v13, v29, v28
	v_fma_f32 v12, -v26, v13, v12
	v_div_fmas_f32 v12, v12, v28, v13
	v_mul_f32_e32 v19, v25, v34
	v_div_fixup_f32 v24, v12, v24, 1.0
	v_mul_f32_e32 v12, v19, v24
	v_min_f32_e32 v12, 0x7cf0bdc2, v12
	s_waitcnt vmcnt(8)
	v_mul_f32_e32 v12, v21, v12
	v_lshl_add_u64 v[6:7], s[8:9], 0, v[6:7]
	v_add_u32_e32 v0, s0, v0
	global_store_dword v[6:7], v12, off
	v_lshlrev_b64 v[6:7], 2, v[0:1]
	global_load_dword v21, v[2:3], off
	v_lshl_add_u64 v[12:13], s[6:7], 0, v[6:7]
	global_load_dword v19, v[12:13], off
	v_mul_f32_e32 v12, v25, v35
	v_mul_f32_e32 v2, v12, v24
	v_min_f32_e32 v2, 0x7cf0bdc2, v2
	v_add_u32_e32 v0, s2, v0
	v_lshl_add_u64 v[6:7], s[8:9], 0, v[6:7]
	v_mul_f32_e32 v5, v20, v5
	s_waitcnt vmcnt(10)
	v_mul_f32_e32 v12, v41, v2
	v_lshl_add_u64 v[2:3], s[8:9], 0, v[10:11]
	s_waitcnt vmcnt(9)
	v_div_scale_f32 v10, s[0:1], v42, v42, 1.0
	v_rcp_f32_e32 v11, v10
	global_store_dword v[2:3], v12, off
	v_mul_f32_e32 v12, v32, v32
	v_mul_f32_e32 v2, v33, v12
	v_fma_f32 v3, -v10, v11, 1.0
	v_fmac_f32_e32 v11, v3, v11
	v_div_scale_f32 v3, vcc, 1.0, v42, 1.0
	v_mul_f32_e32 v13, v3, v11
	v_fma_f32 v24, -v10, v13, v3
	v_fmac_f32_e32 v13, v24, v11
	v_fma_f32 v3, -v10, v13, v3
	v_div_fmas_f32 v3, v3, v11, v13
	v_div_fixup_f32 v3, v3, v42, 1.0
	v_mul_f32_e32 v2, v2, v3
	s_waitcnt vmcnt(9)
	v_mul_f32_e32 v24, v31, v36
	v_div_scale_f32 v25, s[0:1], v24, v24, 1.0
	v_rcp_f32_e32 v28, v25
	v_min_f32_e32 v13, 0x7cf0bdc2, v2
	v_lshlrev_b64 v[2:3], 2, v[0:1]
	v_lshl_add_u64 v[10:11], s[6:7], 0, v[2:3]
	global_load_dword v26, v[10:11], off
	s_waitcnt vmcnt(8)
	v_mul_f32_e32 v13, v22, v13
	v_lshl_add_u64 v[10:11], s[8:9], 0, v[16:17]
	global_store_dword v[10:11], v13, off
	v_fma_f32 v10, -v25, v28, 1.0
	v_fmac_f32_e32 v28, v10, v28
	v_div_scale_f32 v10, vcc, 1.0, v24, 1.0
	v_mul_f32_e32 v11, v10, v28
	v_fma_f32 v13, -v25, v11, v10
	v_fmac_f32_e32 v11, v13, v28
	v_fma_f32 v10, -v25, v11, v10
	v_div_fmas_f32 v10, v10, v28, v11
	v_div_fixup_f32 v10, v10, v24, 1.0
	v_add_u32_e32 v0, s2, v0
	v_mul_f32_e32 v16, v12, v10
	v_lshlrev_b64 v[10:11], 2, v[0:1]
	v_lshl_add_u64 v[12:13], s[6:7], 0, v[10:11]
	global_load_dword v17, v[12:13], off
	v_min_f32_e32 v12, 0x7cf0bdc2, v16
	s_waitcnt vmcnt(9)
	v_mul_f32_e32 v16, v18, v12
	v_mul_f32_e32 v18, v27, v39
	v_div_scale_f32 v22, s[0:1], v18, v18, 1.0
	v_rcp_f32_e32 v24, v22
	v_lshl_add_u64 v[12:13], s[8:9], 0, v[14:15]
	global_store_dword v[12:13], v16, off
	v_add_u32_e32 v0, s2, v0
	v_fma_f32 v12, -v22, v24, 1.0
	v_fmac_f32_e32 v24, v12, v24
	v_lshlrev_b64 v[12:13], 2, v[0:1]
	v_lshl_add_u64 v[14:15], s[6:7], 0, v[12:13]
	s_waitcnt vmcnt(8)
	v_mul_f32_e32 v16, v32, v23
	global_load_dword v23, v[14:15], off
	v_div_scale_f32 v14, vcc, 1.0, v18, 1.0
	v_mul_f32_e32 v15, v14, v24
	v_fma_f32 v25, -v22, v15, v14
	v_fmac_f32_e32 v15, v25, v24
	v_fma_f32 v14, -v22, v15, v14
	v_div_fmas_f32 v14, v14, v24, v15
	v_div_fixup_f32 v14, v14, v18, 1.0
	v_mul_f32_e32 v14, v16, v14
	s_waitcnt vmcnt(7)
	v_mul_f32_e32 v16, v21, v30
	v_min_f32_e32 v14, 0x7cf0bdc2, v14
	v_div_scale_f32 v18, s[0:1], v16, v16, 1.0
	s_waitcnt vmcnt(6)
	v_mul_f32_e32 v14, v19, v14
	v_rcp_f32_e32 v19, v18
	v_add_u32_e32 v0, s2, v0
	global_store_dword v[6:7], v14, off
	v_lshlrev_b64 v[6:7], 2, v[0:1]
	v_lshl_add_u64 v[14:15], s[6:7], 0, v[6:7]
	global_load_dword v21, v[14:15], off
	v_fma_f32 v14, -v18, v19, 1.0
	v_fmac_f32_e32 v19, v14, v19
	v_div_scale_f32 v14, vcc, 1.0, v16, 1.0
	v_mul_f32_e32 v15, v14, v19
	v_fma_f32 v24, -v18, v15, v14
	v_fmac_f32_e32 v15, v24, v19
	v_fma_f32 v14, -v18, v15, v14
	v_div_fmas_f32 v14, v14, v19, v15
	v_mul_f32_e32 v22, v31, v4
	v_div_fixup_f32 v14, v14, v16, 1.0
	v_add_u32_e32 v0, s2, v0
	v_mul_f32_e32 v14, v22, v14
	v_lshlrev_b64 v[0:1], 2, v[0:1]
	v_min_f32_e32 v16, 0x7cf0bdc2, v14
	v_lshl_add_u64 v[14:15], s[6:7], 0, v[0:1]
	global_load_dword v14, v[14:15], off
	v_mul_f32_e32 v18, v8, v32
	v_div_scale_f32 v19, s[0:1], v18, v18, 1.0
	v_rcp_f32_e32 v15, v19
	v_lshl_add_u64 v[2:3], s[8:9], 0, v[2:3]
	v_lshl_add_u64 v[0:1], s[8:9], 0, v[0:1]
	s_waitcnt vmcnt(7)
	v_mul_f32_e32 v16, v26, v16
	global_store_dword v[2:3], v16, off
	v_fma_f32 v2, -v19, v15, 1.0
	v_fmac_f32_e32 v15, v2, v15
	v_div_scale_f32 v2, vcc, 1.0, v18, 1.0
	v_mul_f32_e32 v3, v2, v15
	v_fma_f32 v16, -v19, v3, v2
	v_fmac_f32_e32 v3, v16, v15
	v_fma_f32 v2, -v19, v3, v2
	v_div_fmas_f32 v2, v2, v15, v3
	v_div_scale_f32 v15, s[0:1], v5, v5, 1.0
	v_div_fixup_f32 v2, v2, v18, 1.0
	v_rcp_f32_e32 v16, v15
	v_mul_f32_e32 v2, v22, v2
	v_min_f32_e32 v2, 0x7cf0bdc2, v2
	s_waitcnt vmcnt(6)
	v_mul_f32_e32 v17, v17, v2
	v_lshl_add_u64 v[2:3], s[8:9], 0, v[10:11]
	global_store_dword v[2:3], v17, off
	v_fma_f32 v2, -v15, v16, 1.0
	v_fmac_f32_e32 v16, v2, v16
	v_div_scale_f32 v2, vcc, 1.0, v5, 1.0
	v_mul_f32_e32 v3, v2, v16
	v_fma_f32 v10, -v15, v3, v2
	v_fmac_f32_e32 v3, v10, v16
	v_fma_f32 v2, -v15, v3, v2
	v_mul_f32_e32 v10, v8, v30
	v_div_fmas_f32 v2, v2, v16, v3
	v_div_scale_f32 v11, s[0:1], v10, v10, 1.0
	v_div_fixup_f32 v2, v2, v5, 1.0
	v_rcp_f32_e32 v15, v11
	v_mul_f32_e32 v2, v22, v2
	v_min_f32_e32 v2, 0x7cf0bdc2, v2
	s_waitcnt vmcnt(5)
	v_mul_f32_e32 v5, v23, v2
	v_lshl_add_u64 v[2:3], s[8:9], 0, v[12:13]
	global_store_dword v[2:3], v5, off
	v_fma_f32 v3, -v11, v15, 1.0
	v_fmac_f32_e32 v15, v3, v15
	v_div_scale_f32 v3, vcc, 1.0, v10, 1.0
	v_mul_f32_e32 v5, v3, v15
	v_mul_f32_e32 v2, v9, v4
	v_fma_f32 v9, -v11, v5, v3
	v_fmac_f32_e32 v5, v9, v15
	v_fma_f32 v3, -v11, v5, v3
	v_div_fmas_f32 v3, v3, v15, v5
	v_mul_f32_e32 v9, v20, v30
	v_div_fixup_f32 v3, v3, v10, 1.0
	v_div_scale_f32 v10, s[0:1], v9, v9, 1.0
	v_rcp_f32_e32 v11, v10
	v_mul_f32_e32 v2, v2, v3
	v_min_f32_e32 v2, 0x7cf0bdc2, v2
	s_waitcnt vmcnt(4)
	v_mul_f32_e32 v5, v21, v2
	v_lshl_add_u64 v[2:3], s[8:9], 0, v[6:7]
	global_store_dword v[2:3], v5, off
	v_fma_f32 v3, -v10, v11, 1.0
	v_fmac_f32_e32 v11, v3, v11
	v_div_scale_f32 v3, vcc, 1.0, v9, 1.0
	v_mul_f32_e32 v2, v8, v4
	v_mul_f32_e32 v4, v3, v11
	v_fma_f32 v5, -v10, v4, v3
	v_fmac_f32_e32 v4, v5, v11
	v_fma_f32 v3, -v10, v4, v3
	v_div_fmas_f32 v3, v3, v11, v4
	v_div_fixup_f32 v3, v3, v9, 1.0
	v_mul_f32_e32 v2, v2, v3
	v_min_f32_e32 v2, 0x7cf0bdc2, v2
	s_waitcnt vmcnt(4)
	v_mul_f32_e32 v2, v14, v2
	global_store_dword v[0:1], v2, off
	s_endpgm
	.section	.rodata,"a",@progbits
	.p2align	6, 0x0
	.amdhsa_kernel _Z12ratt5_kernelIfEvPKT_S2_PS0_S2_S0_
		.amdhsa_group_segment_fixed_size 0
		.amdhsa_private_segment_fixed_size 0
		.amdhsa_kernarg_size 296
		.amdhsa_user_sgpr_count 2
		.amdhsa_user_sgpr_dispatch_ptr 0
		.amdhsa_user_sgpr_queue_ptr 0
		.amdhsa_user_sgpr_kernarg_segment_ptr 1
		.amdhsa_user_sgpr_dispatch_id 0
		.amdhsa_user_sgpr_kernarg_preload_length 0
		.amdhsa_user_sgpr_kernarg_preload_offset 0
		.amdhsa_user_sgpr_private_segment_size 0
		.amdhsa_uses_dynamic_stack 0
		.amdhsa_enable_private_segment 0
		.amdhsa_system_sgpr_workgroup_id_x 1
		.amdhsa_system_sgpr_workgroup_id_y 0
		.amdhsa_system_sgpr_workgroup_id_z 0
		.amdhsa_system_sgpr_workgroup_info 0
		.amdhsa_system_vgpr_workitem_id 0
		.amdhsa_next_free_vgpr 49
		.amdhsa_next_free_sgpr 13
		.amdhsa_accum_offset 52
		.amdhsa_reserve_vcc 1
		.amdhsa_float_round_mode_32 0
		.amdhsa_float_round_mode_16_64 0
		.amdhsa_float_denorm_mode_32 3
		.amdhsa_float_denorm_mode_16_64 3
		.amdhsa_dx10_clamp 1
		.amdhsa_ieee_mode 1
		.amdhsa_fp16_overflow 0
		.amdhsa_tg_split 0
		.amdhsa_exception_fp_ieee_invalid_op 0
		.amdhsa_exception_fp_denorm_src 0
		.amdhsa_exception_fp_ieee_div_zero 0
		.amdhsa_exception_fp_ieee_overflow 0
		.amdhsa_exception_fp_ieee_underflow 0
		.amdhsa_exception_fp_ieee_inexact 0
		.amdhsa_exception_int_div_zero 0
	.end_amdhsa_kernel
	.section	.text._Z12ratt5_kernelIfEvPKT_S2_PS0_S2_S0_,"axG",@progbits,_Z12ratt5_kernelIfEvPKT_S2_PS0_S2_S0_,comdat
.Lfunc_end6:
	.size	_Z12ratt5_kernelIfEvPKT_S2_PS0_S2_S0_, .Lfunc_end6-_Z12ratt5_kernelIfEvPKT_S2_PS0_S2_S0_
                                        ; -- End function
	.set _Z12ratt5_kernelIfEvPKT_S2_PS0_S2_S0_.num_vgpr, 49
	.set _Z12ratt5_kernelIfEvPKT_S2_PS0_S2_S0_.num_agpr, 0
	.set _Z12ratt5_kernelIfEvPKT_S2_PS0_S2_S0_.numbered_sgpr, 13
	.set _Z12ratt5_kernelIfEvPKT_S2_PS0_S2_S0_.num_named_barrier, 0
	.set _Z12ratt5_kernelIfEvPKT_S2_PS0_S2_S0_.private_seg_size, 0
	.set _Z12ratt5_kernelIfEvPKT_S2_PS0_S2_S0_.uses_vcc, 1
	.set _Z12ratt5_kernelIfEvPKT_S2_PS0_S2_S0_.uses_flat_scratch, 0
	.set _Z12ratt5_kernelIfEvPKT_S2_PS0_S2_S0_.has_dyn_sized_stack, 0
	.set _Z12ratt5_kernelIfEvPKT_S2_PS0_S2_S0_.has_recursion, 0
	.set _Z12ratt5_kernelIfEvPKT_S2_PS0_S2_S0_.has_indirect_call, 0
	.section	.AMDGPU.csdata,"",@progbits
; Kernel info:
; codeLenInByte = 4512
; TotalNumSgprs: 19
; NumVgprs: 49
; NumAgprs: 0
; TotalNumVgprs: 49
; ScratchSize: 0
; MemoryBound: 0
; FloatMode: 240
; IeeeMode: 1
; LDSByteSize: 0 bytes/workgroup (compile time only)
; SGPRBlocks: 2
; VGPRBlocks: 6
; NumSGPRsForWavesPerEU: 19
; NumVGPRsForWavesPerEU: 49
; AccumOffset: 52
; Occupancy: 8
; WaveLimiterHint : 0
; COMPUTE_PGM_RSRC2:SCRATCH_EN: 0
; COMPUTE_PGM_RSRC2:USER_SGPR: 2
; COMPUTE_PGM_RSRC2:TRAP_HANDLER: 0
; COMPUTE_PGM_RSRC2:TGID_X_EN: 1
; COMPUTE_PGM_RSRC2:TGID_Y_EN: 0
; COMPUTE_PGM_RSRC2:TGID_Z_EN: 0
; COMPUTE_PGM_RSRC2:TIDIG_COMP_CNT: 0
; COMPUTE_PGM_RSRC3_GFX90A:ACCUM_OFFSET: 12
; COMPUTE_PGM_RSRC3_GFX90A:TG_SPLIT: 0
	.section	.text._Z12ratt6_kernelIfEvPKT_S2_PS0_S2_S0_,"axG",@progbits,_Z12ratt6_kernelIfEvPKT_S2_PS0_S2_S0_,comdat
	.protected	_Z12ratt6_kernelIfEvPKT_S2_PS0_S2_S0_ ; -- Begin function _Z12ratt6_kernelIfEvPKT_S2_PS0_S2_S0_
	.globl	_Z12ratt6_kernelIfEvPKT_S2_PS0_S2_S0_
	.p2align	8
	.type	_Z12ratt6_kernelIfEvPKT_S2_PS0_S2_S0_,@function
_Z12ratt6_kernelIfEvPKT_S2_PS0_S2_S0_:  ; @_Z12ratt6_kernelIfEvPKT_S2_PS0_S2_S0_
; %bb.0:
	s_load_dword s3, s[0:1], 0x34
	s_load_dword s12, s[0:1], 0x28
	s_load_dwordx8 s[4:11], s[0:1], 0x0
	v_mov_b32_e32 v1, 0
	s_load_dword s0, s[0:1], 0x20
	s_waitcnt lgkmcnt(0)
	s_and_b32 s3, s3, 0xffff
	s_mul_i32 s2, s2, s3
	v_add_u32_e32 v0, s2, v0
	v_lshlrev_b64 v[4:5], 2, v[0:1]
	s_mul_i32 s2, s12, s3
	v_lshl_add_u64 v[2:3], s[4:5], 0, v[4:5]
	v_mad_u64_u32 v[6:7], s[4:5], s2, 3, v[0:1]
	v_mov_b32_e32 v7, v1
	global_load_dword v28, v[2:3], off
	v_lshl_add_u64 v[2:3], v[6:7], 2, s[10:11]
	v_mad_u64_u32 v[6:7], s[4:5], s2, 14, v[6:7]
	v_mov_b32_e32 v7, v1
	s_mul_i32 s3, s2, -11
	v_lshl_add_u64 v[8:9], v[6:7], 2, s[10:11]
	v_add_u32_e32 v6, s3, v6
	v_lshl_add_u64 v[10:11], v[6:7], 2, s[10:11]
	v_mad_u64_u32 v[6:7], s[4:5], s2, 10, v[6:7]
	v_mov_b32_e32 v7, v1
	v_lshl_add_u64 v[12:13], v[6:7], 2, s[10:11]
	global_load_dword v23, v[2:3], off
	global_load_dword v29, v[8:9], off
	;; [unrolled: 1-line block ×4, first 2 shown]
	s_mul_i32 s4, s2, 0x54
	v_add_u32_e32 v6, s4, v6
	s_mul_i32 s5, s2, 11
	v_lshl_add_u64 v[12:13], s[10:11], 0, v[4:5]
	v_lshlrev_b64 v[4:5], 2, v[6:7]
	v_add_u32_e32 v10, s2, v0
	v_add_u32_e32 v0, s5, v0
	v_lshl_add_u64 v[6:7], s[6:7], 0, v[4:5]
	global_load_dword v32, v[6:7], off
	v_lshl_add_u64 v[8:9], v[0:1], 2, s[10:11]
	global_load_dword v33, v[12:13], off
	global_load_dword v27, v[8:9], off
	s_mul_i32 s1, s2, 0x5a
	v_mov_b32_e32 v11, v1
	v_mov_b32_e32 v13, v1
	v_add_u32_e32 v12, s5, v10
	s_mul_i32 s5, s2, 0xffffff9d
	v_add_u32_e32 v0, s1, v0
	v_lshl_add_u64 v[6:7], v[10:11], 2, s[10:11]
	v_lshl_add_u64 v[10:11], v[12:13], 2, s[10:11]
	v_lshlrev_b64 v[12:13], 2, v[0:1]
	v_add_u32_e32 v0, s5, v0
	global_load_dword v25, v[10:11], off
	global_load_dword v22, v[6:7], off
	v_lshl_add_u64 v[10:11], s[6:7], 0, v[12:13]
	v_lshl_add_u64 v[14:15], v[0:1], 2, s[10:11]
	v_lshl_add_u32 v0, s2, 1, v0
	global_load_dword v36, v[10:11], off
	v_lshl_add_u64 v[16:17], v[0:1], 2, s[10:11]
	global_load_dword v24, v[14:15], off
	global_load_dword v26, v[16:17], off
	s_mul_i32 s4, s2, 0x62
	v_add_u32_e32 v0, s4, v0
	s_mul_i32 s12, s2, 0xffffff9f
	v_lshlrev_b64 v[10:11], 2, v[0:1]
	v_add_u32_e32 v0, s12, v0
	v_lshl_add_u64 v[18:19], s[6:7], 0, v[10:11]
	v_lshl_add_u64 v[20:21], v[0:1], 2, s[10:11]
	global_load_dword v34, v[18:19], off
	global_load_dword v35, v[20:21], off
	;; [unrolled: 1-line block ×3, first 2 shown]
	v_add_u32_e32 v0, s4, v0
	s_mul_i32 s4, s2, 0xffffffa1
	v_lshl_add_u64 v[12:13], s[8:9], 0, v[12:13]
	v_lshl_add_u64 v[10:11], s[8:9], 0, v[10:11]
	global_load_dword v7, v[6:7], off
	s_waitcnt vmcnt(16)
	v_mul_f32_e32 v2, s0, v28
	v_mul_f32_e32 v2, 0x4c9e9632, v2
	v_div_scale_f32 v3, s[0:1], v2, v2, 1.0
	v_rcp_f32_e32 v19, v3
	v_div_scale_f32 v18, vcc, 1.0, v2, 1.0
	s_waitcnt vmcnt(14)
	v_mul_f32_e32 v20, v23, v29
	s_waitcnt vmcnt(12)
	v_mul_f32_e32 v21, v30, v31
	v_div_scale_f32 v28, s[0:1], v21, v21, 1.0
	v_fma_f32 v30, -v3, v19, 1.0
	v_rcp_f32_e32 v31, v28
	v_fmac_f32_e32 v19, v30, v19
	v_mul_f32_e32 v30, v18, v19
	v_fma_f32 v38, -v3, v30, v18
	v_fmac_f32_e32 v30, v38, v19
	v_fma_f32 v38, -v28, v31, 1.0
	v_div_scale_f32 v29, s[0:1], 1.0, v21, 1.0
	v_fma_f32 v3, -v3, v30, v18
	v_fmac_f32_e32 v31, v38, v31
	v_div_fmas_f32 v3, v3, v19, v30
	v_mul_f32_e32 v18, v29, v31
	v_div_fixup_f32 v2, v3, v2, 1.0
	v_fma_f32 v3, -v28, v18, v29
	v_fmac_f32_e32 v18, v3, v31
	v_fma_f32 v3, -v28, v18, v29
	s_mov_b64 vcc, s[0:1]
	v_div_fmas_f32 v3, v3, v31, v18
	v_lshl_add_u64 v[18:19], s[8:9], 0, v[4:5]
	s_waitcnt vmcnt(9)
	v_mul_f32_e32 v5, v33, v27
	v_div_fixup_f32 v3, v3, v21, 1.0
	v_div_scale_f32 v30, s[0:1], v5, v5, 1.0
	v_mul_f32_e32 v3, v20, v3
	v_rcp_f32_e32 v31, v30
	v_min_f32_e32 v3, 0x7cf0bdc2, v3
	v_mul_f32_e32 v3, v32, v3
	global_load_dword v4, v[8:9], off
	v_lshlrev_b64 v[8:9], 2, v[0:1]
	v_add_u32_e32 v0, s4, v0
	global_store_dword v[18:19], v3, off
	v_lshl_add_u64 v[18:19], s[6:7], 0, v[8:9]
	v_mad_u64_u32 v[20:21], s[0:1], s2, 13, v[0:1]
	v_fma_f32 v6, -v30, v31, 1.0
	global_load_dword v38, v[18:19], off
	v_lshl_add_u64 v[18:19], v[0:1], 2, s[10:11]
	v_mov_b32_e32 v21, v1
	v_fmac_f32_e32 v31, v6, v31
	v_div_scale_f32 v6, vcc, 1.0, v5, 1.0
	v_lshl_add_u64 v[28:29], v[20:21], 2, s[10:11]
	global_load_dword v39, v[18:19], off
	global_load_dword v40, v[28:29], off
	v_mul_f32_e32 v32, v6, v31
	v_fma_f32 v33, -v30, v32, v6
	v_fmac_f32_e32 v32, v33, v31
	v_fma_f32 v0, -v30, v32, v6
	v_div_fmas_f32 v0, v0, v31, v32
	s_waitcnt vmcnt(12)
	v_mul_f32_e32 v3, v22, v25
	v_div_fixup_f32 v0, v0, v5, 1.0
	s_waitcnt vmcnt(9)
	v_mul_f32_e32 v6, v27, v26
	v_mul_f32_e32 v0, v3, v0
	global_load_dword v3, v[16:17], off
	global_load_dword v5, v[14:15], off
	v_div_scale_f32 v16, s[0:1], v6, v6, 1.0
	v_rcp_f32_e32 v17, v16
	v_min_f32_e32 v0, 0x7cf0bdc2, v0
	v_mul_f32_e32 v0, v36, v0
	global_store_dword v[12:13], v0, off
	v_fma_f32 v0, -v16, v17, 1.0
	s_mul_i32 s0, s2, 0x53
	v_fmac_f32_e32 v17, v0, v17
	v_add_u32_e32 v0, s0, v20
	v_lshlrev_b64 v[12:13], 2, v[0:1]
	v_lshl_add_u64 v[14:15], s[6:7], 0, v[12:13]
	global_load_dword v30, v[14:15], off
	v_div_scale_f32 v14, vcc, 1.0, v6, 1.0
	v_mul_f32_e32 v19, v14, v17
	v_fma_f32 v15, -v16, v19, v14
	v_fmac_f32_e32 v19, v15, v17
	v_add_u32_e32 v0, s4, v0
	v_fma_f32 v16, -v16, v19, v14
	v_lshl_add_u64 v[14:15], v[0:1], 2, s[10:11]
	s_mul_i32 s0, s2, 0x60
	global_load_dword v31, v[14:15], off
	v_div_fmas_f32 v16, v16, v17, v19
	v_add_u32_e32 v0, s0, v0
	v_mul_f32_e32 v18, v25, v24
	v_div_fixup_f32 v6, v16, v6, 1.0
	v_lshlrev_b64 v[16:17], 2, v[0:1]
	v_mul_f32_e32 v6, v18, v6
	v_lshl_add_u64 v[18:19], s[6:7], 0, v[16:17]
	v_add_u32_e32 v0, s4, v0
	v_min_f32_e32 v6, 0x7cf0bdc2, v6
	global_load_dword v33, v[18:19], off
	v_lshl_add_u64 v[18:19], v[0:1], 2, s[10:11]
	s_waitcnt vmcnt(14)
	v_mul_f32_e32 v6, v34, v6
	global_load_dword v34, v[18:19], off
	v_add_u32_e32 v0, s0, v0
	v_lshlrev_b64 v[18:19], 2, v[0:1]
	s_mul_i32 s0, s2, 0xffffffae
	v_lshl_add_u64 v[20:21], s[6:7], 0, v[18:19]
	v_add_u32_e32 v0, s0, v0
	s_waitcnt vmcnt(14)
	v_mul_f32_e32 v32, v27, v35
	global_load_dword v35, v[20:21], off
	v_lshl_add_u64 v[20:21], v[0:1], 2, s[10:11]
	v_add_u32_e32 v0, s3, v0
	v_lshl_add_u64 v[28:29], v[0:1], 2, s[10:11]
	global_load_dword v36, v[20:21], off
	global_load_dword v41, v[28:29], off
	v_div_scale_f32 v20, s[0:1], v32, v32, 1.0
	v_rcp_f32_e32 v21, v20
	global_store_dword v[10:11], v6, off
	s_mul_i32 s3, s2, 0x5e
	v_add_u32_e32 v0, s3, v0
	v_fma_f32 v10, -v20, v21, 1.0
	v_fmac_f32_e32 v21, v10, v21
	v_div_scale_f32 v10, vcc, 1.0, v32, 1.0
	v_mul_f32_e32 v11, v10, v21
	v_fma_f32 v42, -v20, v11, v10
	v_fmac_f32_e32 v11, v42, v21
	v_fma_f32 v10, -v20, v11, v10
	v_div_fmas_f32 v10, v10, v21, v11
	v_mul_f32_e32 v6, v25, v26
	v_div_fixup_f32 v10, v10, v32, 1.0
	v_lshlrev_b64 v[20:21], 2, v[0:1]
	v_mul_f32_e32 v6, v6, v10
	v_lshl_add_u64 v[10:11], s[6:7], 0, v[20:21]
	global_load_dword v11, v[10:11], off
	v_min_f32_e32 v6, 0x7cf0bdc2, v6
	s_waitcnt vmcnt(12)
	v_mul_f32_e32 v32, v22, v40
	v_mul_f32_e32 v6, v38, v6
	v_div_scale_f32 v38, s[0:1], v32, v32, 1.0
	v_rcp_f32_e32 v40, v38
	v_lshl_add_u64 v[8:9], s[8:9], 0, v[8:9]
	global_store_dword v[8:9], v6, off
	v_mul_f32_e32 v6, v25, v39
	v_fma_f32 v8, -v38, v40, 1.0
	v_fmac_f32_e32 v40, v8, v40
	v_div_scale_f32 v8, vcc, 1.0, v32, 1.0
	v_mul_f32_e32 v9, v8, v40
	v_fma_f32 v10, -v38, v9, v8
	v_fmac_f32_e32 v9, v10, v40
	v_fma_f32 v8, -v38, v9, v8
	v_div_fmas_f32 v8, v8, v40, v9
	v_div_fixup_f32 v8, v8, v32, 1.0
	v_mul_f32_e32 v6, v6, v8
	v_min_f32_e32 v6, 0x7cf0bdc2, v6
	v_mul_f32_e32 v27, v27, v27
	v_lshl_add_u64 v[8:9], s[8:9], 0, v[12:13]
	v_add_u32_e32 v0, s2, v0
	s_waitcnt vmcnt(9)
	v_mul_f32_e32 v6, v30, v6
	v_div_scale_f32 v30, s[0:1], v27, v27, 1.0
	v_rcp_f32_e32 v32, v30
	global_store_dword v[8:9], v6, off
	v_lshlrev_b64 v[12:13], 2, v[0:1]
	global_load_dword v10, v[14:15], off
	global_load_dword v6, v[14:15], off
	v_fma_f32 v8, -v30, v32, 1.0
	v_fmac_f32_e32 v32, v8, v32
	v_lshl_add_u64 v[8:9], s[6:7], 0, v[12:13]
	global_load_dword v38, v[8:9], off
	v_div_scale_f32 v8, vcc, 1.0, v27, 1.0
	v_mul_f32_e32 v9, v8, v32
	v_fma_f32 v15, -v30, v9, v8
	v_fmac_f32_e32 v9, v15, v32
	v_fma_f32 v8, -v30, v9, v8
	v_div_fmas_f32 v8, v8, v32, v9
	s_waitcnt vmcnt(12)
	v_mul_f32_e32 v14, v25, v31
	v_div_fixup_f32 v15, v8, v27, 1.0
	v_mul_f32_e32 v8, v15, v14
	v_min_f32_e32 v8, 0x7cf0bdc2, v8
	s_waitcnt vmcnt(11)
	v_mul_f32_e32 v14, v33, v8
	v_lshl_add_u64 v[8:9], s[8:9], 0, v[16:17]
	global_store_dword v[8:9], v14, off
	s_waitcnt vmcnt(11)
	v_mul_f32_e32 v8, v25, v34
	v_add_u32_e32 v0, s2, v0
	v_mul_f32_e32 v8, v15, v8
	v_lshlrev_b64 v[14:15], 2, v[0:1]
	v_lshl_add_u64 v[16:17], s[6:7], 0, v[14:15]
	global_load_dword v9, v[28:29], off
	s_mul_i32 s0, s2, 0xffffffa5
	global_load_dword v28, v[16:17], off
	v_add_u32_e32 v0, s0, v0
	s_waitcnt vmcnt(10)
	v_mul_f32_e32 v27, v34, v41
	v_div_scale_f32 v29, s[4:5], v27, v27, 1.0
	v_rcp_f32_e32 v30, v29
	v_min_f32_e32 v8, 0x7cf0bdc2, v8
	v_lshl_add_u64 v[16:17], v[0:1], 2, s[10:11]
	v_mul_f32_e32 v25, v35, v8
	global_load_dword v8, v[16:17], off
	v_lshl_add_u64 v[16:17], s[8:9], 0, v[18:19]
	global_store_dword v[16:17], v25, off
	v_fma_f32 v16, -v29, v30, 1.0
	v_fmac_f32_e32 v30, v16, v30
	v_div_scale_f32 v16, vcc, 1.0, v27, 1.0
	v_mul_f32_e32 v17, v16, v30
	v_fma_f32 v18, -v29, v17, v16
	v_fmac_f32_e32 v17, v18, v30
	v_fma_f32 v16, -v29, v17, v16
	v_div_fmas_f32 v16, v16, v30, v17
	v_mul_f32_e32 v25, v22, v36
	v_div_fixup_f32 v16, v16, v27, 1.0
	v_mul_f32_e32 v16, v25, v16
	v_min_f32_e32 v16, 0x7cf0bdc2, v16
	s_mul_i32 s1, s2, 0x5c
	s_waitcnt vmcnt(10)
	v_mul_f32_e32 v11, v11, v16
	v_mul_f32_e32 v16, v22, v41
	v_add_u32_e32 v0, s1, v0
	v_mul_f32_e32 v27, v41, v16
	v_lshlrev_b64 v[16:17], 2, v[0:1]
	s_mul_i32 s4, s2, 0xffffffa6
	v_lshl_add_u64 v[18:19], s[6:7], 0, v[16:17]
	v_add_u32_e32 v0, s4, v0
	global_load_dword v30, v[18:19], off
	v_lshl_add_u64 v[18:19], v[0:1], 2, s[10:11]
	global_load_dword v32, v[18:19], off
	v_mul_f32_e32 v2, 0x49776020, v2
	v_mul_f32_e32 v27, v2, v27
	v_div_scale_f32 v29, s[4:5], v27, v27, 1.0
	v_rcp_f32_e32 v33, v29
	v_lshl_add_u64 v[20:21], s[8:9], 0, v[20:21]
	global_store_dword v[20:21], v11, off
	v_mul_f32_e32 v11, v24, v36
	v_fma_f32 v20, -v29, v33, 1.0
	v_fmac_f32_e32 v33, v20, v33
	v_div_scale_f32 v20, vcc, 1.0, v27, 1.0
	v_mul_f32_e32 v21, v20, v33
	v_fma_f32 v34, -v29, v21, v20
	v_fmac_f32_e32 v21, v34, v33
	v_fma_f32 v20, -v29, v21, v20
	v_div_fmas_f32 v20, v20, v33, v21
	v_div_fixup_f32 v20, v20, v27, 1.0
	s_mul_i32 s4, s2, 0x5b
	v_mul_f32_e32 v11, v11, v20
	v_mul_f32_e32 v20, v26, v41
	v_add_u32_e32 v0, s4, v0
	v_mul_f32_e32 v29, v41, v20
	v_lshlrev_b64 v[20:21], 2, v[0:1]
	v_lshl_add_u64 v[26:27], s[6:7], 0, v[20:21]
	global_load_dword v33, v[26:27], off
	v_mul_f32_e32 v26, v2, v29
	v_div_scale_f32 v27, s[4:5], v26, v26, 1.0
	v_rcp_f32_e32 v29, v27
	v_min_f32_e32 v11, 0x7cf0bdc2, v11
	s_waitcnt vmcnt(9)
	v_mul_f32_e32 v11, v38, v11
	v_lshl_add_u64 v[12:13], s[8:9], 0, v[12:13]
	global_store_dword v[12:13], v11, off
	v_fma_f32 v12, -v27, v29, 1.0
	v_fmac_f32_e32 v29, v12, v29
	v_div_scale_f32 v12, vcc, 1.0, v26, 1.0
	v_mul_f32_e32 v13, v12, v29
	v_mul_f32_e32 v11, v23, v36
	v_fma_f32 v23, -v27, v13, v12
	v_fmac_f32_e32 v13, v23, v29
	v_fma_f32 v12, -v27, v13, v12
	v_div_fmas_f32 v12, v12, v29, v13
	v_div_fixup_f32 v12, v12, v26, 1.0
	v_mul_f32_e32 v11, v11, v12
	v_add_u32_e32 v0, s2, v0
	s_mul_i32 s4, s2, 0xffffffa3
	v_min_f32_e32 v11, 0x7cf0bdc2, v11
	v_lshlrev_b64 v[12:13], 2, v[0:1]
	v_add_u32_e32 v0, s4, v0
	s_waitcnt vmcnt(7)
	v_mul_f32_e32 v11, v28, v11
	v_lshl_add_u64 v[28:29], v[0:1], 2, s[10:11]
	v_lshl_add_u64 v[26:27], s[6:7], 0, v[12:13]
	global_load_dword v34, v[28:29], off
	global_load_dword v35, v[26:27], off
	s_waitcnt vmcnt(8)
	v_mul_f32_e32 v23, v41, v8
	v_div_scale_f32 v26, s[4:5], v23, v23, 1.0
	v_rcp_f32_e32 v27, v26
	v_lshl_add_u64 v[14:15], s[8:9], 0, v[14:15]
	global_store_dword v[14:15], v11, off
	v_mul_f32_e32 v11, v39, v36
	v_fma_f32 v14, -v26, v27, 1.0
	v_fmac_f32_e32 v27, v14, v27
	v_div_scale_f32 v14, vcc, 1.0, v23, 1.0
	v_mul_f32_e32 v15, v14, v27
	v_fma_f32 v38, -v26, v15, v14
	v_fmac_f32_e32 v15, v38, v27
	v_fma_f32 v14, -v26, v15, v14
	v_div_fmas_f32 v14, v14, v27, v15
	v_div_fixup_f32 v14, v14, v23, 1.0
	v_mul_f32_e32 v11, v11, v14
	v_min_f32_e32 v11, 0x7cf0bdc2, v11
	v_add_u32_e32 v0, s3, v0
	v_lshlrev_b64 v[14:15], 2, v[0:1]
	global_load_dword v26, v[18:19], off
	s_waitcnt vmcnt(8)
	v_mul_f32_e32 v11, v30, v11
	v_lshl_add_u64 v[18:19], s[6:7], 0, v[14:15]
	s_waitcnt vmcnt(7)
	v_mul_f32_e32 v23, v41, v32
	v_div_scale_f32 v27, s[4:5], v23, v23, 1.0
	v_rcp_f32_e32 v30, v27
	global_load_dword v38, v[18:19], off
	v_lshl_add_u64 v[16:17], s[8:9], 0, v[16:17]
	global_store_dword v[16:17], v11, off
	v_fma_f32 v16, -v27, v30, 1.0
	v_fmac_f32_e32 v30, v16, v30
	v_div_scale_f32 v16, vcc, 1.0, v23, 1.0
	v_mul_f32_e32 v17, v16, v30
	v_fma_f32 v18, -v27, v17, v16
	v_fmac_f32_e32 v17, v18, v30
	v_fma_f32 v16, -v27, v17, v16
	v_div_fmas_f32 v16, v16, v30, v17
	v_mul_f32_e32 v11, v31, v36
	v_div_fixup_f32 v16, v16, v23, 1.0
	v_add_u32_e32 v0, s2, v0
	v_mul_f32_e32 v11, v11, v16
	v_lshlrev_b64 v[16:17], 2, v[0:1]
	v_lshl_add_u64 v[18:19], s[6:7], 0, v[16:17]
	global_load_dword v23, v[18:19], off
	v_mul_f32_e32 v18, v41, v41
	v_mul_f32_e32 v18, v18, v8
	;; [unrolled: 1-line block ×3, first 2 shown]
	v_div_scale_f32 v30, s[4:5], v27, v27, 1.0
	v_rcp_f32_e32 v31, v30
	v_min_f32_e32 v11, 0x7cf0bdc2, v11
	s_waitcnt vmcnt(8)
	v_mul_f32_e32 v11, v33, v11
	v_lshl_add_u64 v[18:19], s[8:9], 0, v[20:21]
	global_store_dword v[18:19], v11, off
	v_fma_f32 v18, -v30, v31, 1.0
	v_fmac_f32_e32 v31, v18, v31
	v_div_scale_f32 v18, vcc, 1.0, v27, 1.0
	v_mul_f32_e32 v19, v18, v31
	v_fma_f32 v20, -v30, v19, v18
	v_fmac_f32_e32 v19, v20, v31
	v_fma_f32 v18, -v30, v19, v18
	v_add_u32_e32 v0, s2, v0
	v_div_fmas_f32 v30, v18, v31, v19
	v_lshlrev_b64 v[18:19], 2, v[0:1]
	v_lshl_add_u64 v[20:21], s[6:7], 0, v[18:19]
	global_load_dword v31, v[20:21], off
	v_mul_f32_e32 v11, v36, v36
	v_div_fixup_f32 v20, v30, v27, 1.0
	v_mul_f32_e32 v11, v11, v20
	global_load_dword v27, v[28:29], off
	v_min_f32_e32 v11, 0x7cf0bdc2, v11
	v_lshl_add_u64 v[12:13], s[8:9], 0, v[12:13]
	v_add_u32_e32 v0, s2, v0
	v_lshl_add_u64 v[14:15], s[8:9], 0, v[14:15]
	s_waitcnt vmcnt(9)
	v_div_scale_f32 v20, s[4:5], v34, v34, 1.0
	v_rcp_f32_e32 v28, v20
	s_waitcnt vmcnt(8)
	v_mul_f32_e32 v11, v11, v35
	global_store_dword v[12:13], v11, off
	v_lshl_add_u64 v[16:17], s[8:9], 0, v[16:17]
	v_fma_f32 v11, -v20, v28, 1.0
	v_fmac_f32_e32 v28, v11, v28
	v_div_scale_f32 v11, vcc, 1.0, v34, 1.0
	v_mul_f32_e32 v29, v11, v28
	v_fma_f32 v12, -v20, v29, v11
	v_fmac_f32_e32 v29, v12, v28
	v_lshlrev_b64 v[12:13], 2, v[0:1]
	v_fma_f32 v11, -v20, v29, v11
	v_lshl_add_u64 v[20:21], s[6:7], 0, v[12:13]
	v_add_u32_e32 v0, s0, v0
	global_load_dword v30, v[20:21], off
	v_lshl_add_u64 v[20:21], v[0:1], 2, s[10:11]
	global_load_dword v33, v[20:21], off
	v_mul_f32_e32 v20, v22, v8
	v_mul_f32_e32 v20, v2, v20
	v_div_fmas_f32 v11, v11, v28, v29
	v_div_scale_f32 v21, s[4:5], v20, v20, 1.0
	v_div_fixup_f32 v11, v11, v34, 1.0
	v_rcp_f32_e32 v22, v21
	v_mul_f32_e32 v11, v8, v11
	v_min_f32_e32 v11, 0x7cf0bdc2, v11
	v_add_u32_e32 v0, s1, v0
	s_waitcnt vmcnt(8)
	v_mul_f32_e32 v11, v38, v11
	global_store_dword v[14:15], v11, off
	v_fma_f32 v11, -v21, v22, 1.0
	v_fmac_f32_e32 v22, v11, v22
	v_div_scale_f32 v11, vcc, 1.0, v20, 1.0
	v_mul_f32_e32 v14, v11, v22
	v_fma_f32 v15, -v21, v14, v11
	v_fmac_f32_e32 v14, v15, v22
	v_fma_f32 v11, -v21, v14, v11
	v_div_fmas_f32 v11, v11, v22, v14
	v_lshlrev_b64 v[14:15], 2, v[0:1]
	v_div_fixup_f32 v11, v11, v20, 1.0
	v_lshl_add_u64 v[20:21], s[6:7], 0, v[14:15]
	global_load_dword v20, v[20:21], off
	v_div_scale_f32 v21, s[4:5], v25, v25, 1.0
	v_rcp_f32_e32 v22, v21
	v_mul_f32_e32 v11, v32, v11
	v_min_f32_e32 v11, 0x7cf0bdc2, v11
	s_waitcnt vmcnt(8)
	v_mul_f32_e32 v11, v11, v23
	global_store_dword v[16:17], v11, off
	v_fma_f32 v11, -v21, v22, 1.0
	v_fmac_f32_e32 v22, v11, v22
	v_div_scale_f32 v11, vcc, 1.0, v25, 1.0
	v_mul_f32_e32 v16, v11, v22
	v_fma_f32 v17, -v21, v16, v11
	v_fmac_f32_e32 v16, v17, v22
	v_fma_f32 v11, -v21, v16, v11
	v_mul_f32_e32 v21, v10, v9
	v_div_fmas_f32 v11, v11, v22, v16
	v_div_scale_f32 v22, s[4:5], v21, v21, 1.0
	v_mul_f32_e32 v23, v24, v8
	v_div_fixup_f32 v11, v11, v25, 1.0
	v_rcp_f32_e32 v24, v22
	v_mul_f32_e32 v11, v11, v23
	v_min_f32_e32 v11, 0x7cf0bdc2, v11
	v_add_u32_e32 v0, s2, v0
	s_mul_i32 s3, s2, 0xffffff99
	s_waitcnt vmcnt(7)
	v_mul_f32_e32 v16, v11, v31
	v_lshl_add_u64 v[10:11], s[8:9], 0, v[18:19]
	global_store_dword v[10:11], v16, off
	v_fma_f32 v10, -v22, v24, 1.0
	v_fmac_f32_e32 v24, v10, v24
	v_div_scale_f32 v18, vcc, 1.0, v21, 1.0
	v_mul_f32_e32 v19, v18, v24
	v_fma_f32 v10, -v22, v19, v18
	v_fmac_f32_e32 v19, v10, v24
	v_lshlrev_b64 v[10:11], 2, v[0:1]
	v_lshl_add_u64 v[16:17], s[6:7], 0, v[10:11]
	global_load_dword v25, v[16:17], off
	v_fma_f32 v16, -v22, v19, v18
	v_add_u32_e32 v0, s3, v0
	v_div_fmas_f32 v18, v16, v24, v19
	v_lshl_add_u64 v[16:17], v[0:1], 2, s[10:11]
	global_load_dword v24, v[16:17], off
	v_div_fixup_f32 v28, v18, v21, 1.0
	v_mul_f32_e32 v16, v23, v28
	v_min_f32_e32 v16, 0x7cf0bdc2, v16
	v_lshl_add_u64 v[12:13], s[8:9], 0, v[12:13]
	s_mul_i32 s3, s2, 0x68
	v_add_u32_e32 v0, s3, v0
	v_mul_f32_e32 v21, v3, v8
	v_lshl_add_u64 v[14:15], s[8:9], 0, v[14:15]
	s_waitcnt vmcnt(7)
	v_mul_f32_e32 v16, v30, v16
	global_store_dword v[12:13], v16, off
	s_waitcnt vmcnt(7)
	v_mul_f32_e32 v7, v7, v33
	v_div_scale_f32 v18, s[4:5], v7, v7, 1.0
	v_rcp_f32_e32 v19, v18
	v_lshl_add_u64 v[10:11], s[8:9], 0, v[10:11]
	v_fma_f32 v12, -v18, v19, 1.0
	v_fmac_f32_e32 v19, v12, v19
	v_lshlrev_b64 v[12:13], 2, v[0:1]
	v_lshl_add_u64 v[16:17], s[6:7], 0, v[12:13]
	v_add_u32_e32 v0, s0, v0
	global_load_dword v29, v[16:17], off
	v_lshl_add_u64 v[16:17], v[0:1], 2, s[10:11]
	global_load_dword v30, v[16:17], off
	v_div_scale_f32 v16, vcc, 1.0, v7, 1.0
	v_mul_f32_e32 v17, v16, v19
	v_fma_f32 v22, -v18, v17, v16
	v_fmac_f32_e32 v17, v22, v19
	v_fma_f32 v16, -v18, v17, v16
	v_div_fmas_f32 v16, v16, v19, v17
	v_div_fixup_f32 v7, v16, v7, 1.0
	v_mul_f32_e32 v16, v21, v7
	v_mul_f32_e32 v18, v4, v9
	v_min_f32_e32 v16, 0x7cf0bdc2, v16
	v_div_scale_f32 v19, s[4:5], v18, v18, 1.0
	s_waitcnt vmcnt(7)
	v_mul_f32_e32 v16, v20, v16
	v_rcp_f32_e32 v20, v19
	v_add_u32_e32 v0, s1, v0
	global_store_dword v[14:15], v16, off
	v_lshlrev_b64 v[14:15], 2, v[0:1]
	v_lshl_add_u64 v[16:17], s[6:7], 0, v[14:15]
	global_load_dword v31, v[16:17], off
	v_fma_f32 v16, -v19, v20, 1.0
	v_fmac_f32_e32 v20, v16, v20
	v_div_scale_f32 v16, vcc, 1.0, v18, 1.0
	v_mul_f32_e32 v17, v16, v20
	v_fma_f32 v22, -v19, v17, v16
	v_fmac_f32_e32 v17, v22, v20
	v_fma_f32 v16, -v19, v17, v16
	v_div_fmas_f32 v16, v16, v20, v17
	v_div_fixup_f32 v16, v16, v18, 1.0
	v_add_u32_e32 v0, s2, v0
	v_mul_f32_e32 v20, v21, v16
	v_lshlrev_b64 v[16:17], 2, v[0:1]
	v_lshl_add_u64 v[18:19], s[6:7], 0, v[16:17]
	v_add_u32_e32 v0, s2, v0
	global_load_dword v32, v[18:19], off
	v_lshlrev_b64 v[18:19], 2, v[0:1]
	v_min_f32_e32 v33, 0x7cf0bdc2, v20
	v_lshl_add_u64 v[20:21], s[6:7], 0, v[18:19]
	v_add_u32_e32 v0, s2, v0
	global_load_dword v34, v[20:21], off
	v_lshlrev_b64 v[20:21], 2, v[0:1]
	s_mul_i32 s0, s2, 0xffffff93
	v_lshl_add_u64 v[22:23], s[6:7], 0, v[20:21]
	v_add_u32_e32 v0, s0, v0
	global_load_dword v35, v[22:23], off
	v_lshl_add_u64 v[22:23], v[0:1], 2, s[10:11]
	global_load_dword v22, v[22:23], off
	v_mul_f32_e32 v9, v9, v26
	s_waitcnt vmcnt(10)
	v_mul_f32_e32 v23, v25, v33
	v_div_scale_f32 v25, s[0:1], v9, v9, 1.0
	v_rcp_f32_e32 v26, v25
	global_store_dword v[10:11], v23, off
	s_waitcnt vmcnt(10)
	v_mul_f32_e32 v23, v24, v8
	v_div_scale_f32 v24, vcc, 1.0, v9, 1.0
	v_fma_f32 v10, -v25, v26, 1.0
	v_fmac_f32_e32 v26, v10, v26
	s_mulk_i32 s2, 0x6e
	v_mul_f32_e32 v33, v24, v26
	v_add_u32_e32 v0, s2, v0
	v_fma_f32 v10, -v25, v33, v24
	v_lshlrev_b64 v[0:1], 2, v[0:1]
	v_fmac_f32_e32 v33, v10, v26
	v_lshl_add_u64 v[10:11], s[6:7], 0, v[0:1]
	global_load_dword v36, v[10:11], off
	v_fma_f32 v10, -v25, v33, v24
	v_div_fmas_f32 v10, v10, v26, v33
	v_div_fixup_f32 v9, v10, v9, 1.0
	v_lshl_add_u64 v[10:11], s[8:9], 0, v[12:13]
	v_mul_f32_e32 v9, v23, v9
	v_mul_f32_e32 v4, v4, v8
	v_min_f32_e32 v9, 0x7cf0bdc2, v9
	v_mul_f32_e32 v2, v2, v4
	v_lshl_add_u64 v[0:1], s[8:9], 0, v[0:1]
	s_waitcnt vmcnt(9)
	v_mul_f32_e32 v9, v29, v9
	global_store_dword v[10:11], v9, off
	s_waitcnt vmcnt(9)
	v_div_scale_f32 v12, s[0:1], v30, v30, 1.0
	v_rcp_f32_e32 v13, v12
	s_nop 0
	v_fma_f32 v4, -v12, v13, 1.0
	v_fmac_f32_e32 v13, v4, v13
	v_div_scale_f32 v4, vcc, 1.0, v30, 1.0
	v_mul_f32_e32 v9, v4, v13
	v_fma_f32 v10, -v12, v9, v4
	v_fmac_f32_e32 v9, v10, v13
	v_fma_f32 v4, -v12, v9, v4
	v_div_fmas_f32 v4, v4, v13, v9
	v_div_fixup_f32 v4, v4, v30, 1.0
	v_mul_f32_e32 v2, v2, v4
	v_div_scale_f32 v4, s[0:1], v27, v27, 1.0
	v_rcp_f32_e32 v9, v4
	v_min_f32_e32 v2, 0x7cf0bdc2, v2
	s_waitcnt vmcnt(7)
	v_mul_f32_e32 v2, v31, v2
	v_lshl_add_u64 v[10:11], s[8:9], 0, v[14:15]
	global_store_dword v[10:11], v2, off
	v_fma_f32 v2, -v4, v9, 1.0
	v_fmac_f32_e32 v9, v2, v9
	v_div_scale_f32 v2, vcc, 1.0, v27, 1.0
	v_mul_f32_e32 v10, v2, v9
	v_fma_f32 v11, -v4, v10, v2
	v_fmac_f32_e32 v10, v11, v9
	v_fma_f32 v2, -v4, v10, v2
	v_div_fmas_f32 v2, v2, v9, v10
	v_div_fixup_f32 v2, v2, v27, 1.0
	v_mul_f32_e32 v2, v8, v2
	v_min_f32_e32 v2, 0x7cf0bdc2, v2
	s_waitcnt vmcnt(7)
	v_mul_f32_e32 v2, v32, v2
	v_lshl_add_u64 v[8:9], s[8:9], 0, v[16:17]
	global_store_dword v[8:9], v2, off
	v_mul_f32_e32 v2, v5, v27
	v_mul_f32_e32 v2, v2, v28
	v_min_f32_e32 v2, 0x7cf0bdc2, v2
	s_waitcnt vmcnt(7)
	v_mul_f32_e32 v2, v34, v2
	v_lshl_add_u64 v[4:5], s[8:9], 0, v[18:19]
	global_store_dword v[4:5], v2, off
	v_mul_f32_e32 v2, v3, v27
	v_mul_f32_e32 v2, v2, v7
	v_min_f32_e32 v2, 0x7cf0bdc2, v2
	s_waitcnt vmcnt(6)
	v_mul_f32_e32 v5, v6, v22
	v_div_scale_f32 v6, s[0:1], v5, v5, 1.0
	v_rcp_f32_e32 v7, v6
	v_mul_f32_e32 v4, v35, v2
	v_lshl_add_u64 v[2:3], s[8:9], 0, v[20:21]
	global_store_dword v[2:3], v4, off
	v_fma_f32 v3, -v6, v7, 1.0
	v_fmac_f32_e32 v7, v3, v7
	v_div_scale_f32 v3, vcc, 1.0, v5, 1.0
	v_mul_f32_e32 v4, v3, v7
	v_fma_f32 v8, -v6, v4, v3
	v_fmac_f32_e32 v4, v8, v7
	v_fma_f32 v3, -v6, v4, v3
	v_div_fmas_f32 v3, v3, v7, v4
	v_mul_f32_e32 v2, v37, v27
	v_div_fixup_f32 v3, v3, v5, 1.0
	v_mul_f32_e32 v2, v2, v3
	v_min_f32_e32 v2, 0x7cf0bdc2, v2
	s_waitcnt vmcnt(5)
	v_mul_f32_e32 v2, v36, v2
	global_store_dword v[0:1], v2, off
	s_endpgm
	.section	.rodata,"a",@progbits
	.p2align	6, 0x0
	.amdhsa_kernel _Z12ratt6_kernelIfEvPKT_S2_PS0_S2_S0_
		.amdhsa_group_segment_fixed_size 0
		.amdhsa_private_segment_fixed_size 0
		.amdhsa_kernarg_size 296
		.amdhsa_user_sgpr_count 2
		.amdhsa_user_sgpr_dispatch_ptr 0
		.amdhsa_user_sgpr_queue_ptr 0
		.amdhsa_user_sgpr_kernarg_segment_ptr 1
		.amdhsa_user_sgpr_dispatch_id 0
		.amdhsa_user_sgpr_kernarg_preload_length 0
		.amdhsa_user_sgpr_kernarg_preload_offset 0
		.amdhsa_user_sgpr_private_segment_size 0
		.amdhsa_uses_dynamic_stack 0
		.amdhsa_enable_private_segment 0
		.amdhsa_system_sgpr_workgroup_id_x 1
		.amdhsa_system_sgpr_workgroup_id_y 0
		.amdhsa_system_sgpr_workgroup_id_z 0
		.amdhsa_system_sgpr_workgroup_info 0
		.amdhsa_system_vgpr_workitem_id 0
		.amdhsa_next_free_vgpr 43
		.amdhsa_next_free_sgpr 13
		.amdhsa_accum_offset 44
		.amdhsa_reserve_vcc 1
		.amdhsa_float_round_mode_32 0
		.amdhsa_float_round_mode_16_64 0
		.amdhsa_float_denorm_mode_32 3
		.amdhsa_float_denorm_mode_16_64 3
		.amdhsa_dx10_clamp 1
		.amdhsa_ieee_mode 1
		.amdhsa_fp16_overflow 0
		.amdhsa_tg_split 0
		.amdhsa_exception_fp_ieee_invalid_op 0
		.amdhsa_exception_fp_denorm_src 0
		.amdhsa_exception_fp_ieee_div_zero 0
		.amdhsa_exception_fp_ieee_overflow 0
		.amdhsa_exception_fp_ieee_underflow 0
		.amdhsa_exception_fp_ieee_inexact 0
		.amdhsa_exception_int_div_zero 0
	.end_amdhsa_kernel
	.section	.text._Z12ratt6_kernelIfEvPKT_S2_PS0_S2_S0_,"axG",@progbits,_Z12ratt6_kernelIfEvPKT_S2_PS0_S2_S0_,comdat
.Lfunc_end7:
	.size	_Z12ratt6_kernelIfEvPKT_S2_PS0_S2_S0_, .Lfunc_end7-_Z12ratt6_kernelIfEvPKT_S2_PS0_S2_S0_
                                        ; -- End function
	.set _Z12ratt6_kernelIfEvPKT_S2_PS0_S2_S0_.num_vgpr, 43
	.set _Z12ratt6_kernelIfEvPKT_S2_PS0_S2_S0_.num_agpr, 0
	.set _Z12ratt6_kernelIfEvPKT_S2_PS0_S2_S0_.numbered_sgpr, 13
	.set _Z12ratt6_kernelIfEvPKT_S2_PS0_S2_S0_.num_named_barrier, 0
	.set _Z12ratt6_kernelIfEvPKT_S2_PS0_S2_S0_.private_seg_size, 0
	.set _Z12ratt6_kernelIfEvPKT_S2_PS0_S2_S0_.uses_vcc, 1
	.set _Z12ratt6_kernelIfEvPKT_S2_PS0_S2_S0_.uses_flat_scratch, 0
	.set _Z12ratt6_kernelIfEvPKT_S2_PS0_S2_S0_.has_dyn_sized_stack, 0
	.set _Z12ratt6_kernelIfEvPKT_S2_PS0_S2_S0_.has_recursion, 0
	.set _Z12ratt6_kernelIfEvPKT_S2_PS0_S2_S0_.has_indirect_call, 0
	.section	.AMDGPU.csdata,"",@progbits
; Kernel info:
; codeLenInByte = 4364
; TotalNumSgprs: 19
; NumVgprs: 43
; NumAgprs: 0
; TotalNumVgprs: 43
; ScratchSize: 0
; MemoryBound: 0
; FloatMode: 240
; IeeeMode: 1
; LDSByteSize: 0 bytes/workgroup (compile time only)
; SGPRBlocks: 2
; VGPRBlocks: 5
; NumSGPRsForWavesPerEU: 19
; NumVGPRsForWavesPerEU: 43
; AccumOffset: 44
; Occupancy: 8
; WaveLimiterHint : 0
; COMPUTE_PGM_RSRC2:SCRATCH_EN: 0
; COMPUTE_PGM_RSRC2:USER_SGPR: 2
; COMPUTE_PGM_RSRC2:TRAP_HANDLER: 0
; COMPUTE_PGM_RSRC2:TGID_X_EN: 1
; COMPUTE_PGM_RSRC2:TGID_Y_EN: 0
; COMPUTE_PGM_RSRC2:TGID_Z_EN: 0
; COMPUTE_PGM_RSRC2:TIDIG_COMP_CNT: 0
; COMPUTE_PGM_RSRC3_GFX90A:ACCUM_OFFSET: 10
; COMPUTE_PGM_RSRC3_GFX90A:TG_SPLIT: 0
	.section	.text._Z12ratt7_kernelIfEvPKT_S2_PS0_S2_S0_,"axG",@progbits,_Z12ratt7_kernelIfEvPKT_S2_PS0_S2_S0_,comdat
	.protected	_Z12ratt7_kernelIfEvPKT_S2_PS0_S2_S0_ ; -- Begin function _Z12ratt7_kernelIfEvPKT_S2_PS0_S2_S0_
	.globl	_Z12ratt7_kernelIfEvPKT_S2_PS0_S2_S0_
	.p2align	8
	.type	_Z12ratt7_kernelIfEvPKT_S2_PS0_S2_S0_,@function
_Z12ratt7_kernelIfEvPKT_S2_PS0_S2_S0_:  ; @_Z12ratt7_kernelIfEvPKT_S2_PS0_S2_S0_
; %bb.0:
	s_load_dword s3, s[0:1], 0x34
	s_load_dword s12, s[0:1], 0x28
	s_load_dwordx8 s[4:11], s[0:1], 0x0
	v_mov_b32_e32 v1, 0
	s_load_dword s0, s[0:1], 0x20
	s_waitcnt lgkmcnt(0)
	s_and_b32 s3, s3, 0xffff
	s_mul_i32 s2, s2, s3
	v_add_u32_e32 v0, s2, v0
	v_lshlrev_b64 v[10:11], 2, v[0:1]
	v_lshl_add_u64 v[2:3], s[4:5], 0, v[10:11]
	global_load_dword v17, v[2:3], off
	s_mul_i32 s4, s12, s3
	v_add_u32_e32 v0, s4, v0
	v_mad_u64_u32 v[6:7], s[2:3], s4, 24, v[0:1]
	v_lshl_add_u64 v[2:3], v[0:1], 2, s[10:11]
	v_mov_b32_e32 v7, v1
	v_add_u32_e32 v0, s4, v6
	v_lshl_add_u64 v[4:5], v[6:7], 2, s[10:11]
	v_lshl_add_u64 v[6:7], v[0:1], 2, s[10:11]
	global_load_dword v14, v[2:3], off
	global_load_dword v15, v[4:5], off
	;; [unrolled: 1-line block ×3, first 2 shown]
	s_mul_i32 s2, s4, 0x63
	v_add_u32_e32 v0, s2, v0
	s_mul_i32 s2, s4, 0xffffff9b
	v_lshlrev_b64 v[8:9], 2, v[0:1]
	v_lshl_add_u64 v[10:11], s[10:11], 0, v[10:11]
	v_add_u32_e32 v0, s2, v0
	v_lshl_add_u64 v[18:19], v[0:1], 2, s[10:11]
	global_load_dword v13, v[10:11], off
	global_load_dword v16, v[18:19], off
	v_lshl_add_u64 v[18:19], s[6:7], 0, v[8:9]
	global_load_dword v18, v[18:19], off
	s_mul_i32 s1, s4, 0x66
	s_mul_i32 s3, s4, 0xffffff8d
	v_add_u32_e32 v0, s1, v0
	s_lshl_b32 s2, s4, 1
	global_load_dword v19, v[6:7], off
	global_load_dword v20, v[4:5], off
	;; [unrolled: 1-line block ×3, first 2 shown]
	v_lshl_add_u64 v[4:5], s[8:9], 0, v[8:9]
	v_lshlrev_b64 v[8:9], 2, v[0:1]
	v_add_u32_e32 v0, s3, v0
	v_lshl_add_u64 v[6:7], s[6:7], 0, v[8:9]
	v_lshl_add_u64 v[22:23], v[0:1], 2, s[10:11]
	v_add_u32_e32 v0, s2, v0
	global_load_dword v2, v[10:11], off
	global_load_dword v34, v[6:7], off
	v_lshl_add_u64 v[24:25], v[0:1], 2, s[10:11]
	global_load_dword v35, v[22:23], off
	global_load_dword v36, v[24:25], off
	s_mul_i32 s5, s4, 0x72
	s_mul_i32 s12, s4, 0xffffff83
	v_add_u32_e32 v0, s5, v0
	v_lshlrev_b64 v[26:27], 2, v[0:1]
	v_add_u32_e32 v0, s12, v0
	v_lshl_add_u64 v[6:7], s[6:7], 0, v[26:27]
	v_lshl_add_u64 v[10:11], v[0:1], 2, s[10:11]
	v_add_u32_e32 v0, s2, v0
	global_load_dword v37, v[6:7], off
	v_lshl_add_u64 v[28:29], v[0:1], 2, s[10:11]
	global_load_dword v7, v[10:11], off
	global_load_dword v6, v[28:29], off
	v_lshl_add_u64 v[8:9], s[8:9], 0, v[8:9]
	s_waitcnt vmcnt(16)
	v_mul_f32_e32 v3, s0, v17
	v_mul_f32_e32 v3, 0x4c9e9632, v3
	v_div_scale_f32 v11, s[0:1], v3, v3, 1.0
	v_rcp_f32_e32 v30, v11
	v_div_scale_f32 v17, vcc, 1.0, v3, 1.0
	v_fma_f32 v32, -v11, v30, 1.0
	v_fmac_f32_e32 v30, v32, v30
	s_waitcnt vmcnt(13)
	v_div_scale_f32 v28, s[0:1], v12, v12, 1.0
	v_rcp_f32_e32 v31, v28
	v_mul_f32_e32 v32, v17, v30
	v_div_scale_f32 v29, s[0:1], 1.0, v12, 1.0
	v_fma_f32 v33, -v28, v31, 1.0
	v_fmac_f32_e32 v31, v33, v31
	v_fma_f32 v42, -v11, v32, v17
	v_mul_f32_e32 v33, v29, v31
	v_fmac_f32_e32 v32, v42, v30
	s_waitcnt vmcnt(11)
	v_mul_f32_e32 v38, v13, v16
	v_fma_f32 v43, -v28, v33, v29
	v_fma_f32 v11, -v11, v32, v17
	v_div_scale_f32 v39, s[2:3], v38, v38, 1.0
	v_fmac_f32_e32 v33, v43, v31
	v_div_fmas_f32 v11, v11, v30, v32
	v_rcp_f32_e32 v41, v39
	v_fma_f32 v17, -v28, v33, v29
	v_div_fixup_f32 v3, v11, v3, 1.0
	s_mov_b64 vcc, s[0:1]
	v_mul_f32_e32 v10, v14, v15
	v_div_fmas_f32 v11, v17, v31, v33
	v_mul_f32_e32 v3, 0x49776020, v3
	v_div_fixup_f32 v11, v11, v12, 1.0
	v_mul_f32_e32 v17, v10, v3
	v_mul_f32_e32 v11, v11, v17
	v_fma_f32 v44, -v39, v41, 1.0
	v_min_f32_e32 v11, 0x7cf0bdc2, v11
	s_mul_i32 s0, s4, 0x7c
	v_div_scale_f32 v40, s[2:3], 1.0, v38, 1.0
	v_fmac_f32_e32 v41, v44, v41
	s_waitcnt vmcnt(10)
	v_mul_f32_e32 v11, v18, v11
	v_add_u32_e32 v0, s0, v0
	s_mul_i32 s0, s4, 0xffffff89
	global_store_dword v[4:5], v11, off
	v_mul_f32_e32 v11, v40, v41
	v_lshlrev_b64 v[28:29], 2, v[0:1]
	v_add_u32_e32 v0, s0, v0
	v_fma_f32 v4, -v39, v11, v40
	v_mad_u64_u32 v[30:31], s[12:13], s4, 5, v[0:1]
	v_fmac_f32_e32 v11, v4, v41
	v_lshl_add_u64 v[4:5], v[0:1], 2, s[10:11]
	v_mov_b32_e32 v31, v1
	v_lshl_add_u64 v[32:33], v[30:31], 2, s[10:11]
	global_load_dword v17, v[4:5], off
	global_load_dword v18, v[32:33], off
	v_lshl_add_u64 v[4:5], s[6:7], 0, v[28:29]
	v_fma_f32 v0, -v39, v11, v40
	global_load_dword v39, v[4:5], off
	s_mov_b64 vcc, s[2:3]
	v_div_fmas_f32 v0, v0, v41, v11
	s_waitcnt vmcnt(7)
	v_mul_f32_e32 v11, v35, v36
	global_load_dword v5, v[24:25], off
	global_load_dword v4, v[22:23], off
	v_div_scale_f32 v24, s[2:3], v11, v11, 1.0
	v_div_fixup_f32 v0, v0, v38, 1.0
	v_rcp_f32_e32 v25, v24
	v_mul_f32_e32 v0, v10, v0
	v_min_f32_e32 v0, 0x7cf0bdc2, v0
	v_mul_f32_e32 v0, v34, v0
	global_store_dword v[8:9], v0, off
	v_fma_f32 v0, -v24, v25, 1.0
	s_mul_i32 s1, s4, 0x73
	v_fmac_f32_e32 v25, v0, v25
	v_add_u32_e32 v0, s1, v30
	v_lshlrev_b64 v[22:23], 2, v[0:1]
	s_mul_i32 s2, s4, 0xffffff84
	v_lshl_add_u64 v[8:9], s[6:7], 0, v[22:23]
	v_add_u32_e32 v0, s2, v0
	global_load_dword v38, v[8:9], off
	v_lshl_add_u64 v[8:9], v[0:1], 2, s[10:11]
	global_load_dword v40, v[8:9], off
	v_div_scale_f32 v8, vcc, 1.0, v11, 1.0
	v_mul_f32_e32 v9, v8, v25
	v_fma_f32 v30, -v24, v9, v8
	v_fmac_f32_e32 v9, v30, v25
	v_fma_f32 v8, -v24, v9, v8
	s_waitcnt vmcnt(9)
	v_mul_f32_e32 v34, v16, v6
	v_div_fmas_f32 v8, v8, v25, v9
	v_div_scale_f32 v35, s[2:3], v34, v34, 1.0
	v_div_fixup_f32 v41, v8, v11, 1.0
	s_mul_i32 s2, s4, 0x7d
	v_mul_f32_e32 v8, v10, v41
	v_add_u32_e32 v0, s2, v0
	v_min_f32_e32 v8, 0x7cf0bdc2, v8
	v_lshlrev_b64 v[24:25], 2, v[0:1]
	v_mul_f32_e32 v11, v37, v8
	v_lshl_add_u64 v[8:9], s[6:7], 0, v[24:25]
	global_load_dword v42, v[8:9], off
	v_rcp_f32_e32 v36, v35
	v_lshl_add_u64 v[8:9], s[8:9], 0, v[26:27]
	global_store_dword v[8:9], v11, off
	v_div_scale_f32 v11, vcc, 1.0, v34, 1.0
	v_fma_f32 v8, -v35, v36, 1.0
	v_fmac_f32_e32 v36, v8, v36
	v_mul_f32_e32 v26, v11, v36
	s_mul_i32 s2, s4, 0xffffff92
	v_fma_f32 v27, -v35, v26, v11
	v_add_u32_e32 v0, s2, v0
	v_fmac_f32_e32 v26, v27, v36
	v_lshl_add_u64 v[30:31], v[0:1], 2, s[10:11]
	v_add_u32_e32 v0, s4, v0
	v_fma_f32 v11, -v35, v26, v11
	s_mul_i32 s2, s4, 0x6e
	v_lshl_add_u64 v[32:33], v[0:1], 2, s[10:11]
	v_div_fmas_f32 v11, v11, v36, v26
	v_add_u32_e32 v0, s2, v0
	v_mul_f32_e32 v9, v15, v7
	v_div_fixup_f32 v11, v11, v34, 1.0
	global_load_dword v43, v[32:33], off
	v_mul_f32_e32 v11, v9, v11
	v_min_f32_e32 v11, 0x7cf0bdc2, v11
	v_lshl_add_u64 v[28:29], s[8:9], 0, v[28:29]
	v_lshlrev_b64 v[26:27], 2, v[0:1]
	s_mul_i32 s12, s4, 0xffffff8f
	v_add_u32_e32 v0, s12, v0
	v_lshl_add_u64 v[34:35], v[0:1], 2, s[10:11]
	v_add_u32_e32 v0, s5, v0
	global_load_dword v44, v[34:35], off
	s_waitcnt vmcnt(10)
	v_mul_f32_e32 v17, v17, v18
	v_div_scale_f32 v18, s[2:3], v17, v17, 1.0
	v_rcp_f32_e32 v36, v18
	s_waitcnt vmcnt(9)
	v_mul_f32_e32 v11, v39, v11
	global_store_dword v[28:29], v11, off
	v_lshl_add_u64 v[28:29], s[6:7], 0, v[26:27]
	v_fma_f32 v11, -v18, v36, 1.0
	v_fmac_f32_e32 v36, v11, v36
	v_div_scale_f32 v11, vcc, 1.0, v17, 1.0
	global_load_dword v39, v[28:29], off
	v_mul_f32_e32 v28, v11, v36
	v_fma_f32 v29, -v18, v28, v11
	v_fmac_f32_e32 v28, v29, v36
	v_fma_f32 v11, -v18, v28, v11
	v_div_fmas_f32 v11, v11, v36, v28
	v_lshlrev_b64 v[28:29], 2, v[0:1]
	v_add_u32_e32 v0, s12, v0
	v_lshl_add_u64 v[36:37], v[0:1], 2, s[10:11]
	global_load_dword v18, v[36:37], off
	global_load_dword v8, v[30:31], off
	v_div_fixup_f32 v11, v11, v17, 1.0
	v_mul_f32_e32 v9, v9, v11
	v_min_f32_e32 v9, 0x7cf0bdc2, v9
	s_waitcnt vmcnt(9)
	v_mul_f32_e32 v9, v38, v9
	s_waitcnt vmcnt(8)
	v_mul_f32_e32 v11, v16, v40
	v_lshl_add_u64 v[16:17], s[6:7], 0, v[28:29]
	global_load_dword v36, v[16:17], off
	v_div_scale_f32 v37, s[2:3], v11, v11, 1.0
	v_rcp_f32_e32 v38, v37
	v_lshl_add_u64 v[16:17], s[8:9], 0, v[22:23]
	global_store_dword v[16:17], v9, off
	v_mul_f32_e32 v9, v15, v6
	v_fma_f32 v15, -v37, v38, 1.0
	v_fmac_f32_e32 v38, v15, v38
	v_div_scale_f32 v15, vcc, 1.0, v11, 1.0
	v_mul_f32_e32 v16, v15, v38
	v_fma_f32 v17, -v37, v16, v15
	v_fmac_f32_e32 v16, v17, v38
	v_fma_f32 v15, -v37, v16, v15
	v_div_fmas_f32 v15, v15, v38, v16
	v_div_fixup_f32 v11, v15, v11, 1.0
	v_add_u32_e32 v0, s5, v0
	v_mul_f32_e32 v9, v9, v11
	v_lshlrev_b64 v[22:23], 2, v[0:1]
	v_min_f32_e32 v9, 0x7cf0bdc2, v9
	v_lshl_add_u64 v[16:17], s[8:9], 0, v[24:25]
	v_lshl_add_u64 v[24:25], s[6:7], 0, v[22:23]
	s_waitcnt vmcnt(9)
	v_mul_f32_e32 v11, v42, v9
	global_load_dword v15, v[32:33], off
	global_load_dword v9, v[30:31], off
	;; [unrolled: 1-line block ×3, first 2 shown]
	v_add_u32_e32 v0, s4, v0
	global_store_dword v[16:17], v11, off
	v_lshl_add_u64 v[26:27], s[8:9], 0, v[26:27]
	s_mul_i32 s5, s4, 0xffffff7b
	v_lshl_add_u64 v[22:23], s[8:9], 0, v[22:23]
	s_mul_i32 s12, s4, 0x83
	s_waitcnt vmcnt(11)
	v_div_scale_f32 v30, s[2:3], v43, v43, 1.0
	v_rcp_f32_e32 v24, v30
	s_waitcnt vmcnt(10)
	v_mul_f32_e32 v33, v13, v44
	v_fma_f32 v16, -v30, v24, 1.0
	v_fmac_f32_e32 v24, v16, v24
	v_div_scale_f32 v16, vcc, 1.0, v43, 1.0
	v_mul_f32_e32 v17, v16, v24
	v_fma_f32 v25, -v30, v17, v16
	v_fmac_f32_e32 v17, v25, v24
	v_fma_f32 v16, -v30, v17, v16
	v_div_fmas_f32 v16, v16, v24, v17
	v_div_fixup_f32 v16, v16, v43, 1.0
	s_waitcnt vmcnt(7)
	v_mul_f32_e32 v13, v13, v18
	s_waitcnt vmcnt(6)
	v_mul_f32_e32 v14, v14, v8
	v_mul_f32_e32 v11, v3, v14
	;; [unrolled: 1-line block ×3, first 2 shown]
	v_lshlrev_b64 v[16:17], 2, v[0:1]
	v_lshl_add_u64 v[24:25], s[6:7], 0, v[16:17]
	v_min_f32_e32 v32, 0x7cf0bdc2, v11
	global_load_dword v11, v[34:35], off
	v_add_u32_e32 v0, s4, v0
	global_load_dword v35, v[24:25], off
	v_lshlrev_b64 v[24:25], 2, v[0:1]
	v_lshl_add_u64 v[30:31], s[6:7], 0, v[24:25]
	global_load_dword v42, v[30:31], off
	v_div_scale_f32 v34, s[2:3], v33, v33, 1.0
	v_rcp_f32_e32 v38, v34
	v_mul_f32_e32 v30, v39, v32
	global_store_dword v[26:27], v30, off
	v_div_scale_f32 v18, s[2:3], v13, v13, 1.0
	v_fma_f32 v26, -v34, v38, 1.0
	v_fmac_f32_e32 v38, v26, v38
	v_div_scale_f32 v26, vcc, 1.0, v33, 1.0
	v_mul_f32_e32 v27, v26, v38
	v_fma_f32 v30, -v34, v27, v26
	v_fmac_f32_e32 v27, v30, v38
	v_fma_f32 v26, -v34, v27, v26
	v_div_fmas_f32 v26, v26, v38, v27
	v_div_fixup_f32 v26, v26, v33, 1.0
	v_rcp_f32_e32 v34, v18
	v_mul_f32_e32 v26, v14, v26
	v_min_f32_e32 v26, 0x7cf0bdc2, v26
	s_waitcnt vmcnt(9)
	v_mul_f32_e32 v30, v36, v26
	v_lshl_add_u64 v[26:27], s[8:9], 0, v[28:29]
	global_store_dword v[26:27], v30, off
	v_fma_f32 v26, -v18, v34, 1.0
	v_add_u32_e32 v0, s4, v0
	v_fmac_f32_e32 v34, v26, v34
	v_lshlrev_b64 v[26:27], 2, v[0:1]
	v_add_u32_e32 v0, s5, v0
	v_lshl_add_u64 v[28:29], s[6:7], 0, v[26:27]
	v_mad_u64_u32 v[30:31], s[2:3], s4, 3, v[0:1]
	global_load_dword v36, v[28:29], off
	v_lshl_add_u64 v[28:29], v[0:1], 2, s[10:11]
	v_mov_b32_e32 v31, v1
	v_lshl_add_u64 v[32:33], v[30:31], 2, s[10:11]
	global_load_dword v38, v[28:29], off
	global_load_dword v39, v[32:33], off
	v_div_scale_f32 v0, vcc, 1.0, v13, 1.0
	v_mul_f32_e32 v28, v0, v34
	v_fma_f32 v29, -v18, v28, v0
	v_fmac_f32_e32 v28, v29, v34
	v_fma_f32 v0, -v18, v28, v0
	v_div_fmas_f32 v0, v0, v34, v28
	v_div_fixup_f32 v0, v0, v13, 1.0
	v_div_scale_f32 v13, s[2:3], v10, v10, 1.0
	v_mul_f32_e32 v0, v14, v0
	v_rcp_f32_e32 v14, v13
	v_min_f32_e32 v0, 0x7cf0bdc2, v0
	s_waitcnt vmcnt(9)
	v_mul_f32_e32 v0, v37, v0
	global_store_dword v[22:23], v0, off
	v_fma_f32 v0, -v13, v14, 1.0
	v_fmac_f32_e32 v14, v0, v14
	v_add_u32_e32 v0, s12, v30
	v_lshlrev_b64 v[22:23], 2, v[0:1]
	v_lshl_add_u64 v[28:29], s[6:7], 0, v[22:23]
	global_load_dword v33, v[28:29], off
	v_div_scale_f32 v31, vcc, 1.0, v10, 1.0
	v_mul_f32_e32 v32, v31, v14
	v_fma_f32 v28, -v13, v32, v31
	v_fmac_f32_e32 v32, v28, v14
	v_fma_f32 v13, -v13, v32, v31
	v_div_fmas_f32 v13, v13, v14, v32
	v_mul_f32_e32 v18, v7, v8
	v_div_fixup_f32 v10, v13, v10, 1.0
	v_mul_f32_e32 v10, v10, v18
	v_min_f32_e32 v10, 0x7cf0bdc2, v10
	v_lshl_add_u64 v[16:17], s[8:9], 0, v[16:17]
	v_add_u32_e32 v0, s4, v0
	s_mul_i32 s2, s4, 0xffffff85
	v_mul_f32_e32 v13, v40, v44
	v_lshl_add_u64 v[24:25], s[8:9], 0, v[24:25]
	v_lshl_add_u64 v[26:27], s[8:9], 0, v[26:27]
	;; [unrolled: 1-line block ×3, first 2 shown]
	v_mul_f32_e32 v7, v12, v7
	s_waitcnt vmcnt(8)
	v_mul_f32_e32 v10, v10, v35
	global_store_dword v[16:17], v10, off
	v_lshlrev_b64 v[16:17], 2, v[0:1]
	v_add_u32_e32 v0, s2, v0
	v_lshl_add_u64 v[28:29], v[0:1], 2, s[10:11]
	v_add_u32_e32 v0, s4, v0
	v_mul_f32_e32 v10, v41, v18
	v_lshl_add_u64 v[30:31], v[0:1], 2, s[10:11]
	global_load_dword v18, v[28:29], off
	global_load_dword v14, v[30:31], off
	v_div_scale_f32 v32, s[2:3], v13, v13, 1.0
	v_lshl_add_u64 v[30:31], s[6:7], 0, v[16:17]
	v_rcp_f32_e32 v34, v32
	global_load_dword v35, v[30:31], off
	v_min_f32_e32 v10, 0x7cf0bdc2, v10
	s_waitcnt vmcnt(11)
	v_mul_f32_e32 v10, v10, v42
	global_store_dword v[24:25], v10, off
	v_fma_f32 v24, -v32, v34, 1.0
	v_fmac_f32_e32 v34, v24, v34
	v_div_scale_f32 v24, vcc, 1.0, v13, 1.0
	v_mul_f32_e32 v37, v24, v34
	v_fma_f32 v25, -v32, v37, v24
	s_mul_i32 s2, s4, 0x7b
	v_fmac_f32_e32 v37, v25, v34
	v_add_u32_e32 v0, s2, v0
	v_fma_f32 v32, -v32, v37, v24
	v_lshlrev_b64 v[24:25], 2, v[0:1]
	v_lshl_add_u64 v[30:31], s[6:7], 0, v[24:25]
	global_load_dword v40, v[30:31], off
	v_div_fmas_f32 v30, v32, v34, v37
	v_mul_f32_e32 v10, v6, v8
	v_div_fixup_f32 v13, v30, v13, 1.0
	v_mul_f32_e32 v10, v10, v13
	v_min_f32_e32 v10, 0x7cf0bdc2, v10
	s_waitcnt vmcnt(10)
	v_mul_f32_e32 v10, v10, v36
	global_store_dword v[26:27], v10, off
	v_add_u32_e32 v0, s4, v0
	s_waitcnt vmcnt(10)
	v_mul_f32_e32 v10, v8, v38
	s_waitcnt vmcnt(9)
	v_mul_f32_e32 v13, v44, v39
	v_div_scale_f32 v30, s[2:3], v13, v13, 1.0
	v_rcp_f32_e32 v31, v30
	v_lshl_add_u64 v[16:17], s[8:9], 0, v[16:17]
	v_fma_f32 v26, -v30, v31, 1.0
	v_fmac_f32_e32 v31, v26, v31
	v_div_scale_f32 v26, vcc, 1.0, v13, 1.0
	v_mul_f32_e32 v27, v26, v31
	v_fma_f32 v32, -v30, v27, v26
	v_fmac_f32_e32 v27, v32, v31
	v_fma_f32 v26, -v30, v27, v26
	v_div_fmas_f32 v26, v26, v31, v27
	v_div_fixup_f32 v13, v26, v13, 1.0
	v_lshlrev_b64 v[26:27], 2, v[0:1]
	v_lshl_add_u64 v[30:31], s[6:7], 0, v[26:27]
	global_load_dword v32, v[30:31], off
	v_mul_f32_e32 v13, v10, v13
	v_min_f32_e32 v13, 0x7cf0bdc2, v13
	s_waitcnt vmcnt(8)
	v_mul_f32_e32 v13, v33, v13
	v_add_u32_e32 v0, s5, v0
	global_store_dword v[22:23], v13, off
	v_lshl_add_u64 v[22:23], v[0:1], 2, s[10:11]
	global_load_dword v33, v[22:23], off
	v_div_scale_f32 v30, s[2:3], v7, v7, 1.0
	v_rcp_f32_e32 v31, v30
	s_mul_i32 s2, s4, 0x86
	v_add_u32_e32 v0, s2, v0
	v_fma_f32 v13, -v30, v31, 1.0
	v_fmac_f32_e32 v31, v13, v31
	v_div_scale_f32 v13, vcc, 1.0, v7, 1.0
	v_mul_f32_e32 v22, v13, v31
	v_fma_f32 v23, -v30, v22, v13
	v_fmac_f32_e32 v22, v23, v31
	v_fma_f32 v13, -v30, v22, v13
	v_div_fmas_f32 v13, v13, v31, v22
	v_div_fixup_f32 v7, v13, v7, 1.0
	v_lshlrev_b64 v[22:23], 2, v[0:1]
	v_lshl_add_u64 v[30:31], s[6:7], 0, v[22:23]
	global_load_dword v34, v[30:31], off
	global_load_dword v36, v[28:29], off
	v_mul_f32_e32 v7, v7, v10
	v_min_f32_e32 v7, 0x7cf0bdc2, v7
	v_add_u32_e32 v0, s4, v0
	s_waitcnt vmcnt(9)
	v_mul_f32_e32 v13, v18, v14
	v_div_scale_f32 v14, s[2:3], v13, v13, 1.0
	v_rcp_f32_e32 v28, v14
	s_mul_i32 s2, s4, 0xffffff7e
	s_waitcnt vmcnt(8)
	v_mul_f32_e32 v7, v7, v35
	global_store_dword v[16:17], v7, off
	v_fma_f32 v7, -v14, v28, 1.0
	v_fmac_f32_e32 v28, v7, v28
	v_div_scale_f32 v7, vcc, 1.0, v13, 1.0
	v_mul_f32_e32 v16, v7, v28
	v_fma_f32 v17, -v14, v16, v7
	v_fmac_f32_e32 v16, v17, v28
	v_fma_f32 v7, -v14, v16, v7
	v_div_fmas_f32 v7, v7, v28, v16
	v_div_fixup_f32 v7, v7, v13, 1.0
	v_mul_f32_e32 v7, v10, v7
	v_min_f32_e32 v7, 0x7cf0bdc2, v7
	v_mul_f32_e32 v14, v12, v6
	s_waitcnt vmcnt(7)
	v_mul_f32_e32 v10, v40, v7
	v_lshlrev_b64 v[6:7], 2, v[0:1]
	v_lshl_add_u64 v[12:13], s[6:7], 0, v[6:7]
	v_add_u32_e32 v0, s2, v0
	global_load_dword v28, v[12:13], off
	v_lshl_add_u64 v[12:13], v[0:1], 2, s[10:11]
	global_load_dword v29, v[12:13], off
	v_div_scale_f32 v16, s[2:3], v14, v14, 1.0
	v_rcp_f32_e32 v17, v16
	v_lshl_add_u64 v[12:13], s[8:9], 0, v[24:25]
	global_store_dword v[12:13], v10, off
	v_mul_f32_e32 v10, v8, v39
	v_fma_f32 v12, -v16, v17, 1.0
	v_fmac_f32_e32 v17, v12, v17
	v_div_scale_f32 v12, vcc, 1.0, v14, 1.0
	v_mul_f32_e32 v13, v12, v17
	v_fma_f32 v24, -v16, v13, v12
	v_fmac_f32_e32 v13, v24, v17
	v_fma_f32 v12, -v16, v13, v12
	v_div_fmas_f32 v12, v12, v17, v13
	v_div_fixup_f32 v12, v12, v14, 1.0
	v_mul_f32_e32 v14, v39, v15
	v_mul_f32_e32 v10, v12, v10
	v_lshl_add_u64 v[12:13], s[8:9], 0, v[26:27]
	v_div_scale_f32 v26, s[2:3], v14, v14, 1.0
	v_add_u32_e32 v0, s12, v0
	v_lshlrev_b64 v[16:17], 2, v[0:1]
	s_mul_i32 s2, s4, 0xffffff8e
	v_lshl_add_u64 v[24:25], s[6:7], 0, v[16:17]
	v_add_u32_e32 v0, s2, v0
	global_load_dword v30, v[24:25], off
	v_lshl_add_u64 v[24:25], v[0:1], 2, s[10:11]
	global_load_dword v24, v[24:25], off
	v_rcp_f32_e32 v27, v26
	v_min_f32_e32 v10, 0x7cf0bdc2, v10
	s_waitcnt vmcnt(10)
	v_mul_f32_e32 v10, v10, v32
	global_store_dword v[12:13], v10, off
	v_fma_f32 v10, -v26, v27, 1.0
	v_fmac_f32_e32 v27, v10, v27
	v_div_scale_f32 v10, vcc, 1.0, v14, 1.0
	v_mul_f32_e32 v12, v10, v27
	v_fma_f32 v13, -v26, v12, v10
	v_fmac_f32_e32 v12, v13, v27
	v_fma_f32 v10, -v26, v12, v10
	v_div_fmas_f32 v10, v10, v27, v12
	v_add_u32_e32 v0, s1, v0
	s_mul_i32 s1, s4, 0xffffff8c
	s_waitcnt vmcnt(9)
	v_mul_f32_e32 v8, v8, v33
	v_div_fixup_f32 v10, v10, v14, 1.0
	v_lshlrev_b64 v[12:13], 2, v[0:1]
	v_add_u32_e32 v0, s1, v0
	v_mul_f32_e32 v8, v8, v10
	v_mul_f32_e32 v10, v5, v15
	v_lshl_add_u64 v[14:15], v[0:1], 2, s[10:11]
	global_load_dword v25, v[14:15], off
	v_lshl_add_u64 v[14:15], s[6:7], 0, v[12:13]
	global_load_dword v27, v[14:15], off
	v_div_scale_f32 v26, s[2:3], v10, v10, 1.0
	v_rcp_f32_e32 v31, v26
	v_min_f32_e32 v8, 0x7cf0bdc2, v8
	s_waitcnt vmcnt(10)
	v_mul_f32_e32 v8, v34, v8
	v_lshl_add_u64 v[14:15], s[8:9], 0, v[22:23]
	global_store_dword v[14:15], v8, off
	v_fma_f32 v14, -v26, v31, 1.0
	v_fmac_f32_e32 v31, v14, v31
	v_div_scale_f32 v14, vcc, 1.0, v10, 1.0
	v_mul_f32_e32 v15, v14, v31
	v_mul_f32_e32 v8, v18, v9
	v_fma_f32 v18, -v26, v15, v14
	v_fmac_f32_e32 v15, v18, v31
	v_fma_f32 v14, -v26, v15, v14
	v_div_fmas_f32 v14, v14, v31, v15
	v_div_fixup_f32 v10, v14, v10, 1.0
	v_mul_f32_e32 v8, v8, v10
	v_min_f32_e32 v8, 0x7cf0bdc2, v8
	v_lshl_add_u64 v[6:7], s[8:9], 0, v[6:7]
	s_mul_i32 s1, s4, 0x75
	v_add_u32_e32 v0, s1, v0
	s_waitcnt vmcnt(8)
	v_mul_f32_e32 v8, v28, v8
	global_store_dword v[6:7], v8, off
	s_waitcnt vmcnt(8)
	v_mul_f32_e32 v8, v29, v11
	v_div_scale_f32 v14, s[2:3], v8, v8, 1.0
	v_rcp_f32_e32 v15, v14
	v_lshlrev_b64 v[6:7], 2, v[0:1]
	v_mul_f32_e32 v22, v4, v9
	v_lshl_add_u64 v[10:11], s[6:7], 0, v[6:7]
	v_fma_f32 v9, -v14, v15, 1.0
	v_fmac_f32_e32 v15, v9, v15
	v_div_scale_f32 v9, vcc, 1.0, v8, 1.0
	global_load_dword v18, v[10:11], off
	v_mul_f32_e32 v10, v9, v15
	v_fma_f32 v11, -v14, v10, v9
	v_fmac_f32_e32 v10, v11, v15
	v_fma_f32 v9, -v14, v10, v9
	v_div_fmas_f32 v9, v9, v15, v10
	v_add_u32_e32 v0, s4, v0
	v_div_fixup_f32 v14, v9, v8, 1.0
	v_lshlrev_b64 v[8:9], 2, v[0:1]
	v_lshl_add_u64 v[10:11], s[6:7], 0, v[8:9]
	v_add_u32_e32 v0, s0, v0
	global_load_dword v23, v[10:11], off
	v_lshl_add_u64 v[10:11], v[0:1], 2, s[10:11]
	global_load_dword v26, v[10:11], off
	v_mul_f32_e32 v10, v22, v14
	v_min_f32_e32 v10, 0x7cf0bdc2, v10
	s_waitcnt vmcnt(9)
	v_mul_f32_e32 v14, v30, v10
	v_lshl_add_u64 v[10:11], s[8:9], 0, v[16:17]
	s_waitcnt vmcnt(8)
	v_div_scale_f32 v15, s[0:1], v24, v24, 1.0
	v_rcp_f32_e32 v28, v15
	global_store_dword v[10:11], v14, off
	s_mul_i32 s0, s4, 0x78
	v_add_u32_e32 v0, s0, v0
	v_fma_f32 v10, -v15, v28, 1.0
	v_fmac_f32_e32 v28, v10, v28
	v_div_scale_f32 v10, vcc, 1.0, v24, 1.0
	v_mul_f32_e32 v17, v10, v28
	v_fma_f32 v11, -v15, v17, v10
	v_fmac_f32_e32 v17, v11, v28
	v_fma_f32 v29, -v15, v17, v10
	v_lshlrev_b64 v[10:11], 2, v[0:1]
	v_lshl_add_u64 v[14:15], s[6:7], 0, v[10:11]
	global_load_dword v30, v[14:15], off
	v_div_fmas_f32 v14, v29, v28, v17
	v_mul_f32_e32 v16, v3, v22
	v_div_fixup_f32 v14, v14, v24, 1.0
	v_mul_f32_e32 v14, v16, v14
	v_min_f32_e32 v14, 0x7cf0bdc2, v14
	v_lshl_add_u64 v[12:13], s[8:9], 0, v[12:13]
	s_waitcnt vmcnt(8)
	v_mul_f32_e32 v16, v21, v25
	v_div_scale_f32 v17, s[0:1], v16, v16, 1.0
	v_rcp_f32_e32 v24, v17
	s_waitcnt vmcnt(7)
	v_mul_f32_e32 v14, v27, v14
	global_store_dword v[12:13], v14, off
	v_add_u32_e32 v0, s4, v0
	v_fma_f32 v12, -v17, v24, 1.0
	v_fmac_f32_e32 v24, v12, v24
	v_lshlrev_b64 v[12:13], 2, v[0:1]
	v_lshl_add_u64 v[14:15], s[6:7], 0, v[12:13]
	global_load_dword v27, v[14:15], off
	v_div_scale_f32 v25, vcc, 1.0, v16, 1.0
	v_mul_f32_e32 v14, v25, v24
	v_fma_f32 v15, -v17, v14, v25
	v_fmac_f32_e32 v14, v15, v24
	v_fma_f32 v15, -v17, v14, v25
	v_div_fmas_f32 v14, v15, v24, v14
	v_div_fixup_f32 v14, v14, v16, 1.0
	v_add_u32_e32 v0, s4, v0
	v_mul_f32_e32 v14, v22, v14
	v_lshlrev_b64 v[0:1], 2, v[0:1]
	v_min_f32_e32 v16, 0x7cf0bdc2, v14
	v_lshl_add_u64 v[14:15], s[6:7], 0, v[0:1]
	global_load_dword v14, v[14:15], off
	v_mul_f32_e32 v5, v4, v5
	v_mul_f32_e32 v5, v3, v5
	v_div_scale_f32 v15, s[0:1], v5, v5, 1.0
	v_rcp_f32_e32 v17, v15
	v_lshl_add_u64 v[6:7], s[8:9], 0, v[6:7]
	v_lshl_add_u64 v[0:1], s[8:9], 0, v[0:1]
	s_waitcnt vmcnt(7)
	v_mul_f32_e32 v16, v18, v16
	global_store_dword v[6:7], v16, off
	v_fma_f32 v6, -v15, v17, 1.0
	v_fmac_f32_e32 v17, v6, v17
	v_div_scale_f32 v6, vcc, 1.0, v5, 1.0
	v_mul_f32_e32 v7, v6, v17
	v_fma_f32 v16, -v15, v7, v6
	v_fmac_f32_e32 v7, v16, v17
	v_fma_f32 v6, -v15, v7, v6
	v_div_fmas_f32 v6, v6, v17, v7
	v_div_fixup_f32 v5, v6, v5, 1.0
	v_lshl_add_u64 v[6:7], s[8:9], 0, v[8:9]
	s_waitcnt vmcnt(6)
	v_div_scale_f32 v8, s[0:1], v26, v26, 1.0
	v_rcp_f32_e32 v9, v8
	v_mul_f32_e32 v5, v19, v5
	v_min_f32_e32 v5, 0x7cf0bdc2, v5
	v_mul_f32_e32 v5, v23, v5
	global_store_dword v[6:7], v5, off
	v_fma_f32 v5, -v8, v9, 1.0
	v_fmac_f32_e32 v9, v5, v9
	v_div_scale_f32 v5, vcc, 1.0, v26, 1.0
	v_mul_f32_e32 v7, v5, v9
	v_fma_f32 v15, -v8, v7, v5
	v_fmac_f32_e32 v7, v15, v9
	v_fma_f32 v5, -v8, v7, v5
	v_div_fmas_f32 v5, v5, v9, v7
	v_mul_f32_e32 v7, v4, v36
	v_mul_f32_e32 v6, v21, v19
	v_div_scale_f32 v8, s[0:1], v7, v7, 1.0
	v_mul_f32_e32 v3, v3, v6
	v_div_fixup_f32 v5, v5, v26, 1.0
	v_rcp_f32_e32 v9, v8
	v_mul_f32_e32 v3, v3, v5
	v_min_f32_e32 v3, 0x7cf0bdc2, v3
	s_waitcnt vmcnt(5)
	v_mul_f32_e32 v3, v30, v3
	v_lshl_add_u64 v[4:5], s[8:9], 0, v[10:11]
	global_store_dword v[4:5], v3, off
	v_fma_f32 v3, -v8, v9, 1.0
	v_fmac_f32_e32 v9, v3, v9
	v_div_scale_f32 v3, vcc, 1.0, v7, 1.0
	v_mul_f32_e32 v4, v3, v9
	v_fma_f32 v5, -v8, v4, v3
	v_fmac_f32_e32 v4, v5, v9
	v_fma_f32 v3, -v8, v4, v3
	v_div_fmas_f32 v3, v3, v9, v4
	v_mul_f32_e32 v4, v2, v20
	v_div_scale_f32 v5, s[0:1], v4, v4, 1.0
	v_div_fixup_f32 v3, v3, v7, 1.0
	v_rcp_f32_e32 v7, v5
	v_mul_f32_e32 v3, v6, v3
	v_min_f32_e32 v3, 0x7cf0bdc2, v3
	s_waitcnt vmcnt(4)
	v_mul_f32_e32 v8, v27, v3
	v_lshl_add_u64 v[2:3], s[8:9], 0, v[12:13]
	global_store_dword v[2:3], v8, off
	v_fma_f32 v2, -v5, v7, 1.0
	v_fmac_f32_e32 v7, v2, v7
	v_div_scale_f32 v2, vcc, 1.0, v4, 1.0
	v_mul_f32_e32 v3, v2, v7
	v_fma_f32 v8, -v5, v3, v2
	v_fmac_f32_e32 v3, v8, v7
	v_fma_f32 v2, -v5, v3, v2
	v_div_fmas_f32 v2, v2, v7, v3
	v_div_fixup_f32 v2, v2, v4, 1.0
	v_mul_f32_e32 v2, v6, v2
	v_min_f32_e32 v2, 0x7cf0bdc2, v2
	s_waitcnt vmcnt(4)
	v_mul_f32_e32 v2, v14, v2
	global_store_dword v[0:1], v2, off
	s_endpgm
	.section	.rodata,"a",@progbits
	.p2align	6, 0x0
	.amdhsa_kernel _Z12ratt7_kernelIfEvPKT_S2_PS0_S2_S0_
		.amdhsa_group_segment_fixed_size 0
		.amdhsa_private_segment_fixed_size 0
		.amdhsa_kernarg_size 296
		.amdhsa_user_sgpr_count 2
		.amdhsa_user_sgpr_dispatch_ptr 0
		.amdhsa_user_sgpr_queue_ptr 0
		.amdhsa_user_sgpr_kernarg_segment_ptr 1
		.amdhsa_user_sgpr_dispatch_id 0
		.amdhsa_user_sgpr_kernarg_preload_length 0
		.amdhsa_user_sgpr_kernarg_preload_offset 0
		.amdhsa_user_sgpr_private_segment_size 0
		.amdhsa_uses_dynamic_stack 0
		.amdhsa_enable_private_segment 0
		.amdhsa_system_sgpr_workgroup_id_x 1
		.amdhsa_system_sgpr_workgroup_id_y 0
		.amdhsa_system_sgpr_workgroup_id_z 0
		.amdhsa_system_sgpr_workgroup_info 0
		.amdhsa_system_vgpr_workitem_id 0
		.amdhsa_next_free_vgpr 45
		.amdhsa_next_free_sgpr 14
		.amdhsa_accum_offset 48
		.amdhsa_reserve_vcc 1
		.amdhsa_float_round_mode_32 0
		.amdhsa_float_round_mode_16_64 0
		.amdhsa_float_denorm_mode_32 3
		.amdhsa_float_denorm_mode_16_64 3
		.amdhsa_dx10_clamp 1
		.amdhsa_ieee_mode 1
		.amdhsa_fp16_overflow 0
		.amdhsa_tg_split 0
		.amdhsa_exception_fp_ieee_invalid_op 0
		.amdhsa_exception_fp_denorm_src 0
		.amdhsa_exception_fp_ieee_div_zero 0
		.amdhsa_exception_fp_ieee_overflow 0
		.amdhsa_exception_fp_ieee_underflow 0
		.amdhsa_exception_fp_ieee_inexact 0
		.amdhsa_exception_int_div_zero 0
	.end_amdhsa_kernel
	.section	.text._Z12ratt7_kernelIfEvPKT_S2_PS0_S2_S0_,"axG",@progbits,_Z12ratt7_kernelIfEvPKT_S2_PS0_S2_S0_,comdat
.Lfunc_end8:
	.size	_Z12ratt7_kernelIfEvPKT_S2_PS0_S2_S0_, .Lfunc_end8-_Z12ratt7_kernelIfEvPKT_S2_PS0_S2_S0_
                                        ; -- End function
	.set _Z12ratt7_kernelIfEvPKT_S2_PS0_S2_S0_.num_vgpr, 45
	.set _Z12ratt7_kernelIfEvPKT_S2_PS0_S2_S0_.num_agpr, 0
	.set _Z12ratt7_kernelIfEvPKT_S2_PS0_S2_S0_.numbered_sgpr, 14
	.set _Z12ratt7_kernelIfEvPKT_S2_PS0_S2_S0_.num_named_barrier, 0
	.set _Z12ratt7_kernelIfEvPKT_S2_PS0_S2_S0_.private_seg_size, 0
	.set _Z12ratt7_kernelIfEvPKT_S2_PS0_S2_S0_.uses_vcc, 1
	.set _Z12ratt7_kernelIfEvPKT_S2_PS0_S2_S0_.uses_flat_scratch, 0
	.set _Z12ratt7_kernelIfEvPKT_S2_PS0_S2_S0_.has_dyn_sized_stack, 0
	.set _Z12ratt7_kernelIfEvPKT_S2_PS0_S2_S0_.has_recursion, 0
	.set _Z12ratt7_kernelIfEvPKT_S2_PS0_S2_S0_.has_indirect_call, 0
	.section	.AMDGPU.csdata,"",@progbits
; Kernel info:
; codeLenInByte = 4516
; TotalNumSgprs: 20
; NumVgprs: 45
; NumAgprs: 0
; TotalNumVgprs: 45
; ScratchSize: 0
; MemoryBound: 0
; FloatMode: 240
; IeeeMode: 1
; LDSByteSize: 0 bytes/workgroup (compile time only)
; SGPRBlocks: 2
; VGPRBlocks: 5
; NumSGPRsForWavesPerEU: 20
; NumVGPRsForWavesPerEU: 45
; AccumOffset: 48
; Occupancy: 8
; WaveLimiterHint : 0
; COMPUTE_PGM_RSRC2:SCRATCH_EN: 0
; COMPUTE_PGM_RSRC2:USER_SGPR: 2
; COMPUTE_PGM_RSRC2:TRAP_HANDLER: 0
; COMPUTE_PGM_RSRC2:TGID_X_EN: 1
; COMPUTE_PGM_RSRC2:TGID_Y_EN: 0
; COMPUTE_PGM_RSRC2:TGID_Z_EN: 0
; COMPUTE_PGM_RSRC2:TIDIG_COMP_CNT: 0
; COMPUTE_PGM_RSRC3_GFX90A:ACCUM_OFFSET: 11
; COMPUTE_PGM_RSRC3_GFX90A:TG_SPLIT: 0
	.section	.text._Z12ratt8_kernelIfEvPKT_S2_PS0_S2_S0_,"axG",@progbits,_Z12ratt8_kernelIfEvPKT_S2_PS0_S2_S0_,comdat
	.protected	_Z12ratt8_kernelIfEvPKT_S2_PS0_S2_S0_ ; -- Begin function _Z12ratt8_kernelIfEvPKT_S2_PS0_S2_S0_
	.globl	_Z12ratt8_kernelIfEvPKT_S2_PS0_S2_S0_
	.p2align	8
	.type	_Z12ratt8_kernelIfEvPKT_S2_PS0_S2_S0_,@function
_Z12ratt8_kernelIfEvPKT_S2_PS0_S2_S0_:  ; @_Z12ratt8_kernelIfEvPKT_S2_PS0_S2_S0_
; %bb.0:
	s_load_dword s3, s[0:1], 0x34
	s_load_dword s12, s[0:1], 0x28
	s_load_dwordx8 s[4:11], s[0:1], 0x0
	v_mov_b32_e32 v1, 0
	v_mov_b32_e32 v7, v1
	s_waitcnt lgkmcnt(0)
	s_and_b32 s3, s3, 0xffff
	s_mul_i32 s2, s2, s3
	v_add_u32_e32 v0, s2, v0
	v_lshlrev_b64 v[2:3], 2, v[0:1]
	s_mul_i32 s2, s12, s3
	v_lshl_add_u64 v[4:5], s[4:5], 0, v[2:3]
	s_lshl_b32 s4, s2, 1
	v_add_u32_e32 v6, s4, v0
	global_load_dword v27, v[4:5], off
	v_lshl_add_u64 v[4:5], v[6:7], 2, s[10:11]
	v_mad_u64_u32 v[6:7], s[12:13], s2, 24, v[6:7]
	v_mov_b32_e32 v7, v1
	s_mul_i32 s3, s2, 0xffffffea
	v_lshl_add_u64 v[8:9], v[6:7], 2, s[10:11]
	v_add_u32_e32 v6, s3, v6
	s_mul_i32 s12, s2, 21
	v_lshl_add_u64 v[10:11], v[6:7], 2, s[10:11]
	v_add_u32_e32 v6, s12, v6
	v_lshl_add_u64 v[12:13], v[6:7], 2, s[10:11]
	global_load_dword v24, v[4:5], off
	global_load_dword v25, v[8:9], off
	global_load_dword v22, v[10:11], off
	global_load_dword v26, v[12:13], off
	s_mul_i32 s5, s2, 0x7d
	v_mov_b32_e32 v11, v1
	v_add_u32_e32 v10, s5, v6
	s_mul_i32 s3, s2, 0xffffff6f
	v_lshlrev_b64 v[6:7], 2, v[10:11]
	v_mov_b32_e32 v9, v1
	v_add_u32_e32 v8, s3, v10
	v_lshl_add_u64 v[10:11], s[6:7], 0, v[6:7]
	v_lshl_add_u64 v[12:13], v[8:9], 2, s[10:11]
	global_load_dword v28, v[10:11], off
	global_load_dword v23, v[12:13], off
	s_mul_i32 s5, s2, 0x92
	v_mov_b32_e32 v11, v1
	s_mul_i32 s14, s2, 0xffffff6c
	v_add_u32_e32 v10, s5, v8
	s_load_dword s0, s[0:1], 0x20
	v_mov_b32_e32 v13, v1
	s_mul_i32 s1, s2, 3
	v_lshlrev_b64 v[32:33], 2, v[10:11]
	v_add_u32_e32 v12, s14, v10
	v_mov_b32_e32 v15, v1
	global_load_dword v29, v[4:5], off
	v_lshl_add_u64 v[4:5], s[6:7], 0, v[32:33]
	v_lshl_add_u64 v[20:21], v[12:13], 2, s[10:11]
	v_add_u32_e32 v14, s1, v12
	global_load_dword v36, v[4:5], off
	v_lshl_add_u64 v[12:13], v[14:15], 2, s[10:11]
	global_load_dword v31, v[20:21], off
	global_load_dword v30, v[12:13], off
	v_mov_b32_e32 v17, v1
	s_mul_i32 s13, s2, 0xffffff75
	v_add_u32_e32 v16, s5, v14
	v_lshlrev_b64 v[4:5], 2, v[16:17]
	v_add_u32_e32 v18, s13, v16
	v_lshl_add_u64 v[10:11], s[6:7], 0, v[4:5]
	v_add_u32_e32 v8, s1, v18
	global_load_dword v37, v[10:11], off
	v_lshl_add_u64 v[10:11], v[8:9], 2, s[10:11]
	v_mov_b32_e32 v19, v1
	v_lshl_add_u64 v[34:35], v[18:19], 2, s[10:11]
	v_lshl_add_u64 v[6:7], s[8:9], 0, v[6:7]
	;; [unrolled: 1-line block ×3, first 2 shown]
	v_add_u32_e32 v0, s2, v0
	s_mul_i32 s14, s2, 0x88
	s_waitcnt vmcnt(11) lgkmcnt(0)
	v_mul_f32_e32 v9, s0, v27
	v_mul_f32_e32 v9, 0x4c9e9632, v9
	v_div_scale_f32 v14, s[0:1], v9, v9, 1.0
	v_rcp_f32_e32 v16, v14
	v_div_scale_f32 v15, vcc, 1.0, v9, 1.0
	v_fma_f32 v39, -v14, v16, 1.0
	v_fmac_f32_e32 v16, v39, v16
	v_mul_f32_e32 v39, v15, v16
	v_fma_f32 v41, -v14, v39, v15
	s_waitcnt vmcnt(7)
	v_mul_f32_e32 v17, v22, v26
	v_div_scale_f32 v19, s[0:1], v17, v17, 1.0
	v_rcp_f32_e32 v38, v19
	v_div_scale_f32 v27, s[0:1], 1.0, v17, 1.0
	v_fmac_f32_e32 v39, v41, v16
	v_fma_f32 v40, -v19, v38, 1.0
	v_fmac_f32_e32 v38, v40, v38
	v_mul_f32_e32 v40, v27, v38
	v_fma_f32 v14, -v14, v39, v15
	v_fma_f32 v15, -v19, v40, v27
	v_div_fmas_f32 v14, v14, v16, v39
	v_fmac_f32_e32 v40, v15, v38
	v_div_fixup_f32 v9, v14, v9, 1.0
	v_fma_f32 v15, -v19, v40, v27
	s_mov_b64 vcc, s[0:1]
	v_mul_f32_e32 v14, 0x49776020, v9
	v_div_fmas_f32 v9, v15, v38, v40
	v_div_fixup_f32 v9, v9, v17, 1.0
	global_load_dword v16, v[34:35], off
	global_load_dword v17, v[10:11], off
	s_waitcnt vmcnt(7)
	v_mul_f32_e32 v19, v26, v23
	v_mul_f32_e32 v18, v24, v25
	v_div_scale_f32 v15, s[0:1], v19, v19, 1.0
	v_mul_f32_e32 v9, v18, v9
	v_rcp_f32_e32 v18, v15
	v_min_f32_e32 v9, 0x7cf0bdc2, v9
	v_mul_f32_e32 v9, v28, v9
	global_store_dword v[6:7], v9, off
	v_fma_f32 v6, -v15, v18, 1.0
	v_fmac_f32_e32 v18, v6, v18
	v_div_scale_f32 v6, vcc, 1.0, v19, 1.0
	v_mul_f32_e32 v7, v6, v18
	v_fma_f32 v9, -v15, v7, v6
	v_fmac_f32_e32 v7, v9, v18
	v_fma_f32 v6, -v15, v7, v6
	s_mul_i32 s0, s2, 0x89
	v_div_fmas_f32 v7, v6, v18, v7
	v_add_u32_e32 v6, s0, v8
	s_mul_i32 s0, s2, 0xffffff7c
	v_add_u32_e32 v18, s0, v6
	v_subrev_u32_e32 v34, s4, v18
	v_mov_b32_e32 v35, v1
	v_lshl_add_u64 v[8:9], v[34:35], 2, s[10:11]
	global_load_dword v28, v[2:3], off
	global_load_dword v15, v[8:9], off
	v_div_fixup_f32 v19, v7, v19, 1.0
	v_mov_b32_e32 v7, v1
	v_lshlrev_b64 v[6:7], 2, v[6:7]
	v_lshl_add_u64 v[8:9], s[6:7], 0, v[6:7]
	global_load_dword v42, v[8:9], off
	v_mul_f32_e32 v27, v25, v22
	v_mul_f32_e32 v8, v27, v19
	v_min_f32_e32 v8, 0x7cf0bdc2, v8
	s_waitcnt vmcnt(9)
	v_mul_f32_e32 v19, v36, v8
	s_waitcnt vmcnt(7)
	v_mul_f32_e32 v36, v26, v30
	v_lshl_add_u64 v[8:9], s[8:9], 0, v[32:33]
	v_div_scale_f32 v35, s[0:1], v36, v36, 1.0
	global_store_dword v[8:9], v19, off
	v_mov_b32_e32 v19, v1
	s_mul_i32 s0, s2, 0x87
	global_load_dword v8, v[12:13], off
	global_load_dword v9, v[20:21], off
	v_lshl_add_u64 v[20:21], v[18:19], 2, s[10:11]
	v_add_u32_e32 v18, s0, v34
	global_load_dword v12, v[20:21], off
	v_lshlrev_b64 v[26:27], 2, v[18:19]
	v_lshl_add_u64 v[18:19], s[6:7], 0, v[26:27]
	global_load_dword v19, v[18:19], off
	v_rcp_f32_e32 v38, v35
	v_div_scale_f32 v18, vcc, 1.0, v36, 1.0
	v_lshl_add_u64 v[32:33], v[0:1], 2, s[10:11]
	v_fma_f32 v13, -v35, v38, 1.0
	v_fmac_f32_e32 v38, v13, v38
	v_mul_f32_e32 v34, v18, v38
	v_fma_f32 v39, -v35, v34, v18
	v_fmac_f32_e32 v34, v39, v38
	v_fma_f32 v18, -v35, v34, v18
	v_add_u32_e32 v0, s12, v0
	v_div_fmas_f32 v38, v18, v38, v34
	v_lshl_add_u64 v[34:35], v[0:1], 2, s[10:11]
	global_load_dword v13, v[32:33], off
	global_load_dword v18, v[34:35], off
	v_mul_f32_e32 v25, v25, v31
	v_div_fixup_f32 v36, v38, v36, 1.0
	v_mul_f32_e32 v36, v25, v36
	v_min_f32_e32 v36, 0x7cf0bdc2, v36
	s_mul_i32 s1, s2, 0x85
	s_waitcnt vmcnt(13)
	v_mul_f32_e32 v43, v37, v36
	v_lshl_add_u64 v[36:37], s[8:9], 0, v[4:5]
	v_add_u32_e32 v0, s1, v0
	s_mul_i32 s1, s2, 0xffffff79
	v_lshlrev_b64 v[38:39], 2, v[0:1]
	v_add_u32_e32 v0, s1, v0
	v_lshl_add_u64 v[40:41], v[0:1], 2, s[10:11]
	global_load_dword v44, v[40:41], off
	global_load_dword v5, v[10:11], off
	s_waitcnt vmcnt(14)
	v_mul_f32_e32 v4, v22, v16
	s_waitcnt vmcnt(13)
	v_mul_f32_e32 v4, v4, v17
	v_mul_f32_e32 v4, v14, v4
	v_div_scale_f32 v10, s[12:13], v4, v4, 1.0
	v_rcp_f32_e32 v11, v10
	global_store_dword v[36:37], v43, off
	v_add_u32_e32 v0, s14, v0
	v_fma_f32 v36, -v10, v11, 1.0
	v_fmac_f32_e32 v11, v36, v11
	v_div_scale_f32 v36, vcc, 1.0, v4, 1.0
	v_mul_f32_e32 v37, v36, v11
	v_fma_f32 v43, -v10, v37, v36
	v_fmac_f32_e32 v37, v43, v11
	v_fma_f32 v10, -v10, v37, v36
	v_div_fmas_f32 v36, v10, v11, v37
	v_lshl_add_u64 v[10:11], s[6:7], 0, v[38:39]
	global_load_dword v37, v[10:11], off
	v_div_fixup_f32 v4, v36, v4, 1.0
	v_mul_f32_e32 v4, v25, v4
	v_min_f32_e32 v11, 0x7cf0bdc2, v4
	global_load_dword v10, v[2:3], off
	global_load_dword v4, v[20:21], off
	s_waitcnt vmcnt(14)
	v_mul_f32_e32 v2, v28, v15
	v_mul_f32_e32 v20, v14, v2
	v_div_scale_f32 v21, s[12:13], v20, v20, 1.0
	v_rcp_f32_e32 v25, v21
	s_waitcnt vmcnt(13)
	v_mul_f32_e32 v11, v42, v11
	v_lshl_add_u64 v[2:3], s[8:9], 0, v[6:7]
	global_store_dword v[2:3], v11, off
	v_fma_f32 v2, -v21, v25, 1.0
	v_lshlrev_b64 v[6:7], 2, v[0:1]
	v_fmac_f32_e32 v25, v2, v25
	v_lshl_add_u64 v[2:3], s[6:7], 0, v[6:7]
	global_load_dword v42, v[2:3], off
	v_div_scale_f32 v2, vcc, 1.0, v20, 1.0
	v_mul_f32_e32 v3, v2, v25
	v_fma_f32 v11, -v21, v3, v2
	v_fmac_f32_e32 v3, v11, v25
	v_fma_f32 v2, -v21, v3, v2
	v_div_fmas_f32 v2, v2, v25, v3
	v_div_fixup_f32 v2, v2, v20, 1.0
	s_waitcnt vmcnt(11)
	v_mul_f32_e32 v2, v12, v2
	v_min_f32_e32 v2, 0x7cf0bdc2, v2
	v_add_u32_e32 v0, s2, v0
	s_mul_i32 s12, s2, 0xffffff6e
	s_waitcnt vmcnt(10)
	v_mul_f32_e32 v11, v19, v2
	v_lshl_add_u64 v[2:3], s[8:9], 0, v[26:27]
	v_lshlrev_b64 v[20:21], 2, v[0:1]
	v_add_u32_e32 v0, s12, v0
	global_store_dword v[2:3], v11, off
	v_lshl_add_u64 v[26:27], v[0:1], 2, s[10:11]
	v_lshl_add_u32 v0, s2, 2, v0
	global_load_dword v2, v[34:35], off
	global_load_dword v3, v[32:33], off
	v_lshl_add_u64 v[32:33], v[0:1], 2, s[10:11]
	global_load_dword v43, v[26:27], off
	global_load_dword v45, v[32:33], off
	v_lshl_add_u64 v[32:33], s[6:7], 0, v[20:21]
	global_load_dword v46, v[32:33], off
	s_waitcnt vmcnt(15)
	v_mul_f32_e32 v19, v12, v13
	s_waitcnt vmcnt(14)
	v_div_scale_f32 v11, s[12:13], v18, v18, 1.0
	v_rcp_f32_e32 v25, v11
	s_mul_i32 s12, s2, 0x8f
	v_mul_f32_e32 v32, v14, v19
	v_add_u32_e32 v0, s12, v0
	v_fma_f32 v33, -v11, v25, 1.0
	v_fmac_f32_e32 v25, v33, v25
	v_div_scale_f32 v33, vcc, 1.0, v18, 1.0
	v_mul_f32_e32 v34, v33, v25
	v_fma_f32 v35, -v11, v34, v33
	v_fmac_f32_e32 v34, v35, v25
	v_fma_f32 v11, -v11, v34, v33
	v_div_fmas_f32 v11, v11, v25, v34
	v_div_fixup_f32 v11, v11, v18, 1.0
	s_mul_i32 s12, s2, 0xffffff6b
	v_mul_f32_e32 v11, v32, v11
	v_lshlrev_b64 v[32:33], 2, v[0:1]
	v_add_u32_e32 v0, s12, v0
	v_lshl_add_u64 v[34:35], v[0:1], 2, s[10:11]
	v_min_f32_e32 v25, 0x7cf0bdc2, v11
	global_load_dword v11, v[40:41], off
	s_waitcnt vmcnt(14)
	v_mul_f32_e32 v28, v28, v44
	global_load_dword v40, v[34:35], off
	v_div_scale_f32 v36, s[12:13], v28, v28, 1.0
	v_lshl_add_u64 v[34:35], s[6:7], 0, v[32:33]
	v_rcp_f32_e32 v41, v36
	global_load_dword v47, v[34:35], off
	v_lshl_add_u64 v[34:35], s[8:9], 0, v[38:39]
	s_mul_i32 s12, s2, 0x96
	v_add_u32_e32 v0, s12, v0
	v_lshl_add_u64 v[6:7], s[8:9], 0, v[6:7]
	s_waitcnt vmcnt(13)
	v_mul_f32_e32 v25, v37, v25
	global_store_dword v[34:35], v25, off
	v_fma_f32 v25, -v36, v41, 1.0
	v_fmac_f32_e32 v41, v25, v41
	v_div_scale_f32 v25, vcc, 1.0, v28, 1.0
	v_mul_f32_e32 v38, v25, v41
	v_fma_f32 v34, -v36, v38, v25
	v_fmac_f32_e32 v38, v34, v41
	v_fma_f32 v25, -v36, v38, v25
	v_lshlrev_b64 v[34:35], 2, v[0:1]
	v_lshl_add_u64 v[36:37], s[6:7], 0, v[34:35]
	v_div_fmas_f32 v25, v25, v41, v38
	global_load_dword v36, v[36:37], off
	v_div_fixup_f32 v25, v25, v28, 1.0
	v_mul_f32_e32 v28, v22, v44
	v_mul_f32_e32 v19, v19, v25
	v_div_scale_f32 v25, s[12:13], v28, v28, 1.0
	v_rcp_f32_e32 v37, v25
	v_min_f32_e32 v19, 0x7cf0bdc2, v19
	s_waitcnt vmcnt(11)
	v_mul_f32_e32 v19, v42, v19
	global_store_dword v[6:7], v19, off
	v_fma_f32 v6, -v25, v37, 1.0
	v_fmac_f32_e32 v37, v6, v37
	v_div_scale_f32 v6, vcc, 1.0, v28, 1.0
	v_mul_f32_e32 v38, v6, v37
	v_fma_f32 v7, -v25, v38, v6
	v_fmac_f32_e32 v38, v7, v37
	v_add_u32_e32 v0, s2, v0
	v_mul_f32_e32 v19, v24, v12
	v_fma_f32 v39, -v25, v38, v6
	v_lshlrev_b64 v[24:25], 2, v[0:1]
	v_lshl_add_u64 v[6:7], s[6:7], 0, v[24:25]
	global_load_dword v7, v[6:7], off
	v_div_fmas_f32 v6, v39, v37, v38
	v_div_fixup_f32 v6, v6, v28, 1.0
	v_mul_f32_e32 v6, v19, v6
	v_min_f32_e32 v28, 0x7cf0bdc2, v6
	global_load_dword v6, v[26:27], off
	v_lshl_add_u64 v[20:21], s[8:9], 0, v[20:21]
	s_waitcnt vmcnt(9)
	v_mul_f32_e32 v26, v43, v45
	v_div_scale_f32 v27, s[12:13], v26, v26, 1.0
	v_rcp_f32_e32 v37, v27
	s_waitcnt vmcnt(8)
	v_mul_f32_e32 v28, v46, v28
	global_store_dword v[20:21], v28, off
	v_add_u32_e32 v0, s2, v0
	v_fma_f32 v20, -v27, v37, 1.0
	v_fmac_f32_e32 v37, v20, v37
	v_div_scale_f32 v20, vcc, 1.0, v26, 1.0
	v_mul_f32_e32 v21, v20, v37
	v_fma_f32 v28, -v27, v21, v20
	v_fmac_f32_e32 v21, v28, v37
	v_fma_f32 v20, -v27, v21, v20
	v_div_fmas_f32 v20, v20, v37, v21
	v_div_fixup_f32 v28, v20, v26, 1.0
	v_lshlrev_b64 v[20:21], 2, v[0:1]
	v_lshl_add_u64 v[26:27], s[6:7], 0, v[20:21]
	s_mul_i32 s12, s2, 0xffffff7a
	global_load_dword v38, v[26:27], off
	v_mul_f32_e32 v26, v19, v28
	v_add_u32_e32 v0, s12, v0
	v_min_f32_e32 v28, 0x7cf0bdc2, v26
	v_lshl_add_u64 v[26:27], v[0:1], 2, s[10:11]
	global_load_dword v39, v[26:27], off
	v_lshl_add_u64 v[32:33], s[8:9], 0, v[32:33]
	v_add_u32_e32 v0, s0, v0
	s_waitcnt vmcnt(9)
	v_mul_f32_e32 v17, v17, v40
	v_div_scale_f32 v37, s[12:13], v17, v17, 1.0
	v_rcp_f32_e32 v41, v37
	v_lshl_add_u64 v[34:35], s[8:9], 0, v[34:35]
	s_waitcnt vmcnt(8)
	v_mul_f32_e32 v28, v47, v28
	global_store_dword v[32:33], v28, off
	v_fma_f32 v28, -v37, v41, 1.0
	v_fmac_f32_e32 v41, v28, v41
	v_div_scale_f32 v28, vcc, 1.0, v17, 1.0
	v_mul_f32_e32 v32, v28, v41
	v_fma_f32 v33, -v37, v32, v28
	v_fmac_f32_e32 v32, v33, v41
	v_fma_f32 v28, -v37, v32, v28
	v_div_fmas_f32 v28, v28, v41, v32
	v_div_fixup_f32 v17, v28, v17, 1.0
	v_mul_f32_e32 v17, v19, v17
	v_min_f32_e32 v17, 0x7cf0bdc2, v17
	v_lshlrev_b64 v[32:33], 2, v[0:1]
	v_mul_f32_e32 v19, v23, v44
	v_div_scale_f32 v23, s[12:13], v19, v19, 1.0
	s_waitcnt vmcnt(7)
	v_mul_f32_e32 v17, v36, v17
	v_lshl_add_u64 v[36:37], s[6:7], 0, v[32:33]
	global_load_dword v28, v[36:37], off
	v_rcp_f32_e32 v36, v23
	global_store_dword v[34:35], v17, off
	v_add_u32_e32 v0, s2, v0
	v_mul_f32_e32 v17, v22, v12
	v_fma_f32 v34, -v23, v36, 1.0
	v_fmac_f32_e32 v36, v34, v36
	v_div_scale_f32 v34, vcc, 1.0, v19, 1.0
	v_mul_f32_e32 v35, v34, v36
	v_fma_f32 v37, -v23, v35, v34
	v_fmac_f32_e32 v35, v37, v36
	v_fma_f32 v23, -v23, v35, v34
	v_div_fmas_f32 v23, v23, v36, v35
	v_lshlrev_b64 v[34:35], 2, v[0:1]
	v_lshl_add_u64 v[36:37], s[6:7], 0, v[34:35]
	v_add_u32_e32 v0, s1, v0
	global_load_dword v41, v[36:37], off
	v_lshl_add_u64 v[36:37], v[0:1], 2, s[10:11]
	v_div_fixup_f32 v19, v23, v19, 1.0
	global_load_dword v42, v[36:37], off
	v_mul_f32_e32 v17, v17, v19
	v_min_f32_e32 v17, 0x7cf0bdc2, v17
	s_waitcnt vmcnt(9)
	v_mul_f32_e32 v7, v17, v7
	v_mul_f32_e32 v17, v30, v44
	v_div_scale_f32 v19, s[12:13], v17, v17, 1.0
	v_rcp_f32_e32 v23, v19
	v_lshl_add_u64 v[24:25], s[8:9], 0, v[24:25]
	global_store_dword v[24:25], v7, off
	v_mul_f32_e32 v7, v31, v12
	v_fma_f32 v24, -v19, v23, 1.0
	v_fmac_f32_e32 v23, v24, v23
	v_div_scale_f32 v24, vcc, 1.0, v17, 1.0
	v_mul_f32_e32 v25, v24, v23
	v_fma_f32 v31, -v19, v25, v24
	v_fmac_f32_e32 v25, v31, v23
	v_fma_f32 v19, -v19, v25, v24
	v_div_fmas_f32 v19, v19, v23, v25
	v_div_fixup_f32 v17, v19, v17, 1.0
	v_add_u32_e32 v0, s14, v0
	s_mul_i32 s0, s2, 0xffffff66
	v_mul_f32_e32 v7, v7, v17
	v_lshlrev_b64 v[24:25], 2, v[0:1]
	v_add_u32_e32 v0, s0, v0
	v_min_f32_e32 v7, 0x7cf0bdc2, v7
	v_lshl_add_u64 v[36:37], s[6:7], 0, v[24:25]
	s_waitcnt vmcnt(7)
	v_mul_f32_e32 v17, v7, v38
	global_load_dword v31, v[36:37], off
	global_load_dword v7, v[26:27], off
	v_lshl_add_u64 v[20:21], s[8:9], 0, v[20:21]
	v_mul_f32_e32 v5, v6, v5
	s_waitcnt vmcnt(8)
	v_mul_f32_e32 v19, v22, v39
	v_lshl_add_u64 v[22:23], v[0:1], 2, s[10:11]
	v_add_u32_e32 v0, s4, v0
	v_lshl_add_u64 v[26:27], v[0:1], 2, s[10:11]
	global_load_dword v36, v[22:23], off
	global_load_dword v37, v[26:27], off
	v_div_scale_f32 v22, s[0:1], v19, v19, 1.0
	v_rcp_f32_e32 v23, v22
	global_store_dword v[20:21], v17, off
	v_mul_f32_e32 v17, v30, v12
	v_fma_f32 v20, -v22, v23, 1.0
	v_fmac_f32_e32 v23, v20, v23
	v_div_scale_f32 v20, vcc, 1.0, v19, 1.0
	v_mul_f32_e32 v21, v20, v23
	v_fma_f32 v26, -v22, v21, v20
	v_fmac_f32_e32 v21, v26, v23
	v_fma_f32 v20, -v22, v21, v20
	v_div_fmas_f32 v20, v20, v23, v21
	v_div_fixup_f32 v19, v20, v19, 1.0
	v_mul_f32_e32 v17, v17, v19
	v_min_f32_e32 v17, 0x7cf0bdc2, v17
	v_lshl_add_u64 v[20:21], s[8:9], 0, v[32:33]
	s_waitcnt vmcnt(9)
	v_mul_f32_e32 v17, v28, v17
	global_store_dword v[20:21], v17, off
	v_mul_f32_e32 v21, v16, v18
	v_div_scale_f32 v22, s[0:1], v21, v21, 1.0
	s_mul_i32 s0, s2, 0x99
	v_rcp_f32_e32 v23, v22
	v_add_u32_e32 v0, s0, v0
	v_lshlrev_b64 v[16:17], 2, v[0:1]
	v_lshl_add_u64 v[18:19], s[6:7], 0, v[16:17]
	global_load_dword v26, v[18:19], off
	v_fma_f32 v18, -v22, v23, 1.0
	v_fmac_f32_e32 v23, v18, v23
	v_div_scale_f32 v18, vcc, 1.0, v21, 1.0
	v_mul_f32_e32 v19, v18, v23
	v_fma_f32 v27, -v22, v19, v18
	v_fmac_f32_e32 v19, v27, v23
	v_fma_f32 v18, -v22, v19, v18
	v_div_fmas_f32 v18, v18, v23, v19
	s_waitcnt vmcnt(8)
	v_mul_f32_e32 v13, v13, v42
	v_mul_f32_e32 v20, v12, v45
	v_div_fixup_f32 v18, v18, v21, 1.0
	v_add_u32_e32 v0, s2, v0
	v_div_scale_f32 v23, s[0:1], v13, v13, 1.0
	v_mul_f32_e32 v22, v18, v20
	v_lshlrev_b64 v[18:19], 2, v[0:1]
	v_rcp_f32_e32 v28, v23
	v_lshl_add_u64 v[20:21], s[6:7], 0, v[18:19]
	global_load_dword v27, v[20:21], off
	v_min_f32_e32 v20, 0x7cf0bdc2, v22
	v_mul_f32_e32 v22, v20, v41
	v_lshl_add_u64 v[20:21], s[8:9], 0, v[34:35]
	global_store_dword v[20:21], v22, off
	v_fma_f32 v21, -v23, v28, 1.0
	v_fmac_f32_e32 v28, v21, v28
	v_div_scale_f32 v21, vcc, 1.0, v13, 1.0
	v_mul_f32_e32 v22, v21, v28
	v_fma_f32 v30, -v23, v22, v21
	v_fmac_f32_e32 v22, v30, v28
	v_fma_f32 v21, -v23, v22, v21
	v_div_fmas_f32 v21, v21, v28, v22
	v_mul_f32_e32 v20, v12, v40
	v_div_fixup_f32 v13, v21, v13, 1.0
	v_add_u32_e32 v0, s2, v0
	v_mul_f32_e32 v13, v20, v13
	v_lshlrev_b64 v[20:21], 2, v[0:1]
	s_mul_i32 s0, s2, 0xffffff77
	v_lshl_add_u64 v[22:23], s[6:7], 0, v[20:21]
	v_add_u32_e32 v0, s0, v0
	global_load_dword v28, v[22:23], off
	v_lshl_add_u64 v[22:23], v[0:1], 2, s[10:11]
	global_load_dword v30, v[22:23], off
	v_min_f32_e32 v13, 0x7cf0bdc2, v13
	s_waitcnt vmcnt(7)
	v_mul_f32_e32 v15, v15, v37
	v_mul_f32_e32 v13, v31, v13
	v_div_scale_f32 v31, s[0:1], v15, v15, 1.0
	v_rcp_f32_e32 v32, v31
	v_lshl_add_u64 v[22:23], s[8:9], 0, v[24:25]
	v_mul_f32_e32 v24, v12, v36
	global_store_dword v[22:23], v13, off
	v_fma_f32 v12, -v31, v32, 1.0
	v_fmac_f32_e32 v32, v12, v32
	v_div_scale_f32 v12, vcc, 1.0, v15, 1.0
	v_mul_f32_e32 v13, v12, v32
	v_fma_f32 v22, -v31, v13, v12
	v_fmac_f32_e32 v13, v22, v32
	s_mul_i32 s0, s2, 0x8a
	v_fma_f32 v12, -v31, v13, v12
	v_add_u32_e32 v0, s0, v0
	v_div_fmas_f32 v25, v12, v32, v13
	v_lshlrev_b64 v[12:13], 2, v[0:1]
	v_lshl_add_u64 v[22:23], s[6:7], 0, v[12:13]
	v_add_u32_e32 v0, s3, v0
	global_load_dword v31, v[22:23], off
	v_lshl_add_u64 v[22:23], v[0:1], 2, s[10:11]
	global_load_dword v32, v[22:23], off
	v_mul_f32_e32 v22, v3, v42
	v_div_scale_f32 v23, s[0:1], v22, v22, 1.0
	v_div_fixup_f32 v15, v25, v15, 1.0
	v_rcp_f32_e32 v25, v23
	v_mul_f32_e32 v15, v24, v15
	v_min_f32_e32 v15, 0x7cf0bdc2, v15
	v_lshl_add_u64 v[16:17], s[8:9], 0, v[16:17]
	v_mul_f32_e32 v11, v37, v11
	s_waitcnt vmcnt(7)
	v_mul_f32_e32 v15, v26, v15
	global_store_dword v[16:17], v15, off
	v_fma_f32 v15, -v23, v25, 1.0
	v_fmac_f32_e32 v25, v15, v25
	v_div_scale_f32 v15, vcc, 1.0, v22, 1.0
	v_mul_f32_e32 v16, v15, v25
	v_fma_f32 v17, -v23, v16, v15
	v_fmac_f32_e32 v16, v17, v25
	v_fma_f32 v15, -v23, v16, v15
	v_div_fmas_f32 v15, v15, v25, v16
	v_div_fixup_f32 v15, v15, v22, 1.0
	v_mul_f32_e32 v15, v24, v15
	v_min_f32_e32 v15, 0x7cf0bdc2, v15
	v_lshl_add_u64 v[16:17], s[8:9], 0, v[18:19]
	v_add_u32_e32 v0, s5, v0
	v_mul_f32_e32 v25, v6, v4
	v_lshl_add_u64 v[20:21], s[8:9], 0, v[20:21]
	v_lshl_add_u64 v[12:13], s[8:9], 0, v[12:13]
	v_div_scale_f32 v6, s[0:1], v5, v5, 1.0
	s_waitcnt vmcnt(7)
	v_mul_f32_e32 v15, v27, v15
	global_store_dword v[16:17], v15, off
	v_div_scale_f32 v15, s[0:1], v11, v11, 1.0
	v_rcp_f32_e32 v22, v15
	v_lshlrev_b64 v[16:17], 2, v[0:1]
	v_lshl_add_u64 v[18:19], s[6:7], 0, v[16:17]
	global_load_dword v24, v[18:19], off
	v_fma_f32 v18, -v15, v22, 1.0
	v_fmac_f32_e32 v22, v18, v22
	v_div_scale_f32 v18, vcc, 1.0, v11, 1.0
	v_mul_f32_e32 v19, v18, v22
	v_fma_f32 v23, -v15, v19, v18
	v_fmac_f32_e32 v19, v23, v22
	v_fma_f32 v15, -v15, v19, v18
	v_add_u32_e32 v0, s2, v0
	v_div_fmas_f32 v15, v15, v22, v19
	v_lshlrev_b64 v[18:19], 2, v[0:1]
	v_div_fixup_f32 v11, v15, v11, 1.0
	v_lshl_add_u64 v[22:23], s[6:7], 0, v[18:19]
	global_load_dword v26, v[22:23], off
	v_mul_f32_e32 v11, v25, v11
	s_waitcnt vmcnt(7)
	v_div_scale_f32 v15, s[0:1], v30, v30, 1.0
	v_rcp_f32_e32 v22, v15
	v_min_f32_e32 v11, 0x7cf0bdc2, v11
	v_mul_f32_e32 v11, v28, v11
	global_store_dword v[20:21], v11, off
	v_fma_f32 v20, -v15, v22, 1.0
	v_fmac_f32_e32 v22, v20, v22
	v_div_scale_f32 v20, vcc, 1.0, v30, 1.0
	v_mul_f32_e32 v21, v20, v22
	v_fma_f32 v23, -v15, v21, v20
	v_fmac_f32_e32 v21, v23, v22
	v_fma_f32 v15, -v15, v21, v20
	v_add_u32_e32 v0, s2, v0
	v_div_fmas_f32 v15, v15, v22, v21
	v_lshlrev_b64 v[20:21], 2, v[0:1]
	v_lshl_add_u64 v[22:23], s[6:7], 0, v[20:21]
	v_mul_f32_e32 v11, v14, v25
	global_load_dword v25, v[22:23], off
	v_div_fixup_f32 v15, v15, v30, 1.0
	v_mul_f32_e32 v11, v11, v15
	v_min_f32_e32 v11, 0x7cf0bdc2, v11
	v_add_u32_e32 v0, s2, v0
	s_waitcnt vmcnt(7)
	v_mul_f32_e32 v11, v31, v11
	global_store_dword v[12:13], v11, off
	s_waitcnt vmcnt(7)
	v_div_scale_f32 v22, s[0:1], v32, v32, 1.0
	v_rcp_f32_e32 v23, v22
	v_mul_f32_e32 v27, v3, v2
	v_mul_f32_e32 v11, v14, v27
	;; [unrolled: 1-line block ×3, first 2 shown]
	v_fma_f32 v12, -v22, v23, 1.0
	v_fmac_f32_e32 v23, v12, v23
	v_lshlrev_b64 v[12:13], 2, v[0:1]
	v_lshl_add_u64 v[14:15], s[6:7], 0, v[12:13]
	global_load_dword v28, v[14:15], off
	v_div_scale_f32 v14, vcc, 1.0, v32, 1.0
	v_mul_f32_e32 v15, v14, v23
	v_fma_f32 v30, -v22, v15, v14
	v_fmac_f32_e32 v15, v30, v23
	v_fma_f32 v14, -v22, v15, v14
	v_div_fmas_f32 v14, v14, v23, v15
	v_div_fixup_f32 v14, v14, v32, 1.0
	v_mul_f32_e32 v11, v11, v14
	v_add_u32_e32 v0, s2, v0
	v_min_f32_e32 v30, 0x7cf0bdc2, v11
	v_lshlrev_b64 v[10:11], 2, v[0:1]
	v_add_u32_e32 v0, s2, v0
	v_lshl_add_u64 v[14:15], s[6:7], 0, v[10:11]
	v_lshlrev_b64 v[0:1], 2, v[0:1]
	v_lshl_add_u64 v[22:23], s[6:7], 0, v[0:1]
	global_load_dword v35, v[14:15], off
	global_load_dword v36, v[22:23], off
	v_div_scale_f32 v33, s[0:1], v31, v31, 1.0
	v_rcp_f32_e32 v34, v33
	v_lshl_add_u64 v[14:15], s[8:9], 0, v[16:17]
	v_rcp_f32_e32 v17, v6
	v_mul_f32_e32 v3, v3, v7
	v_lshl_add_u64 v[0:1], s[8:9], 0, v[0:1]
	s_waitcnt vmcnt(7)
	v_mul_f32_e32 v22, v24, v30
	global_store_dword v[14:15], v22, off
	v_fma_f32 v14, -v33, v34, 1.0
	v_fmac_f32_e32 v34, v14, v34
	v_div_scale_f32 v14, vcc, 1.0, v31, 1.0
	v_mul_f32_e32 v15, v14, v34
	v_fma_f32 v16, -v33, v15, v14
	v_fmac_f32_e32 v15, v16, v34
	v_fma_f32 v14, -v33, v15, v14
	v_div_fmas_f32 v14, v14, v34, v15
	v_div_fixup_f32 v14, v14, v31, 1.0
	v_mul_f32_e32 v14, v27, v14
	v_min_f32_e32 v14, 0x7cf0bdc2, v14
	s_waitcnt vmcnt(7)
	v_mul_f32_e32 v16, v26, v14
	v_lshl_add_u64 v[14:15], s[8:9], 0, v[18:19]
	global_store_dword v[14:15], v16, off
	v_fma_f32 v15, -v6, v17, 1.0
	v_fmac_f32_e32 v17, v15, v17
	v_div_scale_f32 v15, vcc, 1.0, v5, 1.0
	v_mul_f32_e32 v16, v15, v17
	v_fma_f32 v18, -v6, v16, v15
	v_fmac_f32_e32 v16, v18, v17
	v_fma_f32 v6, -v6, v16, v15
	v_div_fmas_f32 v6, v6, v17, v16
	v_div_scale_f32 v15, s[0:1], v3, v3, 1.0
	v_mul_f32_e32 v14, v29, v2
	v_div_fixup_f32 v5, v6, v5, 1.0
	v_rcp_f32_e32 v16, v15
	v_mul_f32_e32 v5, v14, v5
	v_min_f32_e32 v5, 0x7cf0bdc2, v5
	v_lshl_add_u64 v[6:7], s[8:9], 0, v[20:21]
	s_waitcnt vmcnt(6)
	v_mul_f32_e32 v5, v25, v5
	global_store_dword v[6:7], v5, off
	v_fma_f32 v5, -v15, v16, 1.0
	v_fmac_f32_e32 v16, v5, v16
	v_div_scale_f32 v5, vcc, 1.0, v3, 1.0
	v_mul_f32_e32 v6, v5, v16
	v_fma_f32 v7, -v15, v6, v5
	v_fmac_f32_e32 v6, v7, v16
	v_fma_f32 v5, -v15, v6, v5
	v_div_fmas_f32 v5, v5, v16, v6
	v_mul_f32_e32 v6, v8, v4
	v_div_fixup_f32 v3, v5, v3, 1.0
	v_div_scale_f32 v7, s[0:1], v6, v6, 1.0
	v_mul_f32_e32 v3, v14, v3
	v_rcp_f32_e32 v14, v7
	v_min_f32_e32 v3, 0x7cf0bdc2, v3
	s_waitcnt vmcnt(5)
	v_mul_f32_e32 v3, v28, v3
	v_lshl_add_u64 v[4:5], s[8:9], 0, v[12:13]
	global_store_dword v[4:5], v3, off
	v_fma_f32 v4, -v7, v14, 1.0
	v_fmac_f32_e32 v14, v4, v14
	v_div_scale_f32 v4, vcc, 1.0, v6, 1.0
	v_mul_f32_e32 v5, v4, v14
	v_fma_f32 v12, -v7, v5, v4
	v_fmac_f32_e32 v5, v12, v14
	v_fma_f32 v4, -v7, v5, v4
	v_div_fmas_f32 v4, v4, v14, v5
	v_div_fixup_f32 v4, v4, v6, 1.0
	v_mul_f32_e32 v6, v9, v32
	v_div_scale_f32 v7, s[0:1], v6, v6, 1.0
	v_mul_f32_e32 v3, v9, v2
	v_rcp_f32_e32 v9, v7
	v_mul_f32_e32 v3, v3, v4
	v_min_f32_e32 v3, 0x7cf0bdc2, v3
	s_waitcnt vmcnt(5)
	v_mul_f32_e32 v3, v35, v3
	v_lshl_add_u64 v[4:5], s[8:9], 0, v[10:11]
	global_store_dword v[4:5], v3, off
	v_fma_f32 v3, -v7, v9, 1.0
	v_fmac_f32_e32 v9, v3, v9
	v_div_scale_f32 v3, vcc, 1.0, v6, 1.0
	v_mul_f32_e32 v4, v3, v9
	v_fma_f32 v5, -v7, v4, v3
	v_fmac_f32_e32 v4, v5, v9
	v_fma_f32 v3, -v7, v4, v3
	v_div_fmas_f32 v3, v3, v9, v4
	v_mul_f32_e32 v2, v8, v2
	v_div_fixup_f32 v3, v3, v6, 1.0
	v_mul_f32_e32 v2, v2, v3
	v_min_f32_e32 v2, 0x7cf0bdc2, v2
	s_waitcnt vmcnt(5)
	v_mul_f32_e32 v2, v36, v2
	global_store_dword v[0:1], v2, off
	s_endpgm
	.section	.rodata,"a",@progbits
	.p2align	6, 0x0
	.amdhsa_kernel _Z12ratt8_kernelIfEvPKT_S2_PS0_S2_S0_
		.amdhsa_group_segment_fixed_size 0
		.amdhsa_private_segment_fixed_size 0
		.amdhsa_kernarg_size 296
		.amdhsa_user_sgpr_count 2
		.amdhsa_user_sgpr_dispatch_ptr 0
		.amdhsa_user_sgpr_queue_ptr 0
		.amdhsa_user_sgpr_kernarg_segment_ptr 1
		.amdhsa_user_sgpr_dispatch_id 0
		.amdhsa_user_sgpr_kernarg_preload_length 0
		.amdhsa_user_sgpr_kernarg_preload_offset 0
		.amdhsa_user_sgpr_private_segment_size 0
		.amdhsa_uses_dynamic_stack 0
		.amdhsa_enable_private_segment 0
		.amdhsa_system_sgpr_workgroup_id_x 1
		.amdhsa_system_sgpr_workgroup_id_y 0
		.amdhsa_system_sgpr_workgroup_id_z 0
		.amdhsa_system_sgpr_workgroup_info 0
		.amdhsa_system_vgpr_workitem_id 0
		.amdhsa_next_free_vgpr 48
		.amdhsa_next_free_sgpr 15
		.amdhsa_accum_offset 48
		.amdhsa_reserve_vcc 1
		.amdhsa_float_round_mode_32 0
		.amdhsa_float_round_mode_16_64 0
		.amdhsa_float_denorm_mode_32 3
		.amdhsa_float_denorm_mode_16_64 3
		.amdhsa_dx10_clamp 1
		.amdhsa_ieee_mode 1
		.amdhsa_fp16_overflow 0
		.amdhsa_tg_split 0
		.amdhsa_exception_fp_ieee_invalid_op 0
		.amdhsa_exception_fp_denorm_src 0
		.amdhsa_exception_fp_ieee_div_zero 0
		.amdhsa_exception_fp_ieee_overflow 0
		.amdhsa_exception_fp_ieee_underflow 0
		.amdhsa_exception_fp_ieee_inexact 0
		.amdhsa_exception_int_div_zero 0
	.end_amdhsa_kernel
	.section	.text._Z12ratt8_kernelIfEvPKT_S2_PS0_S2_S0_,"axG",@progbits,_Z12ratt8_kernelIfEvPKT_S2_PS0_S2_S0_,comdat
.Lfunc_end9:
	.size	_Z12ratt8_kernelIfEvPKT_S2_PS0_S2_S0_, .Lfunc_end9-_Z12ratt8_kernelIfEvPKT_S2_PS0_S2_S0_
                                        ; -- End function
	.set _Z12ratt8_kernelIfEvPKT_S2_PS0_S2_S0_.num_vgpr, 48
	.set _Z12ratt8_kernelIfEvPKT_S2_PS0_S2_S0_.num_agpr, 0
	.set _Z12ratt8_kernelIfEvPKT_S2_PS0_S2_S0_.numbered_sgpr, 15
	.set _Z12ratt8_kernelIfEvPKT_S2_PS0_S2_S0_.num_named_barrier, 0
	.set _Z12ratt8_kernelIfEvPKT_S2_PS0_S2_S0_.private_seg_size, 0
	.set _Z12ratt8_kernelIfEvPKT_S2_PS0_S2_S0_.uses_vcc, 1
	.set _Z12ratt8_kernelIfEvPKT_S2_PS0_S2_S0_.uses_flat_scratch, 0
	.set _Z12ratt8_kernelIfEvPKT_S2_PS0_S2_S0_.has_dyn_sized_stack, 0
	.set _Z12ratt8_kernelIfEvPKT_S2_PS0_S2_S0_.has_recursion, 0
	.set _Z12ratt8_kernelIfEvPKT_S2_PS0_S2_S0_.has_indirect_call, 0
	.section	.AMDGPU.csdata,"",@progbits
; Kernel info:
; codeLenInByte = 4616
; TotalNumSgprs: 21
; NumVgprs: 48
; NumAgprs: 0
; TotalNumVgprs: 48
; ScratchSize: 0
; MemoryBound: 0
; FloatMode: 240
; IeeeMode: 1
; LDSByteSize: 0 bytes/workgroup (compile time only)
; SGPRBlocks: 2
; VGPRBlocks: 5
; NumSGPRsForWavesPerEU: 21
; NumVGPRsForWavesPerEU: 48
; AccumOffset: 48
; Occupancy: 8
; WaveLimiterHint : 0
; COMPUTE_PGM_RSRC2:SCRATCH_EN: 0
; COMPUTE_PGM_RSRC2:USER_SGPR: 2
; COMPUTE_PGM_RSRC2:TRAP_HANDLER: 0
; COMPUTE_PGM_RSRC2:TGID_X_EN: 1
; COMPUTE_PGM_RSRC2:TGID_Y_EN: 0
; COMPUTE_PGM_RSRC2:TGID_Z_EN: 0
; COMPUTE_PGM_RSRC2:TIDIG_COMP_CNT: 0
; COMPUTE_PGM_RSRC3_GFX90A:ACCUM_OFFSET: 11
; COMPUTE_PGM_RSRC3_GFX90A:TG_SPLIT: 0
	.section	.text._Z12ratt9_kernelIfEvPKT_S2_PS0_S2_S0_,"axG",@progbits,_Z12ratt9_kernelIfEvPKT_S2_PS0_S2_S0_,comdat
	.protected	_Z12ratt9_kernelIfEvPKT_S2_PS0_S2_S0_ ; -- Begin function _Z12ratt9_kernelIfEvPKT_S2_PS0_S2_S0_
	.globl	_Z12ratt9_kernelIfEvPKT_S2_PS0_S2_S0_
	.p2align	8
	.type	_Z12ratt9_kernelIfEvPKT_S2_PS0_S2_S0_,@function
_Z12ratt9_kernelIfEvPKT_S2_PS0_S2_S0_:  ; @_Z12ratt9_kernelIfEvPKT_S2_PS0_S2_S0_
; %bb.0:
	s_load_dword s3, s[0:1], 0x34
	s_load_dword s12, s[0:1], 0x28
	s_load_dwordx8 s[4:11], s[0:1], 0x0
	v_mov_b32_e32 v1, 0
	s_load_dword s0, s[0:1], 0x20
	s_waitcnt lgkmcnt(0)
	s_and_b32 s3, s3, 0xffff
	s_mul_i32 s2, s2, s3
	v_add_u32_e32 v0, s2, v0
	v_lshlrev_b64 v[2:3], 2, v[0:1]
	v_lshl_add_u64 v[4:5], s[4:5], 0, v[2:3]
	global_load_dword v36, v[4:5], off
	s_mul_i32 s2, s12, s3
	v_mad_u64_u32 v[4:5], s[4:5], s2, 6, v[0:1]
	v_mov_b32_e32 v5, v1
	v_lshl_add_u64 v[10:11], v[4:5], 2, s[10:11]
	v_lshl_add_u32 v4, s2, 4, v4
	v_lshl_add_u64 v[14:15], v[4:5], 2, s[10:11]
	v_mad_u64_u32 v[4:5], s[4:5], s2, -15, v[4:5]
	v_mov_b32_e32 v5, v1
	v_lshl_add_u64 v[16:17], v[4:5], 2, s[10:11]
	v_mad_u64_u32 v[4:5], s[4:5], s2, 14, v[4:5]
	v_mov_b32_e32 v5, v1
	global_load_dword v28, v[10:11], off
	global_load_dword v31, v[14:15], off
	v_lshl_add_u64 v[6:7], v[4:5], 2, s[10:11]
	global_load_dword v34, v[16:17], off
	global_load_dword v26, v[6:7], off
	s_mul_i32 s4, s2, 0x9a
	s_mul_i32 s3, s2, 0xffffff55
	v_add_u32_e32 v4, s4, v4
	v_mov_b32_e32 v7, v1
	v_add_u32_e32 v6, s3, v4
	v_mad_u64_u32 v[18:19], s[12:13], s2, 7, v[6:7]
	v_lshlrev_b64 v[12:13], 2, v[4:5]
	v_mov_b32_e32 v19, v1
	v_lshl_add_u64 v[8:9], s[6:7], 0, v[12:13]
	v_lshl_add_u64 v[4:5], v[6:7], 2, s[10:11]
	;; [unrolled: 1-line block ×3, first 2 shown]
	v_mad_u64_u32 v[18:19], s[12:13], s2, 5, v[18:19]
	global_load_dword v37, v[8:9], off
	v_mov_b32_e32 v19, v1
	v_lshl_add_u64 v[8:9], v[18:19], 2, s[10:11]
	global_load_dword v29, v[4:5], off
	global_load_dword v27, v[6:7], off
	;; [unrolled: 1-line block ×3, first 2 shown]
	s_mul_i32 s13, s2, 0xa0
	s_mul_i32 s12, s2, 0xffffff67
	v_add_u32_e32 v18, s13, v18
	global_load_dword v35, v[16:17], off
	global_load_dword v32, v[14:15], off
	;; [unrolled: 1-line block ×3, first 2 shown]
	v_lshlrev_b64 v[16:17], 2, v[18:19]
	v_add_u32_e32 v22, s12, v18
	v_mov_b32_e32 v23, v1
	v_mov_b32_e32 v25, v1
	v_lshl_add_u64 v[10:11], s[6:7], 0, v[16:17]
	v_add_u32_e32 v24, s4, v22
	v_lshl_add_u64 v[14:15], v[22:23], 2, s[10:11]
	global_load_dword v40, v[10:11], off
	global_load_dword v38, v[14:15], off
	v_lshlrev_b64 v[10:11], 2, v[24:25]
	v_lshl_add_u64 v[18:19], s[6:7], 0, v[10:11]
	global_load_dword v39, v[18:19], off
	s_mul_i32 s1, s2, 0xffffff5e
	v_add_u32_e32 v20, s1, v24
	v_mov_b32_e32 v21, v1
	v_lshl_add_u64 v[14:15], v[20:21], 2, s[10:11]
	s_lshl_b32 s5, s2, 1
	v_lshl_add_u64 v[12:13], s[8:9], 0, v[12:13]
	v_add_u32_e32 v0, s2, v0
	s_mul_i32 s4, s2, 0xb2
	s_waitcnt vmcnt(14)
	v_mul_f32_e32 v18, s0, v36
	v_mul_f32_e32 v18, 0x4c9e9632, v18
	v_div_scale_f32 v19, s[0:1], v18, v18, 1.0
	v_rcp_f32_e32 v22, v19
	v_div_scale_f32 v21, vcc, 1.0, v18, 1.0
	v_fma_f32 v23, -v19, v22, 1.0
	v_fmac_f32_e32 v22, v23, v22
	v_mul_f32_e32 v23, v21, v22
	v_fma_f32 v24, -v19, v23, v21
	v_fmac_f32_e32 v23, v24, v22
	v_fma_f32 v19, -v19, v23, v21
	v_div_fmas_f32 v19, v19, v22, v23
	v_div_fixup_f32 v18, v19, v18, 1.0
	v_mul_f32_e32 v21, 0x49776020, v18
	s_waitcnt vmcnt(10)
	v_mul_f32_e32 v41, v34, v26
	v_div_scale_f32 v42, s[0:1], v41, v41, 1.0
	v_rcp_f32_e32 v44, v42
	v_subrev_u32_e32 v18, s5, v20
	v_mov_b32_e32 v19, v1
	v_lshl_add_u64 v[22:23], v[18:19], 2, s[10:11]
	v_fma_f32 v24, -v42, v44, 1.0
	v_fmac_f32_e32 v44, v24, v44
	global_load_dword v24, v[14:15], off
	global_load_dword v25, v[22:23], off
	v_div_scale_f32 v43, s[0:1], 1.0, v41, 1.0
	v_mul_f32_e32 v45, v43, v44
	v_fma_f32 v46, -v42, v45, v43
	v_fmac_f32_e32 v45, v46, v44
	v_fma_f32 v19, -v42, v45, v43
	s_mov_b64 vcc, s[0:1]
	v_div_fmas_f32 v19, v19, v44, v45
	v_mul_f32_e32 v36, v28, v31
	v_div_fixup_f32 v19, v19, v41, 1.0
	v_mul_f32_e32 v19, v36, v19
	v_min_f32_e32 v19, 0x7cf0bdc2, v19
	s_waitcnt vmcnt(11)
	v_mul_f32_e32 v37, v37, v19
	global_load_dword v20, v[6:7], off
	global_load_dword v19, v[8:9], off
	;; [unrolled: 1-line block ×4, first 2 shown]
	s_waitcnt vmcnt(13)
	v_mul_f32_e32 v4, v29, v27
	s_waitcnt vmcnt(12)
	v_mul_f32_e32 v4, v4, v30
	v_mul_f32_e32 v8, v21, v4
	v_div_scale_f32 v9, s[0:1], v8, v8, 1.0
	s_mul_i32 s0, s2, 0xa5
	s_nop 0
	v_add_u32_e32 v4, s0, v18
	v_mov_b32_e32 v5, v1
	global_store_dword v[12:13], v37, off
	v_lshl_add_u64 v[12:13], s[10:11], 0, v[2:3]
	v_lshlrev_b64 v[6:7], 2, v[4:5]
	global_load_dword v44, v[12:13], off
	v_lshl_add_u64 v[4:5], s[6:7], 0, v[6:7]
	global_load_dword v18, v[4:5], off
	v_rcp_f32_e32 v41, v9
	v_div_scale_f32 v2, vcc, 1.0, v8, 1.0
	v_lshl_add_u64 v[42:43], v[0:1], 2, s[10:11]
	v_fma_f32 v4, -v9, v41, 1.0
	v_fmac_f32_e32 v41, v4, v41
	v_mul_f32_e32 v4, v2, v41
	v_fma_f32 v5, -v9, v4, v2
	v_fmac_f32_e32 v4, v5, v41
	v_fma_f32 v2, -v9, v4, v2
	v_div_fmas_f32 v2, v2, v41, v4
	v_div_fixup_f32 v2, v2, v8, 1.0
	v_mul_f32_e32 v2, v36, v2
	global_load_dword v3, v[42:43], off
	v_min_f32_e32 v2, 0x7cf0bdc2, v2
	v_add_u32_e32 v0, s4, v0
	s_waitcnt vmcnt(12)
	v_mul_f32_e32 v2, v40, v2
	v_lshl_add_u64 v[4:5], s[8:9], 0, v[16:17]
	v_lshlrev_b64 v[16:17], 2, v[0:1]
	global_store_dword v[4:5], v2, off
	v_lshl_add_u64 v[4:5], s[6:7], 0, v[16:17]
	s_waitcnt vmcnt(12)
	v_mul_f32_e32 v8, v28, v38
	global_load_dword v45, v[4:5], off
	v_div_scale_f32 v9, s[0:1], v8, v8, 1.0
	v_mul_f32_e32 v2, v31, v34
	v_rcp_f32_e32 v34, v9
	s_mul_i32 s0, s2, 0xffffff4f
	v_add_u32_e32 v0, s0, v0
	v_lshl_add_u64 v[36:37], v[0:1], 2, s[10:11]
	v_fma_f32 v4, -v9, v34, 1.0
	v_fmac_f32_e32 v34, v4, v34
	v_div_scale_f32 v4, vcc, 1.0, v8, 1.0
	v_mul_f32_e32 v5, v4, v34
	v_fma_f32 v40, -v9, v5, v4
	v_fmac_f32_e32 v5, v40, v34
	v_fma_f32 v4, -v9, v5, v4
	v_div_fmas_f32 v4, v4, v34, v5
	global_load_dword v46, v[36:37], off
	v_div_fixup_f32 v4, v4, v8, 1.0
	v_mul_f32_e32 v2, v2, v4
	v_min_f32_e32 v2, 0x7cf0bdc2, v2
	v_lshl_add_u64 v[4:5], s[8:9], 0, v[10:11]
	s_waitcnt vmcnt(13)
	v_mul_f32_e32 v2, v39, v2
	v_add_u32_e32 v0, s4, v0
	global_store_dword v[4:5], v2, off
	global_load_dword v2, v[14:15], off
	v_lshlrev_b64 v[14:15], 2, v[0:1]
	v_lshl_add_u64 v[4:5], s[6:7], 0, v[14:15]
	global_load_dword v34, v[4:5], off
	s_waitcnt vmcnt(14)
	v_mul_f32_e32 v9, v38, v25
	v_div_scale_f32 v10, s[0:1], v9, v9, 1.0
	s_mul_i32 s0, s2, 0xffffff51
	s_nop 0
	v_add_u32_e32 v0, s0, v0
	v_lshl_add_u64 v[40:41], v[0:1], 2, s[10:11]
	global_load_dword v39, v[40:41], off
	v_rcp_f32_e32 v11, v10
	v_mul_f32_e32 v8, v31, v24
	v_lshl_add_u64 v[6:7], s[8:9], 0, v[6:7]
	v_lshl_add_u64 v[14:15], s[8:9], 0, v[14:15]
	v_fma_f32 v4, -v10, v11, 1.0
	v_fmac_f32_e32 v11, v4, v11
	v_div_scale_f32 v4, vcc, 1.0, v9, 1.0
	v_mul_f32_e32 v5, v4, v11
	v_fma_f32 v47, -v10, v5, v4
	v_fmac_f32_e32 v5, v47, v11
	v_fma_f32 v4, -v10, v5, v4
	v_div_fmas_f32 v4, v4, v11, v5
	v_div_fixup_f32 v4, v4, v9, 1.0
	v_mul_f32_e32 v4, v8, v4
	v_min_f32_e32 v4, 0x7cf0bdc2, v4
	s_mul_i32 s4, s2, 0xa7
	s_waitcnt vmcnt(9)
	v_mul_f32_e32 v9, v31, v44
	v_div_scale_f32 v11, s[0:1], v9, v9, 1.0
	s_waitcnt vmcnt(8)
	v_mul_f32_e32 v5, v18, v4
	v_rcp_f32_e32 v18, v11
	s_mul_i32 s0, s2, 0xb0
	v_add_u32_e32 v0, s0, v0
	global_load_dword v4, v[12:13], off
	global_load_dword v8, v[12:13], off
	;; [unrolled: 1-line block ×3, first 2 shown]
	v_lshlrev_b64 v[12:13], 2, v[0:1]
	global_store_dword v[6:7], v5, off
	v_fma_f32 v6, -v11, v18, 1.0
	v_fmac_f32_e32 v18, v6, v18
	v_lshl_add_u64 v[6:7], s[6:7], 0, v[12:13]
	global_load_dword v44, v[6:7], off
	v_div_scale_f32 v42, vcc, 1.0, v9, 1.0
	v_mul_f32_e32 v43, v42, v18
	v_fma_f32 v6, -v11, v43, v42
	v_add_u32_e32 v0, s3, v0
	v_fmac_f32_e32 v43, v6, v18
	v_lshl_add_u64 v[6:7], v[0:1], 2, s[10:11]
	global_load_dword v47, v[6:7], off
	v_fma_f32 v6, -v11, v43, v42
	v_div_fmas_f32 v6, v6, v18, v43
	s_waitcnt vmcnt(13)
	v_mul_f32_e32 v5, v38, v3
	v_div_fixup_f32 v6, v6, v9, 1.0
	v_mul_f32_e32 v18, v31, v29
	v_mul_f32_e32 v5, v5, v6
	v_div_scale_f32 v42, s[0:1], v18, v18, 1.0
	v_min_f32_e32 v5, 0x7cf0bdc2, v5
	s_mul_i32 s0, s2, 0xac
	s_waitcnt vmcnt(11)
	v_mul_f32_e32 v5, v45, v5
	v_lshl_add_u64 v[6:7], s[8:9], 0, v[16:17]
	v_add_u32_e32 v0, s0, v0
	s_mul_i32 s0, s2, 0xffffff56
	global_store_dword v[6:7], v5, off
	v_lshlrev_b64 v[16:17], 2, v[0:1]
	v_add_u32_e32 v0, s0, v0
	global_load_dword v5, v[36:37], off
	global_load_dword v9, v[36:37], off
	v_lshl_add_u64 v[36:37], v[0:1], 2, s[10:11]
	global_load_dword v48, v[36:37], off
	v_rcp_f32_e32 v43, v42
	v_lshl_add_u64 v[6:7], s[6:7], 0, v[16:17]
	global_load_dword v7, v[6:7], off
	s_waitcnt vmcnt(15)
	v_mul_f32_e32 v11, v38, v46
	v_fma_f32 v6, -v42, v43, 1.0
	v_fmac_f32_e32 v43, v6, v43
	v_div_scale_f32 v6, vcc, 1.0, v18, 1.0
	v_mul_f32_e32 v45, v6, v43
	v_fma_f32 v46, -v42, v45, v6
	v_fmac_f32_e32 v45, v46, v43
	v_fma_f32 v6, -v42, v45, v6
	v_div_fmas_f32 v6, v6, v43, v45
	v_div_fixup_f32 v6, v6, v18, 1.0
	v_mul_f32_e32 v6, v6, v11
	v_min_f32_e32 v6, 0x7cf0bdc2, v6
	s_waitcnt vmcnt(12)
	v_mul_f32_e32 v11, v34, v6
	global_store_dword v[14:15], v11, off
	s_waitcnt vmcnt(12)
	v_mul_f32_e32 v18, v31, v39
	v_div_scale_f32 v34, s[0:1], v18, v18, 1.0
	v_rcp_f32_e32 v39, v34
	s_mul_i32 s0, s2, 0xab
	v_add_u32_e32 v0, s0, v0
	s_mul_i32 s0, s2, 0xffffff65
	v_fma_f32 v14, -v34, v39, 1.0
	v_fmac_f32_e32 v39, v14, v39
	v_lshlrev_b64 v[14:15], 2, v[0:1]
	global_load_dword v6, v[40:41], off
	v_lshl_add_u64 v[40:41], s[6:7], 0, v[14:15]
	v_add_u32_e32 v0, s0, v0
	global_load_dword v49, v[40:41], off
	v_lshl_add_u64 v[40:41], v[0:1], 2, s[10:11]
	v_add_u32_e32 v0, s2, v0
	v_lshl_add_u64 v[42:43], v[0:1], 2, s[10:11]
	global_load_dword v50, v[42:43], off
	v_div_scale_f32 v45, vcc, 1.0, v18, 1.0
	v_mul_f32_e32 v46, v45, v39
	v_fma_f32 v51, -v34, v46, v45
	v_fmac_f32_e32 v46, v51, v39
	v_fma_f32 v34, -v34, v46, v45
	v_div_fmas_f32 v34, v34, v39, v46
	v_div_fixup_f32 v18, v34, v18, 1.0
	v_mul_f32_e32 v34, v31, v27
	v_mul_f32_e32 v11, v29, v38
	v_div_scale_f32 v39, s[0:1], v34, v34, 1.0
	v_mul_f32_e32 v11, v11, v18
	global_load_dword v18, v[40:41], off
	s_mul_i32 s0, s2, 0x9b
	v_min_f32_e32 v11, 0x7cf0bdc2, v11
	v_add_u32_e32 v0, s0, v0
	s_mul_i32 s0, s2, 0xffffff5b
	s_waitcnt vmcnt(11)
	v_mul_f32_e32 v11, v44, v11
	v_lshl_add_u64 v[12:13], s[8:9], 0, v[12:13]
	v_lshlrev_b64 v[44:45], 2, v[0:1]
	v_add_u32_e32 v0, s0, v0
	global_store_dword v[12:13], v11, off
	v_lshl_add_u64 v[12:13], v[0:1], 2, s[10:11]
	global_load_dword v51, v[12:13], off
	v_rcp_f32_e32 v46, v39
	s_waitcnt vmcnt(12)
	v_mul_f32_e32 v11, v38, v47
	v_div_scale_f32 v12, vcc, 1.0, v34, 1.0
	v_fma_f32 v47, -v39, v46, 1.0
	v_fmac_f32_e32 v46, v47, v46
	v_mul_f32_e32 v47, v12, v46
	v_fma_f32 v13, -v39, v47, v12
	v_fmac_f32_e32 v47, v13, v46
	v_fma_f32 v39, -v39, v47, v12
	v_lshl_add_u64 v[12:13], s[6:7], 0, v[44:45]
	global_load_dword v52, v[12:13], off
	v_div_fmas_f32 v12, v39, v46, v47
	v_div_fixup_f32 v12, v12, v34, 1.0
	v_mul_f32_e32 v11, v12, v11
	v_min_f32_e32 v11, 0x7cf0bdc2, v11
	s_mul_i32 s3, s2, 0xffffff5a
	s_waitcnt vmcnt(9)
	v_mul_f32_e32 v31, v31, v48
	v_div_scale_f32 v34, s[0:1], v31, v31, 1.0
	s_mul_i32 s0, s2, 0xa6
	s_nop 0
	v_add_u32_e32 v0, s0, v0
	s_mul_i32 s0, s2, 0xffffff4a
	s_waitcnt vmcnt(8)
	v_mul_f32_e32 v11, v7, v11
	global_load_dword v7, v[36:37], off
	v_lshlrev_b64 v[36:37], 2, v[0:1]
	v_add_u32_e32 v0, s0, v0
	v_lshl_add_u64 v[46:47], v[0:1], 2, s[10:11]
	global_load_dword v54, v[46:47], off
	v_rcp_f32_e32 v39, v34
	v_lshl_add_u64 v[12:13], s[6:7], 0, v[36:37]
	global_load_dword v53, v[12:13], off
	v_lshl_add_u64 v[12:13], s[8:9], 0, v[16:17]
	global_store_dword v[12:13], v11, off
	v_fma_f32 v12, -v34, v39, 1.0
	v_fmac_f32_e32 v39, v12, v39
	v_div_scale_f32 v12, vcc, 1.0, v31, 1.0
	v_mul_f32_e32 v13, v12, v39
	v_fma_f32 v16, -v34, v13, v12
	v_fmac_f32_e32 v13, v16, v39
	v_fma_f32 v12, -v34, v13, v12
	v_div_fmas_f32 v12, v12, v39, v13
	v_mul_f32_e32 v11, v27, v38
	v_div_fixup_f32 v12, v12, v31, 1.0
	v_mul_f32_e32 v11, v11, v12
	v_min_f32_e32 v11, 0x7cf0bdc2, v11
	v_lshl_add_u64 v[12:13], s[8:9], 0, v[14:15]
	v_lshl_add_u64 v[36:37], s[8:9], 0, v[36:37]
	s_waitcnt vmcnt(9)
	v_mul_f32_e32 v11, v49, v11
	global_store_dword v[12:13], v11, off
	global_load_dword v16, v[42:43], off
	global_load_dword v17, v[40:41], off
	s_nop 0
	global_load_dword v11, v[42:43], off
	global_load_dword v12, v[40:41], off
	s_waitcnt vmcnt(13)
	v_div_scale_f32 v13, s[0:1], v50, v50, 1.0
	s_mul_i32 s0, s2, 0xb7
	s_nop 0
	v_add_u32_e32 v0, s0, v0
	v_lshlrev_b64 v[38:39], 2, v[0:1]
	v_add_u32_e32 v0, s3, v0
	v_lshl_add_u64 v[40:41], v[0:1], 2, s[10:11]
	global_load_dword v34, v[40:41], off
	v_rcp_f32_e32 v31, v13
	v_lshl_add_u64 v[14:15], s[6:7], 0, v[38:39]
	global_load_dword v55, v[14:15], off
	v_div_scale_f32 v14, vcc, 1.0, v50, 1.0
	v_fma_f32 v43, -v13, v31, 1.0
	v_fmac_f32_e32 v31, v43, v31
	v_mul_f32_e32 v15, v14, v31
	v_fma_f32 v43, -v13, v15, v14
	v_fmac_f32_e32 v15, v43, v31
	v_fma_f32 v13, -v13, v15, v14
	s_waitcnt vmcnt(14)
	v_mul_f32_e32 v49, v3, v18
	v_div_fmas_f32 v13, v13, v31, v15
	v_mul_f32_e32 v42, v21, v49
	v_div_fixup_f32 v13, v13, v50, 1.0
	v_add_u32_e32 v0, s4, v0
	v_mul_f32_e32 v13, v42, v13
	v_lshlrev_b64 v[42:43], 2, v[0:1]
	v_lshl_add_u64 v[14:15], s[6:7], 0, v[42:43]
	s_waitcnt vmcnt(12)
	v_mul_f32_e32 v31, v48, v51
	global_load_dword v51, v[14:15], off
	v_div_scale_f32 v48, s[0:1], v31, v31, 1.0
	v_rcp_f32_e32 v56, v48
	v_min_f32_e32 v13, 0x7cf0bdc2, v13
	v_lshl_add_u64 v[14:15], s[8:9], 0, v[44:45]
	v_add_u32_e32 v0, s2, v0
	v_lshlrev_b64 v[44:45], 2, v[0:1]
	s_waitcnt vmcnt(12)
	v_mul_f32_e32 v13, v52, v13
	global_store_dword v[14:15], v13, off
	v_fma_f32 v13, -v48, v56, 1.0
	v_fmac_f32_e32 v56, v13, v56
	v_div_scale_f32 v13, vcc, 1.0, v31, 1.0
	v_mul_f32_e32 v14, v13, v56
	v_fma_f32 v15, -v48, v14, v13
	v_fmac_f32_e32 v14, v15, v56
	v_fma_f32 v13, -v48, v14, v13
	v_div_fmas_f32 v13, v13, v56, v14
	v_div_fixup_f32 v13, v13, v31, 1.0
	global_load_dword v14, v[46:47], off
	v_lshl_add_u64 v[46:47], s[6:7], 0, v[44:45]
	v_mul_f32_e32 v13, v49, v13
	global_load_dword v49, v[46:47], off
	v_min_f32_e32 v13, 0x7cf0bdc2, v13
	s_waitcnt vmcnt(13)
	v_mul_f32_e32 v15, v50, v54
	v_div_scale_f32 v31, s[0:1], v15, v15, 1.0
	s_mul_i32 s0, s2, 0xffffff62
	s_nop 0
	v_add_u32_e32 v0, s0, v0
	v_lshl_add_u64 v[46:47], v[0:1], 2, s[10:11]
	global_load_dword v52, v[46:47], off
	v_rcp_f32_e32 v48, v31
	s_waitcnt vmcnt(13)
	v_mul_f32_e32 v13, v53, v13
	global_store_dword v[36:37], v13, off
	v_mul_f32_e32 v53, v28, v18
	v_fma_f32 v13, -v31, v48, 1.0
	v_fmac_f32_e32 v48, v13, v48
	v_div_scale_f32 v13, vcc, 1.0, v15, 1.0
	v_mul_f32_e32 v28, v13, v48
	v_fma_f32 v36, -v31, v28, v13
	v_fmac_f32_e32 v28, v36, v48
	v_fma_f32 v13, -v31, v28, v13
	s_mul_i32 s0, s2, 0x9f
	v_div_fmas_f32 v13, v13, v48, v28
	v_add_u32_e32 v0, s0, v0
	v_div_fixup_f32 v13, v13, v15, 1.0
	v_mul_f32_e32 v36, v29, v30
	v_lshlrev_b64 v[28:29], 2, v[0:1]
	v_mul_f32_e32 v13, v53, v13
	v_lshl_add_u64 v[30:31], s[6:7], 0, v[28:29]
	v_min_f32_e32 v15, 0x7cf0bdc2, v13
	global_load_dword v48, v[30:31], off
	global_load_dword v13, v[40:41], off
	v_add_u32_e32 v0, s2, v0
	s_waitcnt vmcnt(12)
	v_mul_f32_e32 v4, v4, v17
	s_waitcnt vmcnt(11)
	v_mul_f32_e32 v8, v8, v11
	;; [unrolled: 2-line block ×3, first 2 shown]
	v_mul_f32_e32 v34, v21, v30
	v_div_scale_f32 v36, s[0:1], v34, v34, 1.0
	v_rcp_f32_e32 v40, v36
	s_waitcnt vmcnt(8)
	v_mul_f32_e32 v15, v55, v15
	v_lshl_add_u64 v[30:31], s[8:9], 0, v[38:39]
	global_store_dword v[30:31], v15, off
	v_fma_f32 v15, -v36, v40, 1.0
	v_fmac_f32_e32 v40, v15, v40
	v_div_scale_f32 v15, vcc, 1.0, v34, 1.0
	v_mul_f32_e32 v38, v15, v40
	v_fma_f32 v30, -v36, v38, v15
	v_fmac_f32_e32 v38, v30, v40
	v_fma_f32 v15, -v36, v38, v15
	v_lshlrev_b64 v[30:31], 2, v[0:1]
	v_lshl_add_u64 v[36:37], s[6:7], 0, v[30:31]
	v_div_fmas_f32 v15, v15, v40, v38
	global_load_dword v39, v[36:37], off
	v_div_fixup_f32 v15, v15, v34, 1.0
	v_mul_f32_e32 v34, v25, v50
	v_div_scale_f32 v38, s[0:1], v34, v34, 1.0
	v_rcp_f32_e32 v40, v38
	v_mul_f32_e32 v15, v53, v15
	v_min_f32_e32 v15, 0x7cf0bdc2, v15
	s_waitcnt vmcnt(9)
	v_mul_f32_e32 v15, v51, v15
	v_lshl_add_u64 v[36:37], s[8:9], 0, v[42:43]
	global_store_dword v[36:37], v15, off
	v_mul_f32_e32 v15, v24, v18
	v_fma_f32 v18, -v38, v40, 1.0
	v_fmac_f32_e32 v40, v18, v40
	v_div_scale_f32 v18, vcc, 1.0, v34, 1.0
	v_mul_f32_e32 v41, v18, v40
	v_fma_f32 v24, -v38, v41, v18
	v_add_u32_e32 v0, s2, v0
	v_fmac_f32_e32 v41, v24, v40
	v_lshlrev_b64 v[24:25], 2, v[0:1]
	v_lshl_add_u64 v[36:37], s[6:7], 0, v[24:25]
	v_add_u32_e32 v0, s3, v0
	global_load_dword v42, v[36:37], off
	v_lshl_add_u64 v[36:37], v[0:1], 2, s[10:11]
	global_load_dword v43, v[36:37], off
	v_fma_f32 v18, -v38, v41, v18
	v_div_fmas_f32 v18, v18, v40, v41
	v_div_fixup_f32 v18, v18, v34, 1.0
	v_mul_f32_e32 v15, v15, v18
	v_min_f32_e32 v15, 0x7cf0bdc2, v15
	s_waitcnt vmcnt(9)
	v_mul_f32_e32 v18, v15, v49
	global_load_dword v15, v[46:47], off
	v_lshl_add_u64 v[36:37], s[8:9], 0, v[44:45]
	global_store_dword v[36:37], v18, off
	s_waitcnt vmcnt(10)
	v_div_scale_f32 v34, s[0:1], v52, v52, 1.0
	v_rcp_f32_e32 v38, v34
	v_mul_f32_e32 v18, v3, v50
	v_mul_f32_e32 v36, v21, v18
	v_add_u32_e32 v0, s4, v0
	v_fma_f32 v37, -v34, v38, 1.0
	v_fmac_f32_e32 v38, v37, v38
	v_div_scale_f32 v37, vcc, 1.0, v52, 1.0
	v_mul_f32_e32 v40, v37, v38
	v_fma_f32 v41, -v34, v40, v37
	v_fmac_f32_e32 v40, v41, v38
	v_fma_f32 v34, -v34, v40, v37
	v_div_fmas_f32 v34, v34, v38, v40
	v_div_fixup_f32 v34, v34, v52, 1.0
	v_mul_f32_e32 v34, v36, v34
	v_mul_f32_e32 v36, v26, v27
	v_div_scale_f32 v37, s[0:1], v36, v36, 1.0
	v_rcp_f32_e32 v38, v37
	v_min_f32_e32 v34, 0x7cf0bdc2, v34
	s_waitcnt vmcnt(8)
	v_mul_f32_e32 v34, v48, v34
	v_lshl_add_u64 v[26:27], s[8:9], 0, v[28:29]
	global_store_dword v[26:27], v34, off
	v_fma_f32 v26, -v37, v38, 1.0
	v_fmac_f32_e32 v38, v26, v38
	v_div_scale_f32 v26, vcc, 1.0, v36, 1.0
	v_mul_f32_e32 v27, v26, v38
	v_fma_f32 v28, -v37, v27, v26
	v_fmac_f32_e32 v27, v28, v38
	v_fma_f32 v26, -v37, v27, v26
	v_div_fmas_f32 v34, v26, v38, v27
	v_lshlrev_b64 v[26:27], 2, v[0:1]
	v_lshl_add_u64 v[28:29], s[6:7], 0, v[26:27]
	global_load_dword v48, v[28:29], off
	v_div_fixup_f32 v28, v34, v36, 1.0
	v_mul_f32_e32 v18, v28, v18
	v_min_f32_e32 v18, 0x7cf0bdc2, v18
	v_div_scale_f32 v34, s[0:1], v4, v4, 1.0
	v_rcp_f32_e32 v36, v34
	v_lshl_add_u64 v[28:29], s[8:9], 0, v[30:31]
	v_add_u32_e32 v0, s2, v0
	s_waitcnt vmcnt(7)
	v_mul_f32_e32 v18, v18, v39
	global_store_dword v[28:29], v18, off
	v_lshlrev_b64 v[28:29], 2, v[0:1]
	v_lshl_add_u64 v[30:31], s[6:7], 0, v[28:29]
	global_load_dword v49, v[30:31], off
	v_fma_f32 v18, -v34, v36, 1.0
	v_fmac_f32_e32 v36, v18, v36
	v_div_scale_f32 v18, vcc, 1.0, v4, 1.0
	v_mul_f32_e32 v37, v18, v36
	v_fma_f32 v30, -v34, v37, v18
	v_fmac_f32_e32 v37, v30, v36
	v_fma_f32 v18, -v34, v37, v18
	v_div_fmas_f32 v18, v18, v36, v37
	v_mul_f32_e32 v3, v3, v16
	v_div_fixup_f32 v4, v18, v4, 1.0
	v_add_u32_e32 v0, s2, v0
	v_mul_f32_e32 v3, v3, v4
	v_mul_f32_e32 v4, v10, v20
	v_lshlrev_b64 v[30:31], 2, v[0:1]
	v_lshl_add_u64 v[36:37], s[6:7], 0, v[30:31]
	global_load_dword v18, v[36:37], off
	v_min_f32_e32 v3, 0x7cf0bdc2, v3
	s_waitcnt vmcnt(8)
	v_mul_f32_e32 v3, v42, v3
	v_lshl_add_u64 v[24:25], s[8:9], 0, v[24:25]
	s_waitcnt vmcnt(7)
	v_mul_f32_e32 v4, v4, v43
	v_mul_f32_e32 v4, v21, v4
	v_div_scale_f32 v34, s[0:1], v4, v4, 1.0
	v_rcp_f32_e32 v36, v34
	global_store_dword v[24:25], v3, off
	v_mul_f32_e32 v50, v5, v16
	v_add_u32_e32 v0, s2, v0
	v_fma_f32 v3, -v34, v36, 1.0
	v_fmac_f32_e32 v36, v3, v36
	v_div_scale_f32 v3, vcc, 1.0, v4, 1.0
	v_mul_f32_e32 v5, v3, v36
	v_fma_f32 v24, -v34, v5, v3
	v_fmac_f32_e32 v5, v24, v36
	v_fma_f32 v3, -v34, v5, v3
	v_div_fmas_f32 v3, v3, v36, v5
	v_lshlrev_b64 v[24:25], 2, v[0:1]
	v_div_fixup_f32 v3, v3, v4, 1.0
	v_lshl_add_u64 v[4:5], s[6:7], 0, v[24:25]
	global_load_dword v34, v[4:5], off
	v_add_u32_e32 v0, s2, v0
	v_lshlrev_b64 v[36:37], 2, v[0:1]
	v_add_u32_e32 v0, s2, v0
	v_lshlrev_b64 v[40:41], 2, v[0:1]
	v_add_u32_e32 v0, s2, v0
	v_mul_f32_e32 v3, v50, v3
	v_lshlrev_b64 v[4:5], 2, v[0:1]
	v_add_u32_e32 v0, s2, v0
	v_min_f32_e32 v51, 0x7cf0bdc2, v3
	v_mul_f32_e32 v52, v2, v32
	v_lshl_add_u64 v[38:39], s[6:7], 0, v[36:37]
	v_lshlrev_b64 v[2:3], 2, v[0:1]
	v_lshl_add_u64 v[42:43], s[6:7], 0, v[40:41]
	v_lshl_add_u64 v[44:45], s[6:7], 0, v[4:5]
	v_lshl_add_u64 v[46:47], s[6:7], 0, v[2:3]
	global_load_dword v55, v[38:39], off
	global_load_dword v56, v[42:43], off
	;; [unrolled: 1-line block ×4, first 2 shown]
	v_div_scale_f32 v53, s[0:1], v52, v52, 1.0
	v_rcp_f32_e32 v54, v53
	v_lshl_add_u64 v[26:27], s[8:9], 0, v[26:27]
	v_lshl_add_u64 v[24:25], s[8:9], 0, v[24:25]
	v_add_u32_e32 v0, s2, v0
	s_waitcnt vmcnt(12)
	v_mul_f32_e32 v10, v10, v15
	v_lshl_add_u64 v[4:5], s[8:9], 0, v[4:5]
	v_lshl_add_u64 v[2:3], s[8:9], 0, v[2:3]
	s_waitcnt vmcnt(9)
	v_mul_f32_e32 v38, v48, v51
	global_store_dword v[26:27], v38, off
	v_fma_f32 v26, -v53, v54, 1.0
	v_fmac_f32_e32 v54, v26, v54
	v_div_scale_f32 v26, vcc, 1.0, v52, 1.0
	v_mul_f32_e32 v27, v26, v54
	v_fma_f32 v38, -v53, v27, v26
	v_fmac_f32_e32 v27, v38, v54
	v_fma_f32 v26, -v53, v27, v26
	v_mul_f32_e32 v38, v23, v17
	v_div_fmas_f32 v26, v26, v54, v27
	v_div_scale_f32 v39, s[0:1], v38, v38, 1.0
	v_div_fixup_f32 v26, v26, v52, 1.0
	v_rcp_f32_e32 v42, v39
	v_mul_f32_e32 v26, v50, v26
	v_min_f32_e32 v26, 0x7cf0bdc2, v26
	s_waitcnt vmcnt(8)
	v_mul_f32_e32 v43, v49, v26
	v_lshl_add_u64 v[26:27], s[8:9], 0, v[28:29]
	global_store_dword v[26:27], v43, off
	v_fma_f32 v26, -v39, v42, 1.0
	v_fmac_f32_e32 v42, v26, v42
	v_div_scale_f32 v26, vcc, 1.0, v38, 1.0
	v_mul_f32_e32 v27, v26, v42
	v_fma_f32 v28, -v39, v27, v26
	v_fmac_f32_e32 v27, v28, v42
	v_fma_f32 v26, -v39, v27, v26
	v_mul_f32_e32 v28, v6, v17
	v_div_fmas_f32 v26, v26, v42, v27
	v_div_scale_f32 v29, s[0:1], v28, v28, 1.0
	v_div_fixup_f32 v26, v26, v38, 1.0
	v_rcp_f32_e32 v38, v29
	v_mul_f32_e32 v26, v50, v26
	v_min_f32_e32 v26, 0x7cf0bdc2, v26
	s_waitcnt vmcnt(8)
	v_mul_f32_e32 v18, v18, v26
	v_lshl_add_u64 v[26:27], s[8:9], 0, v[30:31]
	global_store_dword v[26:27], v18, off
	v_fma_f32 v26, -v29, v38, 1.0
	v_fmac_f32_e32 v38, v26, v38
	v_div_scale_f32 v26, vcc, 1.0, v28, 1.0
	v_mul_f32_e32 v27, v26, v38
	v_fma_f32 v30, -v29, v27, v26
	v_fmac_f32_e32 v27, v30, v38
	v_fma_f32 v26, -v29, v27, v26
	v_div_fmas_f32 v26, v26, v38, v27
	v_mul_f32_e32 v18, v23, v16
	v_div_fixup_f32 v26, v26, v28, 1.0
	v_mul_f32_e32 v18, v18, v26
	v_mul_f32_e32 v26, v35, v17
	v_div_scale_f32 v27, s[0:1], v26, v26, 1.0
	v_rcp_f32_e32 v28, v27
	v_min_f32_e32 v18, 0x7cf0bdc2, v18
	s_waitcnt vmcnt(7)
	v_mul_f32_e32 v18, v34, v18
	global_store_dword v[24:25], v18, off
	v_fma_f32 v24, -v27, v28, 1.0
	v_fmac_f32_e32 v28, v24, v28
	v_div_scale_f32 v24, vcc, 1.0, v26, 1.0
	v_mul_f32_e32 v25, v24, v28
	v_fma_f32 v29, -v27, v25, v24
	v_fmac_f32_e32 v25, v29, v28
	v_fma_f32 v24, -v27, v25, v24
	v_div_fmas_f32 v24, v24, v28, v25
	v_mul_f32_e32 v17, v7, v17
	v_div_fixup_f32 v24, v24, v26, 1.0
	v_div_scale_f32 v26, s[0:1], v17, v17, 1.0
	v_mul_f32_e32 v18, v33, v16
	v_rcp_f32_e32 v27, v26
	v_mul_f32_e32 v18, v18, v24
	v_min_f32_e32 v18, 0x7cf0bdc2, v18
	s_waitcnt vmcnt(7)
	v_mul_f32_e32 v18, v55, v18
	v_lshl_add_u64 v[24:25], s[8:9], 0, v[36:37]
	global_store_dword v[24:25], v18, off
	v_fma_f32 v18, -v26, v27, 1.0
	v_fmac_f32_e32 v27, v18, v27
	v_div_scale_f32 v18, vcc, 1.0, v17, 1.0
	v_mul_f32_e32 v24, v18, v27
	v_fma_f32 v25, -v26, v24, v18
	v_fmac_f32_e32 v24, v25, v27
	v_fma_f32 v18, -v26, v24, v18
	v_div_fmas_f32 v18, v18, v27, v24
	v_mul_f32_e32 v16, v20, v16
	v_div_fixup_f32 v17, v18, v17, 1.0
	v_mul_f32_e32 v16, v16, v17
	v_min_f32_e32 v16, 0x7cf0bdc2, v16
	v_mul_f32_e32 v20, v20, v32
	s_waitcnt vmcnt(7)
	v_mul_f32_e32 v18, v56, v16
	v_lshlrev_b64 v[16:17], 2, v[0:1]
	v_div_scale_f32 v26, s[0:1], v20, v20, 1.0
	v_lshl_add_u64 v[24:25], s[6:7], 0, v[16:17]
	v_rcp_f32_e32 v27, v26
	global_load_dword v30, v[24:25], off
	v_lshl_add_u64 v[24:25], s[8:9], 0, v[40:41]
	global_store_dword v[24:25], v18, off
	v_fma_f32 v18, -v26, v27, 1.0
	v_fmac_f32_e32 v27, v18, v27
	v_div_scale_f32 v18, vcc, 1.0, v20, 1.0
	v_mul_f32_e32 v24, v18, v27
	v_fma_f32 v25, -v26, v24, v18
	v_fmac_f32_e32 v24, v25, v27
	v_fma_f32 v18, -v26, v24, v18
	v_add_u32_e32 v0, s2, v0
	v_div_fmas_f32 v18, v18, v27, v24
	v_lshlrev_b64 v[24:25], 2, v[0:1]
	v_lshl_add_u64 v[26:27], s[6:7], 0, v[24:25]
	v_div_fixup_f32 v18, v18, v20, 1.0
	global_load_dword v20, v[26:27], off
	v_div_scale_f32 v26, s[0:1], v8, v8, 1.0
	v_rcp_f32_e32 v28, v26
	v_mul_f32_e32 v18, v10, v18
	v_min_f32_e32 v18, 0x7cf0bdc2, v18
	s_waitcnt vmcnt(9)
	v_mul_f32_e32 v18, v57, v18
	global_store_dword v[4:5], v18, off
	v_fma_f32 v4, -v26, v28, 1.0
	v_fmac_f32_e32 v28, v4, v28
	v_div_scale_f32 v4, vcc, 1.0, v8, 1.0
	v_mul_f32_e32 v18, v4, v28
	v_fma_f32 v5, -v26, v18, v4
	v_fmac_f32_e32 v18, v5, v28
	v_add_u32_e32 v0, s2, v0
	v_fma_f32 v29, -v26, v18, v4
	v_lshlrev_b64 v[4:5], 2, v[0:1]
	v_lshl_add_u64 v[26:27], s[6:7], 0, v[4:5]
	global_load_dword v31, v[26:27], off
	v_div_fmas_f32 v18, v29, v28, v18
	v_div_fixup_f32 v8, v18, v8, 1.0
	v_mul_f32_e32 v8, v10, v8
	v_mul_f32_e32 v10, v19, v32
	v_div_scale_f32 v18, s[0:1], v10, v10, 1.0
	v_rcp_f32_e32 v26, v18
	v_min_f32_e32 v8, 0x7cf0bdc2, v8
	s_waitcnt vmcnt(10)
	v_mul_f32_e32 v8, v58, v8
	global_store_dword v[2:3], v8, off
	v_fma_f32 v2, -v18, v26, 1.0
	v_fmac_f32_e32 v26, v2, v26
	v_div_scale_f32 v28, vcc, 1.0, v10, 1.0
	v_mul_f32_e32 v29, v28, v26
	v_fma_f32 v2, -v18, v29, v28
	v_add_u32_e32 v0, s2, v0
	v_fmac_f32_e32 v29, v2, v26
	v_lshlrev_b64 v[2:3], 2, v[0:1]
	v_mul_f32_e32 v27, v9, v15
	v_lshl_add_u64 v[8:9], s[6:7], 0, v[2:3]
	global_load_dword v34, v[8:9], off
	v_fma_f32 v8, -v18, v29, v28
	v_div_fmas_f32 v8, v8, v26, v29
	v_div_fixup_f32 v8, v8, v10, 1.0
	v_mul_f32_e32 v8, v27, v8
	v_add_u32_e32 v0, s2, v0
	v_min_f32_e32 v10, 0x7cf0bdc2, v8
	v_lshlrev_b64 v[8:9], 2, v[0:1]
	v_add_u32_e32 v0, s2, v0
	v_lshl_add_u64 v[26:27], s[6:7], 0, v[8:9]
	v_lshlrev_b64 v[0:1], 2, v[0:1]
	v_lshl_add_u64 v[28:29], s[6:7], 0, v[0:1]
	global_load_dword v18, v[26:27], off
	global_load_dword v35, v[28:29], off
	v_mul_f32_e32 v6, v6, v11
	v_div_scale_f32 v26, s[0:1], v6, v6, 1.0
	v_rcp_f32_e32 v27, v26
	v_lshl_add_u64 v[16:17], s[8:9], 0, v[16:17]
	v_lshl_add_u64 v[4:5], s[8:9], 0, v[4:5]
	;; [unrolled: 1-line block ×4, first 2 shown]
	s_waitcnt vmcnt(8)
	v_mul_f32_e32 v10, v30, v10
	global_store_dword v[16:17], v10, off
	v_fma_f32 v16, -v26, v27, 1.0
	v_fmac_f32_e32 v27, v16, v27
	v_div_scale_f32 v16, vcc, 1.0, v6, 1.0
	v_mul_f32_e32 v17, v16, v27
	v_fma_f32 v28, -v26, v17, v16
	v_fmac_f32_e32 v17, v28, v27
	v_fma_f32 v16, -v26, v17, v16
	v_div_fmas_f32 v16, v16, v27, v17
	v_mul_f32_e32 v10, v23, v15
	v_div_fixup_f32 v6, v16, v6, 1.0
	v_mul_f32_e32 v6, v10, v6
	v_min_f32_e32 v6, 0x7cf0bdc2, v6
	v_mul_f32_e32 v10, v33, v11
	s_waitcnt vmcnt(7)
	v_mul_f32_e32 v6, v20, v6
	v_div_scale_f32 v20, s[0:1], v10, v10, 1.0
	v_rcp_f32_e32 v26, v20
	v_lshl_add_u64 v[16:17], s[8:9], 0, v[24:25]
	global_store_dword v[16:17], v6, off
	v_mul_f32_e32 v6, v14, v15
	v_fma_f32 v14, -v20, v26, 1.0
	v_fmac_f32_e32 v26, v14, v26
	v_div_scale_f32 v14, vcc, 1.0, v10, 1.0
	v_mul_f32_e32 v16, v14, v26
	v_fma_f32 v17, -v20, v16, v14
	v_fmac_f32_e32 v16, v17, v26
	v_fma_f32 v14, -v20, v16, v14
	v_div_fmas_f32 v14, v14, v26, v16
	v_div_fixup_f32 v10, v14, v10, 1.0
	v_mul_f32_e32 v6, v6, v10
	v_mul_f32_e32 v10, v23, v19
	;; [unrolled: 1-line block ×4, first 2 shown]
	v_div_scale_f32 v14, s[0:1], v10, v10, 1.0
	v_rcp_f32_e32 v16, v14
	v_min_f32_e32 v6, 0x7cf0bdc2, v6
	s_waitcnt vmcnt(6)
	v_mul_f32_e32 v6, v31, v6
	global_store_dword v[4:5], v6, off
	v_fma_f32 v5, -v14, v16, 1.0
	v_fmac_f32_e32 v16, v5, v16
	v_div_scale_f32 v5, vcc, 1.0, v10, 1.0
	v_mul_f32_e32 v6, v5, v16
	v_fma_f32 v17, -v14, v6, v5
	v_fmac_f32_e32 v6, v17, v16
	v_fma_f32 v5, -v14, v6, v5
	v_div_fmas_f32 v5, v5, v16, v6
	v_mul_f32_e32 v4, v33, v15
	v_div_fixup_f32 v5, v5, v10, 1.0
	v_mul_f32_e32 v4, v4, v5
	v_mul_f32_e32 v5, v7, v11
	v_div_scale_f32 v6, s[0:1], v5, v5, 1.0
	v_rcp_f32_e32 v7, v6
	v_min_f32_e32 v4, 0x7cf0bdc2, v4
	s_waitcnt vmcnt(5)
	v_mul_f32_e32 v4, v34, v4
	global_store_dword v[2:3], v4, off
	v_fma_f32 v3, -v6, v7, 1.0
	v_fmac_f32_e32 v7, v3, v7
	v_div_scale_f32 v3, vcc, 1.0, v5, 1.0
	v_mul_f32_e32 v4, v3, v7
	v_fma_f32 v10, -v6, v4, v3
	v_fmac_f32_e32 v4, v10, v7
	v_fma_f32 v3, -v6, v4, v3
	v_div_fmas_f32 v3, v3, v7, v4
	v_div_fixup_f32 v3, v3, v5, 1.0
	v_mul_f32_e32 v5, v22, v12
	v_div_scale_f32 v6, s[0:1], v5, v5, 1.0
	v_mul_f32_e32 v2, v22, v15
	v_rcp_f32_e32 v7, v6
	v_mul_f32_e32 v2, v2, v3
	v_min_f32_e32 v2, 0x7cf0bdc2, v2
	s_waitcnt vmcnt(5)
	v_mul_f32_e32 v4, v18, v2
	v_lshl_add_u64 v[2:3], s[8:9], 0, v[8:9]
	global_store_dword v[2:3], v4, off
	v_fma_f32 v3, -v6, v7, 1.0
	v_fmac_f32_e32 v7, v3, v7
	v_div_scale_f32 v3, vcc, 1.0, v5, 1.0
	v_mul_f32_e32 v4, v3, v7
	v_fma_f32 v8, -v6, v4, v3
	v_fmac_f32_e32 v4, v8, v7
	v_fma_f32 v3, -v6, v4, v3
	v_div_fmas_f32 v3, v3, v7, v4
	v_mul_f32_e32 v2, v13, v32
	v_div_fixup_f32 v3, v3, v5, 1.0
	v_mul_f32_e32 v2, v2, v3
	v_min_f32_e32 v2, 0x7cf0bdc2, v2
	s_waitcnt vmcnt(5)
	v_mul_f32_e32 v2, v35, v2
	global_store_dword v[0:1], v2, off
	s_endpgm
	.section	.rodata,"a",@progbits
	.p2align	6, 0x0
	.amdhsa_kernel _Z12ratt9_kernelIfEvPKT_S2_PS0_S2_S0_
		.amdhsa_group_segment_fixed_size 0
		.amdhsa_private_segment_fixed_size 0
		.amdhsa_kernarg_size 296
		.amdhsa_user_sgpr_count 2
		.amdhsa_user_sgpr_dispatch_ptr 0
		.amdhsa_user_sgpr_queue_ptr 0
		.amdhsa_user_sgpr_kernarg_segment_ptr 1
		.amdhsa_user_sgpr_dispatch_id 0
		.amdhsa_user_sgpr_kernarg_preload_length 0
		.amdhsa_user_sgpr_kernarg_preload_offset 0
		.amdhsa_user_sgpr_private_segment_size 0
		.amdhsa_uses_dynamic_stack 0
		.amdhsa_enable_private_segment 0
		.amdhsa_system_sgpr_workgroup_id_x 1
		.amdhsa_system_sgpr_workgroup_id_y 0
		.amdhsa_system_sgpr_workgroup_id_z 0
		.amdhsa_system_sgpr_workgroup_info 0
		.amdhsa_system_vgpr_workitem_id 0
		.amdhsa_next_free_vgpr 59
		.amdhsa_next_free_sgpr 14
		.amdhsa_accum_offset 60
		.amdhsa_reserve_vcc 1
		.amdhsa_float_round_mode_32 0
		.amdhsa_float_round_mode_16_64 0
		.amdhsa_float_denorm_mode_32 3
		.amdhsa_float_denorm_mode_16_64 3
		.amdhsa_dx10_clamp 1
		.amdhsa_ieee_mode 1
		.amdhsa_fp16_overflow 0
		.amdhsa_tg_split 0
		.amdhsa_exception_fp_ieee_invalid_op 0
		.amdhsa_exception_fp_denorm_src 0
		.amdhsa_exception_fp_ieee_div_zero 0
		.amdhsa_exception_fp_ieee_overflow 0
		.amdhsa_exception_fp_ieee_underflow 0
		.amdhsa_exception_fp_ieee_inexact 0
		.amdhsa_exception_int_div_zero 0
	.end_amdhsa_kernel
	.section	.text._Z12ratt9_kernelIfEvPKT_S2_PS0_S2_S0_,"axG",@progbits,_Z12ratt9_kernelIfEvPKT_S2_PS0_S2_S0_,comdat
.Lfunc_end10:
	.size	_Z12ratt9_kernelIfEvPKT_S2_PS0_S2_S0_, .Lfunc_end10-_Z12ratt9_kernelIfEvPKT_S2_PS0_S2_S0_
                                        ; -- End function
	.set _Z12ratt9_kernelIfEvPKT_S2_PS0_S2_S0_.num_vgpr, 59
	.set _Z12ratt9_kernelIfEvPKT_S2_PS0_S2_S0_.num_agpr, 0
	.set _Z12ratt9_kernelIfEvPKT_S2_PS0_S2_S0_.numbered_sgpr, 14
	.set _Z12ratt9_kernelIfEvPKT_S2_PS0_S2_S0_.num_named_barrier, 0
	.set _Z12ratt9_kernelIfEvPKT_S2_PS0_S2_S0_.private_seg_size, 0
	.set _Z12ratt9_kernelIfEvPKT_S2_PS0_S2_S0_.uses_vcc, 1
	.set _Z12ratt9_kernelIfEvPKT_S2_PS0_S2_S0_.uses_flat_scratch, 0
	.set _Z12ratt9_kernelIfEvPKT_S2_PS0_S2_S0_.has_dyn_sized_stack, 0
	.set _Z12ratt9_kernelIfEvPKT_S2_PS0_S2_S0_.has_recursion, 0
	.set _Z12ratt9_kernelIfEvPKT_S2_PS0_S2_S0_.has_indirect_call, 0
	.section	.AMDGPU.csdata,"",@progbits
; Kernel info:
; codeLenInByte = 5652
; TotalNumSgprs: 20
; NumVgprs: 59
; NumAgprs: 0
; TotalNumVgprs: 59
; ScratchSize: 0
; MemoryBound: 0
; FloatMode: 240
; IeeeMode: 1
; LDSByteSize: 0 bytes/workgroup (compile time only)
; SGPRBlocks: 2
; VGPRBlocks: 7
; NumSGPRsForWavesPerEU: 20
; NumVGPRsForWavesPerEU: 59
; AccumOffset: 60
; Occupancy: 8
; WaveLimiterHint : 0
; COMPUTE_PGM_RSRC2:SCRATCH_EN: 0
; COMPUTE_PGM_RSRC2:USER_SGPR: 2
; COMPUTE_PGM_RSRC2:TRAP_HANDLER: 0
; COMPUTE_PGM_RSRC2:TGID_X_EN: 1
; COMPUTE_PGM_RSRC2:TGID_Y_EN: 0
; COMPUTE_PGM_RSRC2:TGID_Z_EN: 0
; COMPUTE_PGM_RSRC2:TIDIG_COMP_CNT: 0
; COMPUTE_PGM_RSRC3_GFX90A:ACCUM_OFFSET: 14
; COMPUTE_PGM_RSRC3_GFX90A:TG_SPLIT: 0
	.section	.text._Z13ratt10_kernelIfEvPKT_PS0_S0_,"axG",@progbits,_Z13ratt10_kernelIfEvPKT_PS0_S0_,comdat
	.protected	_Z13ratt10_kernelIfEvPKT_PS0_S0_ ; -- Begin function _Z13ratt10_kernelIfEvPKT_PS0_S0_
	.globl	_Z13ratt10_kernelIfEvPKT_PS0_S0_
	.p2align	8
	.type	_Z13ratt10_kernelIfEvPKT_PS0_S0_,@function
_Z13ratt10_kernelIfEvPKT_PS0_S0_:       ; @_Z13ratt10_kernelIfEvPKT_PS0_S0_
; %bb.0:
	s_load_dword s3, s[0:1], 0x24
	s_load_dwordx4 s[4:7], s[0:1], 0x0
	s_load_dword s8, s[0:1], 0x10
	s_load_dword s9, s[0:1], 0x18
	v_mov_b32_e32 v1, 0
	s_waitcnt lgkmcnt(0)
	s_and_b32 s0, s3, 0xffff
	s_mul_i32 s2, s2, s0
	v_add_u32_e32 v0, s2, v0
	v_lshlrev_b64 v[4:5], 2, v[0:1]
	v_lshl_add_u64 v[2:3], s[4:5], 0, v[4:5]
	global_load_dword v3, v[2:3], off
	s_mov_b32 s1, 0x800000
	v_lshl_add_u64 v[6:7], s[6:7], 0, v[4:5]
	s_mul_i32 s5, s9, s0
	s_mov_b32 s10, 0x3f317217
	s_mov_b32 s11, 0x7f800000
	v_mov_b32_e32 v12, 0x41b17218
	v_mov_b32_e32 v13, 0x42291e26
	;; [unrolled: 1-line block ×5, first 2 shown]
	s_mov_b32 s3, 0x3fb8aa3b
	s_mov_b32 s2, 0xc2ce8ed0
	;; [unrolled: 1-line block ×3, first 2 shown]
	v_mov_b32_e32 v2, 0x7f800000
	v_add_u32_e32 v0, s5, v0
	v_lshl_add_u64 v[8:9], v[0:1], 2, s[6:7]
	v_add_u32_e32 v0, s5, v0
	v_lshl_add_u64 v[10:11], v[0:1], 2, s[6:7]
	v_add_u32_e32 v0, s5, v0
	s_waitcnt vmcnt(0)
	v_mul_f32_e32 v4, s8, v3
	v_cmp_gt_f32_e32 vcc, s1, v4
	v_div_scale_f32 v5, s[0:1], v4, v4, 1.0
	s_nop 0
	v_cndmask_b32_e64 v3, 0, 32, vcc
	v_ldexp_f32 v3, v4, v3
	v_rcp_f32_e32 v17, v5
	v_log_f32_e32 v3, v3
	v_div_scale_f32 v18, s[0:1], 1.0, v4, 1.0
	v_fma_f32 v19, -v5, v17, 1.0
	v_mul_f32_e32 v20, 0x3f317217, v3
	v_fmac_f32_e32 v17, v19, v17
	v_fma_f32 v19, v3, s10, -v20
	v_mul_f32_e32 v20, v18, v17
	v_fmamk_f32 v19, v3, 0x3377d1cf, v19
	v_fma_f32 v21, -v5, v20, v18
	v_cndmask_b32_e32 v12, 0, v12, vcc
	v_fmac_f32_e32 v19, 0x3f317217, v3
	v_fmac_f32_e32 v20, v21, v17
	v_cmp_lt_f32_e64 vcc, |v3|, s11
	v_fma_f32 v5, -v5, v20, v18
	s_nop 0
	v_cndmask_b32_e32 v3, v3, v19, vcc
	s_mov_b64 vcc, s[0:1]
	v_sub_f32_e32 v3, v3, v12
	v_div_fmas_f32 v5, v5, v17, v20
	v_fmac_f32_e32 v13, 0xbf666666, v3
	v_div_fixup_f32 v4, v5, v4, 1.0
	v_fmac_f32_e32 v14, 0xc05ae148, v3
	v_fmac_f32_e32 v15, 0xc06f5c29, v3
	v_fmamk_f32 v5, v4, 0x4455ddf9, v13
	v_fmac_f32_e32 v16, 0xc0247ae1, v3
	v_fmamk_f32 v12, v4, 0xc725ce53, v14
	v_fmamk_f32 v13, v4, 0xc4738e8f, v15
	v_mul_f32_e32 v15, 0x3fb8aa3b, v5
	v_fmamk_f32 v14, v4, 0xc433455c, v16
	v_mul_f32_e32 v16, 0x3fb8aa3b, v12
	v_fma_f32 v19, v5, s3, -v15
	v_rndne_f32_e32 v20, v15
	v_mul_f32_e32 v17, 0x3fb8aa3b, v13
	v_fma_f32 v21, v12, s3, -v16
	v_rndne_f32_e32 v22, v16
	v_fmac_f32_e32 v19, 0x32a5705f, v5
	v_sub_f32_e32 v15, v15, v20
	v_fma_f32 v23, v13, s3, -v17
	v_rndne_f32_e32 v24, v17
	v_fmac_f32_e32 v21, 0x32a5705f, v12
	v_sub_f32_e32 v16, v16, v22
	v_add_f32_e32 v15, v15, v19
	v_cvt_i32_f32_e32 v20, v20
	v_fmac_f32_e32 v23, 0x32a5705f, v13
	v_sub_f32_e32 v17, v17, v24
	v_add_f32_e32 v16, v16, v21
	v_exp_f32_e32 v15, v15
	v_cvt_i32_f32_e32 v22, v22
	v_add_f32_e32 v17, v17, v23
	v_exp_f32_e32 v16, v16
	v_cvt_i32_f32_e32 v24, v24
	v_exp_f32_e32 v17, v17
	v_ldexp_f32 v15, v15, v20
	v_cmp_ngt_f32_e32 vcc, s2, v5
	v_ldexp_f32 v16, v16, v22
	v_ldexp_f32 v17, v17, v24
	v_cndmask_b32_e32 v15, 0, v15, vcc
	v_cmp_ngt_f32_e32 vcc, s2, v12
	v_mul_f32_e32 v18, 0x3fb8aa3b, v14
	v_fma_f32 v25, v14, s3, -v18
	v_cndmask_b32_e32 v16, 0, v16, vcc
	v_cmp_ngt_f32_e32 vcc, s2, v13
	v_rndne_f32_e32 v26, v18
	v_fmac_f32_e32 v25, 0x32a5705f, v14
	v_cndmask_b32_e32 v17, 0, v17, vcc
	v_cmp_nlt_f32_e32 vcc, s4, v5
	v_sub_f32_e32 v18, v18, v26
	v_add_f32_e32 v18, v18, v25
	v_cndmask_b32_e32 v5, v2, v15, vcc
	v_cmp_nlt_f32_e32 vcc, s4, v12
	v_cvt_i32_f32_e32 v26, v26
	v_exp_f32_e32 v18, v18
	v_cndmask_b32_e32 v12, v2, v16, vcc
	v_cmp_nlt_f32_e32 vcc, s4, v13
	v_ldexp_f32 v18, v18, v26
	s_nop 0
	v_cndmask_b32_e32 v13, v2, v17, vcc
	global_store_dword v[6:7], v5, off
	global_store_dword v[8:9], v12, off
	;; [unrolled: 1-line block ×3, first 2 shown]
	v_mov_b32_e32 v6, 0x427d54f0
	v_fmac_f32_e32 v6, 0xc048f5c3, v3
	v_fmamk_f32 v8, v4, 0xc41abd37, v6
	v_mul_f32_e32 v6, 0x3fb8aa3b, v8
	v_fma_f32 v7, v8, s3, -v6
	v_rndne_f32_e32 v9, v6
	v_fmac_f32_e32 v7, 0x32a5705f, v8
	v_sub_f32_e32 v6, v6, v9
	v_add_f32_e32 v6, v6, v7
	v_cmp_ngt_f32_e32 vcc, s2, v14
	v_exp_f32_e32 v10, v6
	v_cvt_i32_f32_e32 v9, v9
	v_cndmask_b32_e32 v5, 0, v18, vcc
	v_cmp_nlt_f32_e32 vcc, s4, v14
	v_lshl_add_u64 v[6:7], v[0:1], 2, s[6:7]
	v_add_u32_e32 v0, s5, v0
	v_cndmask_b32_e32 v5, v2, v5, vcc
	global_store_dword v[6:7], v5, off
	v_mov_b32_e32 v6, 0x4299f31f
	v_ldexp_f32 v5, v10, v9
	v_cmp_ngt_f32_e32 vcc, s2, v8
	v_fmac_f32_e32 v6, 0xc0a3851f, v3
	s_nop 0
	v_cndmask_b32_e32 v5, 0, v5, vcc
	v_cmp_nlt_f32_e32 vcc, s4, v8
	v_fmamk_f32 v8, v4, 0xc55f2528, v6
	v_mul_f32_e32 v6, 0x3fb8aa3b, v8
	v_fma_f32 v7, v8, s3, -v6
	v_rndne_f32_e32 v9, v6
	v_fmac_f32_e32 v7, 0x32a5705f, v8
	v_sub_f32_e32 v6, v6, v9
	v_add_f32_e32 v6, v6, v7
	v_exp_f32_e32 v10, v6
	v_cvt_i32_f32_e32 v9, v9
	v_cndmask_b32_e32 v5, v2, v5, vcc
	v_lshl_add_u64 v[6:7], v[0:1], 2, s[6:7]
	global_store_dword v[6:7], v5, off
	v_mov_b32_e32 v6, 0x428bbb66
	v_ldexp_f32 v5, v10, v9
	v_cmp_ngt_f32_e32 vcc, s2, v8
	v_fmac_f32_e32 v6, 0xc099999a, v3
	v_add_u32_e32 v0, s5, v0
	v_cndmask_b32_e32 v5, 0, v5, vcc
	v_cmp_nlt_f32_e32 vcc, s4, v8
	v_fmamk_f32 v8, v4, 0xc52ede28, v6
	v_mul_f32_e32 v6, 0x3fb8aa3b, v8
	v_fma_f32 v7, v8, s3, -v6
	v_rndne_f32_e32 v9, v6
	v_fmac_f32_e32 v7, 0x32a5705f, v8
	v_sub_f32_e32 v6, v6, v9
	v_add_f32_e32 v6, v6, v7
	v_exp_f32_e32 v10, v6
	v_cvt_i32_f32_e32 v9, v9
	v_cndmask_b32_e32 v5, v2, v5, vcc
	v_lshl_add_u64 v[6:7], v[0:1], 2, s[6:7]
	global_store_dword v[6:7], v5, off
	v_mov_b32_e32 v6, 0x4299c8e3
	v_ldexp_f32 v5, v10, v9
	v_cmp_ngt_f32_e32 vcc, s2, v8
	v_fmac_f32_e32 v6, 0xc09851ec, v3
	v_add_u32_e32 v0, s5, v0
	;; [unrolled: 19-line block ×14, first 2 shown]
	v_cndmask_b32_e32 v5, 0, v5, vcc
	v_cmp_nlt_f32_e32 vcc, s4, v8
	v_fmamk_f32 v8, v4, 0xc53bb18b, v6
	v_mul_f32_e32 v6, 0x3fb8aa3b, v8
	v_fma_f32 v7, v8, s3, -v6
	v_rndne_f32_e32 v9, v6
	v_fmac_f32_e32 v7, 0x32a5705f, v8
	v_sub_f32_e32 v6, v6, v9
	v_add_f32_e32 v6, v6, v7
	v_exp_f32_e32 v10, v6
	v_cvt_i32_f32_e32 v9, v9
	v_cndmask_b32_e32 v5, v2, v5, vcc
	v_lshl_add_u64 v[6:7], v[0:1], 2, s[6:7]
	global_store_dword v[6:7], v5, off
	v_ldexp_f32 v5, v10, v9
	v_cmp_ngt_f32_e32 vcc, s2, v8
	v_add_u32_e32 v0, s5, v0
	s_nop 0
	v_cndmask_b32_e32 v5, 0, v5, vcc
	v_cmp_nlt_f32_e32 vcc, s4, v8
	s_nop 1
	v_cndmask_b32_e32 v6, v2, v5, vcc
	v_mov_b32_e32 v5, 0x42b2aa32
	v_fmac_f32_e32 v5, 0xc0d51eb8, v3
	v_fmamk_f32 v3, v4, 0xc55c2844, v5
	v_mul_f32_e32 v4, 0x3fb8aa3b, v3
	v_fma_f32 v5, v3, s3, -v4
	v_rndne_f32_e32 v7, v4
	v_fmac_f32_e32 v5, 0x32a5705f, v3
	v_sub_f32_e32 v4, v4, v7
	v_add_f32_e32 v4, v4, v5
	v_exp_f32_e32 v8, v4
	v_cvt_i32_f32_e32 v7, v7
	v_lshl_add_u64 v[4:5], v[0:1], 2, s[6:7]
	global_store_dword v[4:5], v6, off
	v_cmp_ngt_f32_e32 vcc, s2, v3
	v_ldexp_f32 v4, v8, v7
	v_add_u32_e32 v0, s5, v0
	v_cndmask_b32_e32 v4, 0, v4, vcc
	v_cmp_nlt_f32_e32 vcc, s4, v3
	v_lshl_add_u64 v[0:1], v[0:1], 2, s[6:7]
	s_nop 0
	v_cndmask_b32_e32 v2, v2, v4, vcc
	global_store_dword v[0:1], v2, off
	s_endpgm
	.section	.rodata,"a",@progbits
	.p2align	6, 0x0
	.amdhsa_kernel _Z13ratt10_kernelIfEvPKT_PS0_S0_
		.amdhsa_group_segment_fixed_size 0
		.amdhsa_private_segment_fixed_size 0
		.amdhsa_kernarg_size 280
		.amdhsa_user_sgpr_count 2
		.amdhsa_user_sgpr_dispatch_ptr 0
		.amdhsa_user_sgpr_queue_ptr 0
		.amdhsa_user_sgpr_kernarg_segment_ptr 1
		.amdhsa_user_sgpr_dispatch_id 0
		.amdhsa_user_sgpr_kernarg_preload_length 0
		.amdhsa_user_sgpr_kernarg_preload_offset 0
		.amdhsa_user_sgpr_private_segment_size 0
		.amdhsa_uses_dynamic_stack 0
		.amdhsa_enable_private_segment 0
		.amdhsa_system_sgpr_workgroup_id_x 1
		.amdhsa_system_sgpr_workgroup_id_y 0
		.amdhsa_system_sgpr_workgroup_id_z 0
		.amdhsa_system_sgpr_workgroup_info 0
		.amdhsa_system_vgpr_workitem_id 0
		.amdhsa_next_free_vgpr 27
		.amdhsa_next_free_sgpr 12
		.amdhsa_accum_offset 28
		.amdhsa_reserve_vcc 1
		.amdhsa_float_round_mode_32 0
		.amdhsa_float_round_mode_16_64 0
		.amdhsa_float_denorm_mode_32 3
		.amdhsa_float_denorm_mode_16_64 3
		.amdhsa_dx10_clamp 1
		.amdhsa_ieee_mode 1
		.amdhsa_fp16_overflow 0
		.amdhsa_tg_split 0
		.amdhsa_exception_fp_ieee_invalid_op 0
		.amdhsa_exception_fp_denorm_src 0
		.amdhsa_exception_fp_ieee_div_zero 0
		.amdhsa_exception_fp_ieee_overflow 0
		.amdhsa_exception_fp_ieee_underflow 0
		.amdhsa_exception_fp_ieee_inexact 0
		.amdhsa_exception_int_div_zero 0
	.end_amdhsa_kernel
	.section	.text._Z13ratt10_kernelIfEvPKT_PS0_S0_,"axG",@progbits,_Z13ratt10_kernelIfEvPKT_PS0_S0_,comdat
.Lfunc_end11:
	.size	_Z13ratt10_kernelIfEvPKT_PS0_S0_, .Lfunc_end11-_Z13ratt10_kernelIfEvPKT_PS0_S0_
                                        ; -- End function
	.set _Z13ratt10_kernelIfEvPKT_PS0_S0_.num_vgpr, 27
	.set _Z13ratt10_kernelIfEvPKT_PS0_S0_.num_agpr, 0
	.set _Z13ratt10_kernelIfEvPKT_PS0_S0_.numbered_sgpr, 12
	.set _Z13ratt10_kernelIfEvPKT_PS0_S0_.num_named_barrier, 0
	.set _Z13ratt10_kernelIfEvPKT_PS0_S0_.private_seg_size, 0
	.set _Z13ratt10_kernelIfEvPKT_PS0_S0_.uses_vcc, 1
	.set _Z13ratt10_kernelIfEvPKT_PS0_S0_.uses_flat_scratch, 0
	.set _Z13ratt10_kernelIfEvPKT_PS0_S0_.has_dyn_sized_stack, 0
	.set _Z13ratt10_kernelIfEvPKT_PS0_S0_.has_recursion, 0
	.set _Z13ratt10_kernelIfEvPKT_PS0_S0_.has_indirect_call, 0
	.section	.AMDGPU.csdata,"",@progbits
; Kernel info:
; codeLenInByte = 2688
; TotalNumSgprs: 18
; NumVgprs: 27
; NumAgprs: 0
; TotalNumVgprs: 27
; ScratchSize: 0
; MemoryBound: 0
; FloatMode: 240
; IeeeMode: 1
; LDSByteSize: 0 bytes/workgroup (compile time only)
; SGPRBlocks: 2
; VGPRBlocks: 3
; NumSGPRsForWavesPerEU: 18
; NumVGPRsForWavesPerEU: 27
; AccumOffset: 28
; Occupancy: 8
; WaveLimiterHint : 0
; COMPUTE_PGM_RSRC2:SCRATCH_EN: 0
; COMPUTE_PGM_RSRC2:USER_SGPR: 2
; COMPUTE_PGM_RSRC2:TRAP_HANDLER: 0
; COMPUTE_PGM_RSRC2:TGID_X_EN: 1
; COMPUTE_PGM_RSRC2:TGID_Y_EN: 0
; COMPUTE_PGM_RSRC2:TGID_Z_EN: 0
; COMPUTE_PGM_RSRC2:TIDIG_COMP_CNT: 0
; COMPUTE_PGM_RSRC3_GFX90A:ACCUM_OFFSET: 6
; COMPUTE_PGM_RSRC3_GFX90A:TG_SPLIT: 0
	.section	.text._Z11ratx_kernelIfEvPKT_S2_PS0_S3_S2_S0_,"axG",@progbits,_Z11ratx_kernelIfEvPKT_S2_PS0_S3_S2_S0_,comdat
	.protected	_Z11ratx_kernelIfEvPKT_S2_PS0_S3_S2_S0_ ; -- Begin function _Z11ratx_kernelIfEvPKT_S2_PS0_S3_S2_S0_
	.globl	_Z11ratx_kernelIfEvPKT_S2_PS0_S3_S2_S0_
	.p2align	8
	.type	_Z11ratx_kernelIfEvPKT_S2_PS0_S3_S2_S0_,@function
_Z11ratx_kernelIfEvPKT_S2_PS0_S3_S2_S0_: ; @_Z11ratx_kernelIfEvPKT_S2_PS0_S3_S2_S0_
; %bb.0:
	s_load_dword s3, s[0:1], 0x3c
	s_load_dword s12, s[0:1], 0x30
	s_load_dwordx8 s[4:11], s[0:1], 0x0
	v_mov_b32_e32 v1, 0
	s_mov_b32 s14, 0x800000
	s_waitcnt lgkmcnt(0)
	s_and_b32 s3, s3, 0xffff
	s_mul_i32 s2, s2, s3
	v_add_u32_e32 v0, s2, v0
	s_mul_i32 s12, s12, s3
	v_lshlrev_b64 v[22:23], 2, v[0:1]
	v_add_u32_e32 v0, s12, v0
	v_lshlrev_b64 v[20:21], 2, v[0:1]
	v_add_u32_e32 v0, s12, v0
	v_lshl_add_u64 v[6:7], v[0:1], 2, s[6:7]
	v_add_u32_e32 v0, s12, v0
	v_lshlrev_b64 v[18:19], 2, v[0:1]
	v_add_u32_e32 v0, s12, v0
	v_lshl_add_u64 v[16:17], v[0:1], 2, s[6:7]
	v_add_u32_e32 v0, s12, v0
	v_lshlrev_b64 v[12:13], 2, v[0:1]
	v_add_u32_e32 v0, s12, v0
	v_lshlrev_b64 v[10:11], 2, v[0:1]
	v_add_u32_e32 v0, s12, v0
	v_lshl_add_u64 v[2:3], s[6:7], 0, v[22:23]
	v_lshlrev_b64 v[8:9], 2, v[0:1]
	v_add_u32_e32 v0, s12, v0
	v_lshl_add_u64 v[4:5], s[6:7], 0, v[20:21]
	v_lshl_add_u64 v[14:15], s[6:7], 0, v[18:19]
	;; [unrolled: 1-line block ×5, first 2 shown]
	global_load_dword v40, v[2:3], off
	global_load_dword v41, v[4:5], off
	;; [unrolled: 1-line block ×8, first 2 shown]
	v_lshl_add_u64 v[16:17], v[0:1], 2, s[6:7]
	v_add_u32_e32 v0, s12, v0
	v_lshlrev_b64 v[6:7], 2, v[0:1]
	v_add_u32_e32 v0, s12, v0
	v_lshlrev_b64 v[4:5], 2, v[0:1]
	;; [unrolled: 2-line block ×3, first 2 shown]
	v_add_u32_e32 v0, s12, v0
	v_lshl_add_u64 v[30:31], v[0:1], 2, s[6:7]
	v_add_u32_e32 v0, s12, v0
	v_lshl_add_u64 v[34:35], v[0:1], 2, s[6:7]
	;; [unrolled: 2-line block ×3, first 2 shown]
	v_add_u32_e32 v0, s12, v0
	v_lshlrev_b64 v[14:15], 2, v[0:1]
	v_lshl_add_u64 v[24:25], s[6:7], 0, v[6:7]
	v_lshl_add_u64 v[26:27], s[6:7], 0, v[4:5]
	;; [unrolled: 1-line block ×4, first 2 shown]
	global_load_dword v48, v[16:17], off
	global_load_dword v49, v[24:25], off
	;; [unrolled: 1-line block ×8, first 2 shown]
	v_add_u32_e32 v0, s12, v0
	v_lshl_add_u64 v[16:17], v[0:1], 2, s[6:7]
	v_add_u32_e32 v0, s12, v0
	v_lshl_add_u64 v[24:25], v[0:1], 2, s[6:7]
	v_add_u32_e32 v0, s12, v0
	v_lshl_add_u64 v[26:27], v[0:1], 2, s[6:7]
	v_add_u32_e32 v0, s12, v0
	v_lshl_add_u64 v[28:29], v[0:1], 2, s[6:7]
	v_add_u32_e32 v0, s12, v0
	v_lshl_add_u64 v[30:31], v[0:1], 2, s[6:7]
	v_add_u32_e32 v0, s12, v0
	v_lshl_add_u64 v[34:35], v[0:1], 2, s[6:7]
	global_load_dword v36, v[16:17], off
	global_load_dword v37, v[24:25], off
	;; [unrolled: 1-line block ×6, first 2 shown]
	v_lshl_add_u64 v[16:17], s[8:9], 0, v[14:15]
	global_load_dword v26, v[16:17], off
	s_load_dwordx2 s[6:7], s[0:1], 0x20
	s_load_dword s2, s[0:1], 0x28
	s_mov_b32 s20, 0x3fb8aa3b
	s_mov_b32 s13, 0x3e9a209a
	;; [unrolled: 1-line block ×3, first 2 shown]
	s_waitcnt lgkmcnt(0)
	v_lshl_add_u64 v[24:25], s[6:7], 0, v[22:23]
	global_load_dword v24, v[24:25], off
	v_lshl_add_u64 v[22:23], s[4:5], 0, v[22:23]
	global_load_dword v22, v[22:23], off
	s_mov_b32 s21, 0xc2ce8ed0
	s_mov_b32 s16, 0x42b17218
	;; [unrolled: 1-line block ×5, first 2 shown]
	v_lshl_add_u64 v[20:21], s[6:7], 0, v[20:21]
	global_load_dword v20, v[20:21], off
	v_lshl_add_u64 v[18:19], s[6:7], 0, v[18:19]
	global_load_dword v18, v[18:19], off
	v_lshl_add_u64 v[12:13], s[6:7], 0, v[12:13]
	global_load_dword v12, v[12:13], off
	v_lshl_add_u64 v[10:11], s[6:7], 0, v[10:11]
	global_load_dword v10, v[10:11], off
	v_lshl_add_u64 v[8:9], s[6:7], 0, v[8:9]
	global_load_dword v8, v[8:9], off
	v_lshl_add_u64 v[6:7], s[6:7], 0, v[6:7]
	v_lshl_add_u64 v[4:5], s[6:7], 0, v[4:5]
	;; [unrolled: 1-line block ×3, first 2 shown]
	s_waitcnt vmcnt(29)
	v_add_f32_e32 v23, 0, v40
	s_waitcnt vmcnt(28)
	v_add_f32_e32 v23, v23, v41
	;; [unrolled: 2-line block ×22, first 2 shown]
	v_add_f32_e32 v23, v23, v40
	v_fmamk_f32 v23, v45, 0x40a00000, v23
	v_add_f32_e32 v23, v49, v23
	v_fmac_f32_e32 v23, 0.5, v50
	v_add_f32_e32 v39, v51, v23
	s_waitcnt vmcnt(7)
	v_div_scale_f32 v23, s[0:1], v26, v26, 1.0
	v_rcp_f32_e32 v25, v23
	v_fmac_f32_e32 v39, 2.0, v53
	v_fma_f32 v37, 2.0, v32, v39
	v_fmac_f32_e32 v37, 2.0, v33
	v_fma_f32 v27, -v23, v25, 1.0
	v_fmac_f32_e32 v25, v27, v25
	v_div_scale_f32 v27, vcc, 1.0, v26, 1.0
	v_mul_f32_e32 v28, v27, v25
	v_fma_f32 v29, -v23, v28, v27
	v_fmac_f32_e32 v28, v29, v25
	v_fma_f32 v23, -v23, v28, v27
	v_div_fmas_f32 v23, v23, v25, v28
	v_div_fixup_f32 v23, v23, v26, 1.0
	v_mul_f32_e32 v23, v37, v23
	s_waitcnt vmcnt(6)
	v_fma_f32 v25, v24, v23, 1.0
	v_div_scale_f32 v27, s[0:1], v25, v25, 1.0
	v_rcp_f32_e32 v28, v27
	s_waitcnt vmcnt(5)
	v_mul_f32_e32 v35, s2, v22
	v_mul_f32_e32 v22, v24, v23
	v_fmac_f32_e32 v39, 0x3fc00000, v32
	v_fma_f32 v23, -v27, v28, 1.0
	v_fmac_f32_e32 v28, v23, v28
	v_div_scale_f32 v23, vcc, 1.0, v25, 1.0
	v_mul_f32_e32 v24, v23, v28
	v_fma_f32 v29, -v27, v24, v23
	v_fmac_f32_e32 v24, v29, v28
	v_fma_f32 v23, -v27, v24, v23
	v_max_f32_e32 v27, 0x800000, v22
	v_cmp_gt_f32_e64 s[0:1], s14, v27
	v_div_fmas_f32 v23, v23, v28, v24
	v_mul_f32_e32 v28, 0xbc2e4c41, v35
	v_cndmask_b32_e64 v29, 0, 32, s[0:1]
	v_ldexp_f32 v27, v27, v29
	v_log_f32_e32 v27, v27
	v_mul_f32_e32 v29, 0x3fb8aa3b, v28
	v_fma_f32 v30, v28, s20, -v29
	v_rndne_f32_e32 v31, v29
	v_fmac_f32_e32 v30, 0x32a5705f, v28
	v_sub_f32_e32 v29, v29, v31
	v_add_f32_e32 v29, v29, v30
	v_mul_f32_e32 v24, 0x3e9a209a, v27
	v_exp_f32_e32 v29, v29
	v_cvt_i32_f32_e32 v30, v31
	v_fma_f32 v24, v27, s13, -v24
	v_fmac_f32_e32 v24, 0x3284fbcf, v27
	v_fmac_f32_e32 v24, 0x3e9a209a, v27
	v_cmp_lt_f32_e64 vcc, |v27|, s15
	v_div_fixup_f32 v23, v23, v25, 1.0
	v_mul_f32_e32 v22, v22, v23
	v_cndmask_b32_e32 v24, v27, v24, vcc
	v_ldexp_f32 v27, v29, v30
	v_cmp_ngt_f32_e32 vcc, s21, v28
	v_mov_b32_e32 v30, 0x7f800000
	v_fmac_f32_e32 v39, 0x3fc00000, v33
	v_cndmask_b32_e32 v27, 0, v27, vcc
	v_cmp_nlt_f32_e32 vcc, s16, v28
	s_nop 1
	v_cndmask_b32_e32 v40, v30, v27, vcc
	v_mul_f32_e32 v27, 0xba1548e5, v35
	v_mul_f32_e32 v28, 0x3fb8aa3b, v27
	v_fma_f32 v29, v27, s20, -v28
	v_rndne_f32_e32 v31, v28
	v_fmac_f32_e32 v29, 0x32a5705f, v27
	v_sub_f32_e32 v28, v28, v31
	v_add_f32_e32 v28, v28, v29
	v_cvt_i32_f32_e32 v29, v31
	v_div_scale_f32 v31, s[2:3], v35, v35, 1.0
	v_exp_f32_e32 v28, v28
	v_rcp_f32_e32 v34, v31
	v_cmp_ngt_f32_e32 vcc, s21, v27
	v_ldexp_f32 v28, v28, v29
	v_fma_f32 v29, -v31, v34, 1.0
	v_cndmask_b32_e32 v28, 0, v28, vcc
	v_fmac_f32_e32 v34, v29, v34
	v_div_scale_f32 v29, vcc, 1.0, v35, 1.0
	v_mul_f32_e32 v36, v29, v34
	v_fma_f32 v38, -v31, v36, v29
	v_fmac_f32_e32 v36, v38, v34
	v_fma_f32 v29, -v31, v36, v29
	v_div_fmas_f32 v29, v29, v34, v36
	v_div_fixup_f32 v38, v29, v35, 1.0
	v_mul_f32_e32 v29, 0xc5a1f000, v38
	v_mul_f32_e32 v31, 0x3fb8aa3b, v29
	v_fma_f32 v34, v29, s20, -v31
	v_rndne_f32_e32 v36, v31
	v_fmac_f32_e32 v34, 0x32a5705f, v29
	v_sub_f32_e32 v31, v31, v36
	v_add_f32_e32 v31, v31, v34
	v_exp_f32_e32 v31, v31
	v_cvt_i32_f32_e32 v34, v36
	v_cmp_nlt_f32_e32 vcc, s16, v27
	v_mov_b32_e32 v36, 0x3ecccccd
	s_nop 0
	v_cndmask_b32_e32 v27, v30, v28, vcc
	v_ldexp_f32 v28, v31, v34
	v_cmp_ngt_f32_e32 vcc, s21, v29
	v_mul_f32_e32 v27, 0x3f3c0ebf, v27
	v_fmamk_f32 v27, v40, 0x3e87e282, v27
	v_cndmask_b32_e32 v28, 0, v28, vcc
	v_cmp_nlt_f32_e32 vcc, s16, v29
	v_mov_b32_e32 v34, 0x411a209b
	v_mov_b32_e32 v31, 0x3f400000
	v_cndmask_b32_e32 v28, v30, v28, vcc
	v_add_f32_e32 v27, v28, v27
	v_max_f32_e32 v27, 0x800000, v27
	v_cmp_gt_f32_e32 vcc, s14, v27
	s_nop 1
	v_cndmask_b32_e64 v28, 0, 32, vcc
	v_ldexp_f32 v27, v27, v28
	v_log_f32_e32 v27, v27
	v_cndmask_b32_e64 v28, 0, v34, s[0:1]
	v_sub_f32_e32 v24, v24, v28
	v_mul_f32_e32 v28, 0x3e9a209a, v27
	v_fma_f32 v28, v27, s13, -v28
	v_fmac_f32_e32 v28, 0x3284fbcf, v27
	v_fmac_f32_e32 v28, 0x3e9a209a, v27
	v_cmp_lt_f32_e64 s[0:1], |v27|, s15
	s_nop 1
	v_cndmask_b32_e64 v27, v27, v28, s[0:1]
	v_cndmask_b32_e32 v28, 0, v34, vcc
	v_sub_f32_e32 v27, v27, v28
	v_fmamk_f32 v29, v27, 0x3f2b851f, v36
	v_fmamk_f32 v28, v27, 0xbfa28f5c, v31
	v_sub_f32_e32 v24, v24, v29
	v_fmac_f32_e32 v28, 0xbe0f5c29, v24
	v_div_scale_f32 v29, s[0:1], v28, v28, 1.0
	v_rcp_f32_e32 v41, v29
	s_nop 0
	v_fma_f32 v42, -v29, v41, 1.0
	v_fmac_f32_e32 v41, v42, v41
	v_div_scale_f32 v42, vcc, 1.0, v28, 1.0
	v_mul_f32_e32 v43, v42, v41
	v_fma_f32 v44, -v29, v43, v42
	v_fmac_f32_e32 v43, v44, v41
	v_fma_f32 v29, -v29, v43, v42
	v_div_fmas_f32 v29, v29, v41, v43
	v_div_fixup_f32 v28, v29, v28, 1.0
	v_mul_f32_e32 v24, v24, v28
	v_fma_f32 v24, v24, v24, 1.0
	v_div_scale_f32 v28, s[0:1], v24, v24, 1.0
	v_rcp_f32_e32 v29, v28
	s_nop 0
	v_fma_f32 v41, -v28, v29, 1.0
	v_fmac_f32_e32 v29, v41, v29
	v_div_scale_f32 v41, vcc, 1.0, v24, 1.0
	v_mul_f32_e32 v42, v41, v29
	v_fma_f32 v43, -v28, v42, v41
	v_fmac_f32_e32 v42, v43, v29
	v_fma_f32 v28, -v28, v42, v41
	v_div_fmas_f32 v28, v28, v29, v42
	v_div_fixup_f32 v24, v28, v24, 1.0
	v_mul_f32_e32 v24, v27, v24
	v_mul_f32_e32 v27, 0x40549a78, v24
	v_fma_f32 v28, v24, s17, -v27
	v_rndne_f32_e32 v29, v27
	v_fmac_f32_e32 v28, 0x33979a37, v24
	v_sub_f32_e32 v27, v27, v29
	v_add_f32_e32 v27, v27, v28
	v_exp_f32_e32 v27, v27
	v_cvt_i32_f32_e32 v28, v29
	v_cmp_ngt_f32_e32 vcc, s18, v24
	v_mul_f32_e32 v43, 0xbba655c4, v35
	v_mul_f32_e32 v44, 0x3fb8aa3b, v43
	v_ldexp_f32 v23, v27, v28
	v_cndmask_b32_e32 v23, 0, v23, vcc
	v_cmp_nlt_f32_e32 vcc, s19, v24
	v_fma_f32 v45, v43, s20, -v44
	v_rndne_f32_e32 v46, v44
	v_cndmask_b32_e32 v23, v30, v23, vcc
	v_mul_f32_e32 v41, v22, v23
	v_mul_f32_e32 v22, v26, v41
	global_store_dword v[16:17], v22, off
	v_mad_u64_u32 v[22:23], s[0:1], s12, 9, v[0:1]
	v_mov_b32_e32 v23, v1
	v_lshlrev_b64 v[16:17], 2, v[22:23]
	v_lshl_add_u64 v[24:25], s[8:9], 0, v[16:17]
	global_load_dword v0, v[24:25], off
	v_fmac_f32_e32 v45, 0x32a5705f, v43
	v_sub_f32_e32 v44, v44, v46
	v_add_f32_e32 v44, v44, v45
	v_exp_f32_e32 v44, v44
	v_cvt_i32_f32_e32 v45, v46
	v_cmp_ngt_f32_e64 s[2:3], s21, v43
	v_lshl_add_u64 v[16:17], s[10:11], 0, v[16:17]
	v_ldexp_f32 v44, v44, v45
	v_mul_f32_e32 v45, 0xba2a392f, v35
	v_mul_f32_e32 v46, 0x3fb8aa3b, v45
	v_fma_f32 v47, v45, s20, -v46
	v_rndne_f32_e32 v48, v46
	v_fmac_f32_e32 v47, 0x32a5705f, v45
	v_sub_f32_e32 v46, v46, v48
	v_add_f32_e32 v46, v46, v47
	v_exp_f32_e32 v46, v46
	v_cvt_i32_f32_e32 v47, v48
	v_cndmask_b32_e64 v44, 0, v44, s[2:3]
	v_cmp_nlt_f32_e64 s[2:3], s16, v43
	s_waitcnt vmcnt(0)
	v_div_scale_f32 v21, s[0:1], v0, v0, 1.0
	v_rcp_f32_e32 v23, v21
	v_cndmask_b32_e64 v43, v30, v44, s[2:3]
	v_ldexp_f32 v44, v46, v47
	v_mul_f32_e32 v46, 0xc620f000, v38
	v_fma_f32 v26, -v21, v23, 1.0
	v_fmac_f32_e32 v23, v26, v23
	v_div_scale_f32 v26, vcc, 1.0, v0, 1.0
	v_mul_f32_e32 v27, v26, v23
	v_fma_f32 v28, -v21, v27, v26
	v_fmac_f32_e32 v27, v28, v23
	v_mul_f32_e32 v47, 0x3fb8aa3b, v46
	v_fma_f32 v21, -v21, v27, v26
	v_fma_f32 v48, v46, s20, -v47
	v_rndne_f32_e32 v49, v47
	v_div_fmas_f32 v21, v21, v23, v27
	v_fmac_f32_e32 v48, 0x32a5705f, v46
	v_sub_f32_e32 v47, v47, v49
	v_div_fixup_f32 v21, v21, v0, 1.0
	v_add_f32_e32 v47, v47, v48
	v_mul_f32_e32 v21, v37, v21
	v_cmp_ngt_f32_e64 s[2:3], s21, v45
	v_exp_f32_e32 v47, v47
	v_cvt_i32_f32_e32 v48, v49
	v_fma_f32 v23, v20, v21, 1.0
	v_cndmask_b32_e64 v44, 0, v44, s[2:3]
	v_cmp_nlt_f32_e64 s[2:3], s16, v45
	v_div_scale_f32 v26, s[0:1], v23, v23, 1.0
	v_mul_f32_e32 v20, v20, v21
	v_cndmask_b32_e64 v44, v30, v44, s[2:3]
	v_rcp_f32_e32 v27, v26
	v_max_f32_e32 v28, 0x800000, v20
	v_mul_f32_e32 v44, 0x3f6e978d, v44
	v_cmp_gt_f32_e64 s[0:1], s14, v28
	v_fmamk_f32 v43, v43, 0x3d8b4396, v44
	v_ldexp_f32 v44, v47, v48
	v_cmp_ngt_f32_e64 s[2:3], s21, v46
	v_cndmask_b32_e64 v29, 0, 32, s[0:1]
	v_ldexp_f32 v28, v28, v29
	v_cndmask_b32_e64 v44, 0, v44, s[2:3]
	v_cmp_nlt_f32_e64 s[2:3], s16, v46
	v_fma_f32 v21, -v26, v27, 1.0
	v_log_f32_e32 v28, v28
	v_cndmask_b32_e64 v44, v30, v44, s[2:3]
	v_add_f32_e32 v43, v44, v43
	v_fmac_f32_e32 v27, v21, v27
	v_div_scale_f32 v21, vcc, 1.0, v23, 1.0
	v_max_f32_e32 v43, 0x800000, v43
	v_mul_f32_e32 v29, v21, v27
	v_cmp_gt_f32_e64 s[2:3], s14, v43
	v_fma_f32 v42, -v26, v29, v21
	v_fmac_f32_e32 v29, v42, v27
	v_cndmask_b32_e64 v44, 0, 32, s[2:3]
	v_mul_f32_e32 v42, 0x3e9a209a, v28
	v_ldexp_f32 v43, v43, v44
	v_fma_f32 v42, v28, s13, -v42
	v_log_f32_e32 v43, v43
	v_fmac_f32_e32 v42, 0x3284fbcf, v28
	v_fmac_f32_e32 v42, 0x3e9a209a, v28
	v_cmp_lt_f32_e64 s[4:5], |v28|, s15
	v_fma_f32 v21, -v26, v29, v21
	v_div_fmas_f32 v21, v21, v27, v29
	v_cndmask_b32_e64 v28, v28, v42, s[4:5]
	v_cndmask_b32_e64 v42, 0, v34, s[0:1]
	v_sub_f32_e32 v28, v28, v42
	v_mul_f32_e32 v42, 0x3e9a209a, v43
	v_fma_f32 v42, v43, s13, -v42
	v_fmac_f32_e32 v42, 0x3284fbcf, v43
	v_fmac_f32_e32 v42, 0x3e9a209a, v43
	v_cmp_lt_f32_e64 s[0:1], |v43|, s15
	v_div_fixup_f32 v21, v21, v23, 1.0
	v_mul_f32_e32 v20, v20, v21
	v_cndmask_b32_e64 v42, v43, v42, s[0:1]
	v_cndmask_b32_e64 v43, 0, v34, s[2:3]
	v_sub_f32_e32 v42, v42, v43
	v_fmamk_f32 v44, v42, 0x3f2b851f, v36
	v_fmamk_f32 v43, v42, 0xbfa28f5c, v31
	v_sub_f32_e32 v28, v28, v44
	v_fmac_f32_e32 v43, 0xbe0f5c29, v28
	v_div_scale_f32 v44, s[0:1], v43, v43, 1.0
	v_rcp_f32_e32 v45, v44
	v_mul_f32_e32 v46, 0xbb8a42f8, v35
	v_mul_f32_e32 v47, 0x3fb8aa3b, v46
	v_fma_f32 v48, v46, s20, -v47
	v_fma_f32 v26, -v44, v45, 1.0
	v_fmac_f32_e32 v45, v26, v45
	v_div_scale_f32 v26, vcc, 1.0, v43, 1.0
	v_mul_f32_e32 v27, v26, v45
	v_fma_f32 v29, -v44, v27, v26
	v_fmac_f32_e32 v27, v29, v45
	v_fma_f32 v26, -v44, v27, v26
	v_div_fmas_f32 v26, v26, v45, v27
	v_div_fixup_f32 v26, v26, v43, 1.0
	v_mul_f32_e32 v26, v28, v26
	v_fma_f32 v26, v26, v26, 1.0
	v_div_scale_f32 v27, s[0:1], v26, v26, 1.0
	v_rcp_f32_e32 v28, v27
	s_mul_i32 s0, s12, 0xffffffe4
	v_rndne_f32_e32 v49, v47
	v_fmac_f32_e32 v48, 0x32a5705f, v46
	v_fma_f32 v29, -v27, v28, 1.0
	v_fmac_f32_e32 v28, v29, v28
	v_div_scale_f32 v29, vcc, 1.0, v26, 1.0
	v_mul_f32_e32 v43, v29, v28
	v_fma_f32 v44, -v27, v43, v29
	v_fmac_f32_e32 v43, v44, v28
	v_fma_f32 v27, -v27, v43, v29
	v_div_fmas_f32 v27, v27, v28, v43
	v_div_fixup_f32 v26, v27, v26, 1.0
	v_mul_f32_e32 v26, v42, v26
	v_mul_f32_e32 v27, 0x40549a78, v26
	v_fma_f32 v28, v26, s17, -v27
	v_rndne_f32_e32 v29, v27
	v_fmac_f32_e32 v28, 0x33979a37, v26
	v_sub_f32_e32 v27, v27, v29
	v_add_f32_e32 v27, v27, v28
	v_exp_f32_e32 v27, v27
	v_cvt_i32_f32_e32 v28, v29
	v_cmp_ngt_f32_e32 vcc, s18, v26
	v_sub_f32_e32 v47, v47, v49
	v_add_f32_e32 v47, v47, v48
	v_ldexp_f32 v21, v27, v28
	v_cndmask_b32_e32 v21, 0, v21, vcc
	v_cmp_nlt_f32_e32 vcc, s19, v26
	v_exp_f32_e32 v47, v47
	v_cvt_i32_f32_e32 v48, v49
	v_cndmask_b32_e32 v21, v30, v21, vcc
	v_mul_f32_e32 v42, v20, v21
	v_mul_f32_e32 v0, v0, v42
	global_store_dword v[24:25], v0, off
	v_add_u32_e32 v0, s0, v22
	v_mad_u64_u32 v[22:23], s[0:1], s12, 36, v[0:1]
	v_mov_b32_e32 v23, v1
	v_lshlrev_b64 v[20:21], 2, v[22:23]
	v_lshl_add_u64 v[24:25], s[8:9], 0, v[20:21]
	global_load_dword v23, v[24:25], off
	v_lshl_add_u64 v[26:27], v[0:1], 2, s[6:7]
	global_load_dword v0, v[26:27], off
	v_ldexp_f32 v47, v47, v48
	v_mul_f32_e32 v48, 0xba1eaecd, v35
	v_mul_f32_e32 v49, 0x3fb8aa3b, v48
	v_fma_f32 v50, v48, s20, -v49
	v_rndne_f32_e32 v51, v49
	v_fmac_f32_e32 v50, 0x32a5705f, v48
	v_sub_f32_e32 v49, v49, v51
	v_add_f32_e32 v49, v49, v50
	v_exp_f32_e32 v49, v49
	v_cvt_i32_f32_e32 v50, v51
	v_cmp_ngt_f32_e64 s[2:3], s21, v46
	v_lshl_add_u64 v[20:21], s[10:11], 0, v[20:21]
	s_waitcnt vmcnt(1)
	v_div_scale_f32 v26, s[0:1], v23, v23, 1.0
	v_rcp_f32_e32 v27, v26
	v_cndmask_b32_e64 v47, 0, v47, s[2:3]
	v_cmp_nlt_f32_e64 s[2:3], s16, v46
	v_fma_f32 v28, -v26, v27, 1.0
	v_fmac_f32_e32 v27, v28, v27
	v_div_scale_f32 v28, vcc, 1.0, v23, 1.0
	v_mul_f32_e32 v29, v28, v27
	v_fma_f32 v43, -v26, v29, v28
	v_cndmask_b32_e64 v46, v30, v47, s[2:3]
	v_ldexp_f32 v47, v49, v50
	v_mul_f32_e32 v49, 0xc59e6800, v38
	v_fmac_f32_e32 v29, v43, v27
	v_mul_f32_e32 v50, 0x3fb8aa3b, v49
	v_fma_f32 v26, -v26, v29, v28
	v_fma_f32 v51, v49, s20, -v50
	v_rndne_f32_e32 v52, v50
	v_div_fmas_f32 v26, v26, v27, v29
	v_fmac_f32_e32 v51, 0x32a5705f, v49
	v_sub_f32_e32 v50, v50, v52
	v_div_fixup_f32 v26, v26, v23, 1.0
	v_add_f32_e32 v50, v50, v51
	v_mul_f32_e32 v26, v37, v26
	v_cmp_ngt_f32_e64 s[2:3], s21, v48
	v_exp_f32_e32 v50, v50
	v_cvt_i32_f32_e32 v51, v52
	s_waitcnt vmcnt(0)
	v_fma_f32 v27, v0, v26, 1.0
	v_cndmask_b32_e64 v47, 0, v47, s[2:3]
	v_cmp_nlt_f32_e64 s[2:3], s16, v48
	v_div_scale_f32 v28, s[0:1], v27, v27, 1.0
	v_mul_f32_e32 v0, v0, v26
	v_cndmask_b32_e64 v47, v30, v47, s[2:3]
	v_rcp_f32_e32 v29, v28
	v_max_f32_e32 v43, 0x800000, v0
	v_mul_f32_e32 v47, 0x3f136113, v47
	v_cmp_gt_f32_e64 s[0:1], s14, v43
	v_fmamk_f32 v46, v46, 0x3ed93dd9, v47
	v_ldexp_f32 v47, v50, v51
	v_cmp_ngt_f32_e64 s[2:3], s21, v49
	v_cndmask_b32_e64 v44, 0, 32, s[0:1]
	v_ldexp_f32 v43, v43, v44
	v_cndmask_b32_e64 v47, 0, v47, s[2:3]
	v_cmp_nlt_f32_e64 s[2:3], s16, v49
	v_fma_f32 v26, -v28, v29, 1.0
	v_log_f32_e32 v43, v43
	v_cndmask_b32_e64 v47, v30, v47, s[2:3]
	v_add_f32_e32 v46, v47, v46
	v_fmac_f32_e32 v29, v26, v29
	v_div_scale_f32 v26, vcc, 1.0, v27, 1.0
	v_max_f32_e32 v46, 0x800000, v46
	v_mul_f32_e32 v44, v26, v29
	v_cmp_gt_f32_e64 s[2:3], s14, v46
	v_fma_f32 v45, -v28, v44, v26
	v_fmac_f32_e32 v44, v45, v29
	v_cndmask_b32_e64 v47, 0, 32, s[2:3]
	v_mul_f32_e32 v45, 0x3e9a209a, v43
	v_ldexp_f32 v46, v46, v47
	v_fma_f32 v45, v43, s13, -v45
	v_log_f32_e32 v46, v46
	v_fmac_f32_e32 v45, 0x3284fbcf, v43
	v_fmac_f32_e32 v45, 0x3e9a209a, v43
	v_cmp_lt_f32_e64 s[4:5], |v43|, s15
	v_fma_f32 v26, -v28, v44, v26
	v_div_fmas_f32 v26, v26, v29, v44
	v_cndmask_b32_e64 v43, v43, v45, s[4:5]
	v_cndmask_b32_e64 v45, 0, v34, s[0:1]
	v_sub_f32_e32 v43, v43, v45
	v_mul_f32_e32 v45, 0x3e9a209a, v46
	v_fma_f32 v45, v46, s13, -v45
	v_fmac_f32_e32 v45, 0x3284fbcf, v46
	v_fmac_f32_e32 v45, 0x3e9a209a, v46
	v_cmp_lt_f32_e64 s[0:1], |v46|, s15
	v_div_fixup_f32 v26, v26, v27, 1.0
	v_mul_f32_e32 v0, v0, v26
	v_cndmask_b32_e64 v45, v46, v45, s[0:1]
	v_cndmask_b32_e64 v46, 0, v34, s[2:3]
	v_sub_f32_e32 v45, v45, v46
	v_fmamk_f32 v47, v45, 0x3f2b851f, v36
	v_fmamk_f32 v46, v45, 0xbfa28f5c, v31
	v_sub_f32_e32 v43, v43, v47
	v_fmac_f32_e32 v46, 0xbe0f5c29, v43
	v_div_scale_f32 v47, s[0:1], v46, v46, 1.0
	v_rcp_f32_e32 v48, v47
	s_nop 0
	v_fma_f32 v28, -v47, v48, 1.0
	v_fmac_f32_e32 v48, v28, v48
	v_div_scale_f32 v28, vcc, 1.0, v46, 1.0
	v_mul_f32_e32 v29, v28, v48
	v_fma_f32 v44, -v47, v29, v28
	v_fmac_f32_e32 v29, v44, v48
	v_fma_f32 v28, -v47, v29, v28
	v_div_fmas_f32 v28, v28, v48, v29
	v_div_fixup_f32 v28, v28, v46, 1.0
	v_mul_f32_e32 v28, v43, v28
	v_fma_f32 v28, v28, v28, 1.0
	v_div_scale_f32 v29, s[0:1], v28, v28, 1.0
	v_rcp_f32_e32 v43, v29
	s_nop 0
	v_fma_f32 v44, -v29, v43, 1.0
	v_fmac_f32_e32 v43, v44, v43
	v_div_scale_f32 v44, vcc, 1.0, v28, 1.0
	v_mul_f32_e32 v46, v44, v43
	v_fma_f32 v47, -v29, v46, v44
	v_fmac_f32_e32 v46, v47, v43
	v_fma_f32 v29, -v29, v46, v44
	v_div_fmas_f32 v29, v29, v43, v46
	v_div_fixup_f32 v28, v29, v28, 1.0
	v_mul_f32_e32 v28, v45, v28
	v_mul_f32_e32 v29, 0x40549a78, v28
	v_fma_f32 v43, v28, s17, -v29
	v_rndne_f32_e32 v44, v29
	v_fmac_f32_e32 v43, 0x33979a37, v28
	v_sub_f32_e32 v29, v29, v44
	v_add_f32_e32 v29, v29, v43
	v_exp_f32_e32 v29, v29
	v_cvt_i32_f32_e32 v43, v44
	v_cmp_ngt_f32_e32 vcc, s18, v28
	v_mul_f32_e32 v47, 0xbb71d48c, v35
	v_mul_f32_e32 v48, 0x3fb8aa3b, v47
	v_ldexp_f32 v26, v29, v43
	v_cndmask_b32_e32 v26, 0, v26, vcc
	v_cmp_nlt_f32_e32 vcc, s19, v28
	v_fma_f32 v49, v47, s20, -v48
	v_rndne_f32_e32 v50, v48
	v_cndmask_b32_e32 v26, v30, v26, vcc
	v_mul_f32_e32 v43, v0, v26
	v_mul_f32_e32 v0, v23, v43
	global_store_dword v[24:25], v0, off
	v_lshl_add_u32 v0, s12, 1, v22
	v_lshlrev_b64 v[22:23], 2, v[0:1]
	v_lshl_add_u64 v[24:25], s[8:9], 0, v[22:23]
	global_load_dword v26, v[24:25], off
	v_fmac_f32_e32 v49, 0x32a5705f, v47
	v_sub_f32_e32 v48, v48, v50
	v_add_f32_e32 v48, v48, v49
	v_exp_f32_e32 v48, v48
	v_cvt_i32_f32_e32 v49, v50
	v_cmp_ngt_f32_e64 s[2:3], s21, v47
	v_ldexp_f32 v48, v48, v49
	v_mul_f32_e32 v49, 0xb9be4dde, v35
	v_mul_f32_e32 v50, 0x3fb8aa3b, v49
	v_fma_f32 v51, v49, s20, -v50
	v_rndne_f32_e32 v52, v50
	v_fmac_f32_e32 v51, 0x32a5705f, v49
	v_sub_f32_e32 v50, v50, v52
	v_add_f32_e32 v50, v50, v51
	v_exp_f32_e32 v50, v50
	v_cvt_i32_f32_e32 v51, v52
	v_cndmask_b32_e64 v48, 0, v48, s[2:3]
	v_cmp_nlt_f32_e64 s[2:3], s16, v47
	s_waitcnt vmcnt(0)
	v_div_scale_f32 v19, s[0:1], v26, v26, 1.0
	v_rcp_f32_e32 v27, v19
	v_cndmask_b32_e64 v47, v30, v48, s[2:3]
	v_ldexp_f32 v48, v50, v51
	v_mul_f32_e32 v50, 0xc5cd5000, v38
	v_fma_f32 v28, -v19, v27, 1.0
	v_fmac_f32_e32 v27, v28, v27
	v_div_scale_f32 v28, vcc, 1.0, v26, 1.0
	v_mul_f32_e32 v29, v28, v27
	v_fma_f32 v44, -v19, v29, v28
	v_fmac_f32_e32 v29, v44, v27
	v_mul_f32_e32 v51, 0x3fb8aa3b, v50
	v_fma_f32 v19, -v19, v29, v28
	v_fma_f32 v52, v50, s20, -v51
	v_rndne_f32_e32 v53, v51
	v_div_fmas_f32 v19, v19, v27, v29
	v_fmac_f32_e32 v52, 0x32a5705f, v50
	v_sub_f32_e32 v51, v51, v53
	v_div_fixup_f32 v19, v19, v26, 1.0
	v_add_f32_e32 v51, v51, v52
	v_mul_f32_e32 v19, v37, v19
	v_cmp_ngt_f32_e64 s[2:3], s21, v49
	v_exp_f32_e32 v51, v51
	v_cvt_i32_f32_e32 v52, v53
	v_fma_f32 v27, v18, v19, 1.0
	v_cndmask_b32_e64 v48, 0, v48, s[2:3]
	v_cmp_nlt_f32_e64 s[2:3], s16, v49
	v_div_scale_f32 v28, s[0:1], v27, v27, 1.0
	v_mul_f32_e32 v18, v18, v19
	v_cndmask_b32_e64 v48, v30, v48, s[2:3]
	v_rcp_f32_e32 v29, v28
	v_max_f32_e32 v44, 0x800000, v18
	v_mul_f32_e32 v48, 0x3f484b5e, v48
	v_cmp_gt_f32_e64 s[0:1], s14, v44
	v_fmamk_f32 v47, v47, 0x3e5ed289, v48
	v_ldexp_f32 v48, v51, v52
	v_cmp_ngt_f32_e64 s[2:3], s21, v50
	v_cndmask_b32_e64 v45, 0, 32, s[0:1]
	v_ldexp_f32 v44, v44, v45
	v_cndmask_b32_e64 v48, 0, v48, s[2:3]
	v_cmp_nlt_f32_e64 s[2:3], s16, v50
	v_fma_f32 v19, -v28, v29, 1.0
	v_log_f32_e32 v44, v44
	v_cndmask_b32_e64 v48, v30, v48, s[2:3]
	v_add_f32_e32 v47, v48, v47
	v_fmac_f32_e32 v29, v19, v29
	v_div_scale_f32 v19, vcc, 1.0, v27, 1.0
	v_max_f32_e32 v47, 0x800000, v47
	v_mul_f32_e32 v45, v19, v29
	v_cmp_gt_f32_e64 s[2:3], s14, v47
	v_fma_f32 v46, -v28, v45, v19
	v_fmac_f32_e32 v45, v46, v29
	v_cndmask_b32_e64 v48, 0, 32, s[2:3]
	v_mul_f32_e32 v46, 0x3e9a209a, v44
	v_ldexp_f32 v47, v47, v48
	v_fma_f32 v46, v44, s13, -v46
	v_log_f32_e32 v47, v47
	v_fmac_f32_e32 v46, 0x3284fbcf, v44
	v_fmac_f32_e32 v46, 0x3e9a209a, v44
	v_cmp_lt_f32_e64 s[4:5], |v44|, s15
	v_fma_f32 v19, -v28, v45, v19
	v_div_fmas_f32 v19, v19, v29, v45
	v_cndmask_b32_e64 v44, v44, v46, s[4:5]
	v_cndmask_b32_e64 v46, 0, v34, s[0:1]
	v_sub_f32_e32 v44, v44, v46
	v_mul_f32_e32 v46, 0x3e9a209a, v47
	v_fma_f32 v46, v47, s13, -v46
	v_fmac_f32_e32 v46, 0x3284fbcf, v47
	v_fmac_f32_e32 v46, 0x3e9a209a, v47
	v_cmp_lt_f32_e64 s[0:1], |v47|, s15
	v_div_fixup_f32 v19, v19, v27, 1.0
	v_mul_f32_e32 v18, v18, v19
	v_cndmask_b32_e64 v46, v47, v46, s[0:1]
	v_cndmask_b32_e64 v47, 0, v34, s[2:3]
	v_sub_f32_e32 v46, v46, v47
	v_fmamk_f32 v48, v46, 0x3f2b851f, v36
	v_fmamk_f32 v47, v46, 0xbfa28f5c, v31
	v_sub_f32_e32 v44, v44, v48
	v_fmac_f32_e32 v47, 0xbe0f5c29, v44
	v_div_scale_f32 v48, s[0:1], v47, v47, 1.0
	v_rcp_f32_e32 v49, v48
	v_mul_f32_e32 v50, 0xbc520d21, v35
	v_mul_f32_e32 v51, 0x3fb8aa3b, v50
	v_fma_f32 v52, v50, s20, -v51
	v_fma_f32 v28, -v48, v49, 1.0
	v_fmac_f32_e32 v49, v28, v49
	v_div_scale_f32 v28, vcc, 1.0, v47, 1.0
	v_mul_f32_e32 v29, v28, v49
	v_fma_f32 v45, -v48, v29, v28
	v_fmac_f32_e32 v29, v45, v49
	v_fma_f32 v28, -v48, v29, v28
	v_div_fmas_f32 v28, v28, v49, v29
	v_div_fixup_f32 v28, v28, v47, 1.0
	v_mul_f32_e32 v28, v44, v28
	v_fma_f32 v28, v28, v28, 1.0
	v_div_scale_f32 v29, s[0:1], v28, v28, 1.0
	v_rcp_f32_e32 v44, v29
	s_mul_i32 s0, s12, 0xffffffdc
	v_add_u32_e32 v0, s0, v0
	v_rndne_f32_e32 v53, v51
	v_fma_f32 v45, -v29, v44, 1.0
	v_fmac_f32_e32 v44, v45, v44
	v_div_scale_f32 v45, vcc, 1.0, v28, 1.0
	v_mul_f32_e32 v47, v45, v44
	v_fma_f32 v48, -v29, v47, v45
	v_fmac_f32_e32 v47, v48, v44
	v_fma_f32 v29, -v29, v47, v45
	v_div_fmas_f32 v29, v29, v44, v47
	v_div_fixup_f32 v28, v29, v28, 1.0
	v_mul_f32_e32 v28, v46, v28
	v_mul_f32_e32 v29, 0x40549a78, v28
	v_fma_f32 v44, v28, s17, -v29
	v_rndne_f32_e32 v45, v29
	v_fmac_f32_e32 v44, 0x33979a37, v28
	v_sub_f32_e32 v29, v29, v45
	v_add_f32_e32 v29, v29, v44
	v_exp_f32_e32 v29, v29
	v_cvt_i32_f32_e32 v44, v45
	v_cmp_ngt_f32_e32 vcc, s18, v28
	v_fmac_f32_e32 v52, 0x32a5705f, v50
	v_sub_f32_e32 v51, v51, v53
	v_ldexp_f32 v19, v29, v44
	v_cndmask_b32_e32 v19, 0, v19, vcc
	v_cmp_nlt_f32_e32 vcc, s19, v28
	v_lshl_add_u64 v[28:29], v[0:1], 2, s[6:7]
	v_add_f32_e32 v51, v51, v52
	v_cndmask_b32_e32 v19, v30, v19, vcc
	v_mul_f32_e32 v44, v18, v19
	v_mul_f32_e32 v18, v26, v44
	global_store_dword v[24:25], v18, off
	v_mad_u64_u32 v[24:25], s[0:1], s12, 43, v[0:1]
	v_mov_b32_e32 v25, v1
	v_lshlrev_b64 v[18:19], 2, v[24:25]
	v_lshl_add_u64 v[26:27], s[8:9], 0, v[18:19]
	global_load_dword v25, v[26:27], off
	global_load_dword v0, v[28:29], off
	v_exp_f32_e32 v51, v51
	v_cvt_i32_f32_e32 v52, v53
	v_cmp_ngt_f32_e64 s[2:3], s21, v50
	v_lshl_add_u64 v[18:19], s[10:11], 0, v[18:19]
	v_ldexp_f32 v51, v51, v52
	v_mul_f32_e32 v52, 0xba036687, v35
	v_mul_f32_e32 v53, 0x3fb8aa3b, v52
	v_fma_f32 v54, v52, s20, -v53
	v_rndne_f32_e32 v55, v53
	v_fmac_f32_e32 v54, 0x32a5705f, v52
	v_sub_f32_e32 v53, v53, v55
	v_add_f32_e32 v53, v53, v54
	v_exp_f32_e32 v53, v53
	v_cvt_i32_f32_e32 v54, v55
	v_cndmask_b32_e64 v51, 0, v51, s[2:3]
	v_cmp_nlt_f32_e64 s[2:3], s16, v50
	s_waitcnt vmcnt(1)
	v_div_scale_f32 v28, s[0:1], v25, v25, 1.0
	v_rcp_f32_e32 v29, v28
	v_cndmask_b32_e64 v50, v30, v51, s[2:3]
	v_ldexp_f32 v51, v53, v54
	v_mul_f32_e32 v53, 0xc5aeb000, v38
	v_fma_f32 v45, -v28, v29, 1.0
	v_fmac_f32_e32 v29, v45, v29
	v_div_scale_f32 v45, vcc, 1.0, v25, 1.0
	v_mul_f32_e32 v46, v45, v29
	v_fma_f32 v47, -v28, v46, v45
	v_fmac_f32_e32 v46, v47, v29
	v_mul_f32_e32 v54, 0x3fb8aa3b, v53
	v_fma_f32 v28, -v28, v46, v45
	v_fma_f32 v55, v53, s20, -v54
	v_rndne_f32_e32 v56, v54
	v_div_fmas_f32 v28, v28, v29, v46
	v_fmac_f32_e32 v55, 0x32a5705f, v53
	v_sub_f32_e32 v54, v54, v56
	v_div_fixup_f32 v28, v28, v25, 1.0
	v_add_f32_e32 v54, v54, v55
	v_mul_f32_e32 v28, v37, v28
	v_cmp_ngt_f32_e64 s[2:3], s21, v52
	v_exp_f32_e32 v54, v54
	v_cvt_i32_f32_e32 v55, v56
	s_waitcnt vmcnt(0)
	v_fma_f32 v29, v0, v28, 1.0
	v_cndmask_b32_e64 v51, 0, v51, s[2:3]
	v_cmp_nlt_f32_e64 s[2:3], s16, v52
	v_div_scale_f32 v45, s[0:1], v29, v29, 1.0
	v_mul_f32_e32 v0, v0, v28
	v_cndmask_b32_e64 v51, v30, v51, s[2:3]
	v_rcp_f32_e32 v46, v45
	v_max_f32_e32 v47, 0x800000, v0
	v_mul_f32_e32 v51, 0x3f2e147b, v51
	v_cmp_gt_f32_e64 s[0:1], s14, v47
	v_fmamk_f32 v50, v50, 0x3ea3d70a, v51
	v_ldexp_f32 v51, v54, v55
	v_cmp_ngt_f32_e64 s[2:3], s21, v53
	v_cndmask_b32_e64 v48, 0, 32, s[0:1]
	v_ldexp_f32 v47, v47, v48
	v_cndmask_b32_e64 v51, 0, v51, s[2:3]
	v_cmp_nlt_f32_e64 s[2:3], s16, v53
	v_fma_f32 v28, -v45, v46, 1.0
	v_log_f32_e32 v47, v47
	v_cndmask_b32_e64 v51, v30, v51, s[2:3]
	v_add_f32_e32 v50, v51, v50
	v_fmac_f32_e32 v46, v28, v46
	v_div_scale_f32 v28, vcc, 1.0, v29, 1.0
	v_max_f32_e32 v50, 0x800000, v50
	v_mul_f32_e32 v48, v28, v46
	v_cmp_gt_f32_e64 s[2:3], s14, v50
	v_fma_f32 v49, -v45, v48, v28
	v_fmac_f32_e32 v48, v49, v46
	v_cndmask_b32_e64 v51, 0, 32, s[2:3]
	v_mul_f32_e32 v49, 0x3e9a209a, v47
	v_ldexp_f32 v50, v50, v51
	v_fma_f32 v49, v47, s13, -v49
	v_log_f32_e32 v50, v50
	v_fmac_f32_e32 v49, 0x3284fbcf, v47
	v_fmac_f32_e32 v49, 0x3e9a209a, v47
	v_cmp_lt_f32_e64 s[4:5], |v47|, s15
	v_fma_f32 v28, -v45, v48, v28
	v_div_fmas_f32 v28, v28, v46, v48
	v_cndmask_b32_e64 v47, v47, v49, s[4:5]
	v_cndmask_b32_e64 v49, 0, v34, s[0:1]
	v_sub_f32_e32 v47, v47, v49
	v_mul_f32_e32 v49, 0x3e9a209a, v50
	v_fma_f32 v49, v50, s13, -v49
	v_fmac_f32_e32 v49, 0x3284fbcf, v50
	v_fmac_f32_e32 v49, 0x3e9a209a, v50
	v_cmp_lt_f32_e64 s[0:1], |v50|, s15
	v_div_fixup_f32 v28, v28, v29, 1.0
	v_mul_f32_e32 v0, v0, v28
	v_cndmask_b32_e64 v49, v50, v49, s[0:1]
	v_cndmask_b32_e64 v50, 0, v34, s[2:3]
	v_sub_f32_e32 v49, v49, v50
	v_fmamk_f32 v51, v49, 0x3f2b851f, v36
	v_fmamk_f32 v50, v49, 0xbfa28f5c, v31
	v_sub_f32_e32 v47, v47, v51
	v_fmac_f32_e32 v50, 0xbe0f5c29, v47
	v_div_scale_f32 v51, s[0:1], v50, v50, 1.0
	v_rcp_f32_e32 v52, v51
	s_nop 0
	v_fma_f32 v45, -v51, v52, 1.0
	v_fmac_f32_e32 v52, v45, v52
	v_div_scale_f32 v45, vcc, 1.0, v50, 1.0
	v_mul_f32_e32 v46, v45, v52
	v_fma_f32 v48, -v51, v46, v45
	v_fmac_f32_e32 v46, v48, v52
	v_fma_f32 v45, -v51, v46, v45
	v_div_fmas_f32 v45, v45, v52, v46
	v_div_fixup_f32 v45, v45, v50, 1.0
	v_mul_f32_e32 v45, v47, v45
	v_fma_f32 v45, v45, v45, 1.0
	v_div_scale_f32 v46, s[0:1], v45, v45, 1.0
	v_rcp_f32_e32 v47, v46
	v_mul_f32_e32 v52, 0xbb6e500f, v35
	v_mul_f32_e32 v53, 0x3fb8aa3b, v52
	v_fma_f32 v54, v52, s20, -v53
	v_fma_f32 v48, -v46, v47, 1.0
	v_fmac_f32_e32 v47, v48, v47
	v_div_scale_f32 v48, vcc, 1.0, v45, 1.0
	v_mul_f32_e32 v50, v48, v47
	v_fma_f32 v51, -v46, v50, v48
	v_fmac_f32_e32 v50, v51, v47
	v_fma_f32 v46, -v46, v50, v48
	v_div_fmas_f32 v46, v46, v47, v50
	v_div_fixup_f32 v45, v46, v45, 1.0
	v_mul_f32_e32 v45, v49, v45
	v_mul_f32_e32 v46, 0x40549a78, v45
	v_fma_f32 v47, v45, s17, -v46
	v_rndne_f32_e32 v48, v46
	v_fmac_f32_e32 v47, 0x33979a37, v45
	v_sub_f32_e32 v46, v46, v48
	v_add_f32_e32 v46, v46, v47
	v_exp_f32_e32 v46, v46
	v_cvt_i32_f32_e32 v47, v48
	v_cmp_ngt_f32_e32 vcc, s18, v45
	v_rndne_f32_e32 v55, v53
	v_fmac_f32_e32 v54, 0x32a5705f, v52
	v_ldexp_f32 v28, v46, v47
	v_cndmask_b32_e32 v28, 0, v28, vcc
	v_cmp_nlt_f32_e32 vcc, s19, v45
	v_sub_f32_e32 v53, v53, v55
	v_add_f32_e32 v53, v53, v54
	v_cndmask_b32_e32 v28, v30, v28, vcc
	v_mul_f32_e32 v45, v0, v28
	v_mul_f32_e32 v0, v25, v45
	global_store_dword v[26:27], v0, off
	v_lshl_add_u32 v0, s12, 3, v24
	v_lshlrev_b64 v[24:25], 2, v[0:1]
	v_lshl_add_u64 v[26:27], s[8:9], 0, v[24:25]
	global_load_dword v46, v[26:27], off
	v_exp_f32_e32 v53, v53
	v_cvt_i32_f32_e32 v54, v55
	v_cmp_ngt_f32_e64 s[2:3], s21, v52
	v_ldexp_f32 v53, v53, v54
	v_mul_f32_e32 v54, 0xba55d210, v35
	v_mul_f32_e32 v55, 0x3fb8aa3b, v54
	v_fma_f32 v56, v54, s20, -v55
	v_rndne_f32_e32 v57, v55
	v_fmac_f32_e32 v56, 0x32a5705f, v54
	v_sub_f32_e32 v55, v55, v57
	v_add_f32_e32 v55, v55, v56
	v_exp_f32_e32 v55, v55
	v_cvt_i32_f32_e32 v56, v57
	v_cndmask_b32_e64 v53, 0, v53, s[2:3]
	v_cmp_nlt_f32_e64 s[2:3], s16, v52
	s_waitcnt vmcnt(0)
	v_div_scale_f32 v13, s[0:1], v46, v46, 1.0
	v_rcp_f32_e32 v28, v13
	v_cndmask_b32_e64 v52, v30, v53, s[2:3]
	v_ldexp_f32 v53, v55, v56
	v_mul_f32_e32 v55, 0xc5a20800, v38
	v_fma_f32 v29, -v13, v28, 1.0
	v_fmac_f32_e32 v28, v29, v28
	v_div_scale_f32 v29, vcc, 1.0, v46, 1.0
	v_mul_f32_e32 v47, v29, v28
	v_fma_f32 v48, -v13, v47, v29
	v_fmac_f32_e32 v47, v48, v28
	v_fma_f32 v13, -v13, v47, v29
	v_div_fmas_f32 v13, v13, v28, v47
	v_lshl_add_u64 v[28:29], s[10:11], 0, v[14:15]
	global_load_dword v14, v[28:29], off
	v_mul_f32_e32 v56, 0x3fb8aa3b, v55
	v_fma_f32 v57, v55, s20, -v56
	v_rndne_f32_e32 v58, v56
	v_fmac_f32_e32 v57, 0x32a5705f, v55
	v_sub_f32_e32 v56, v56, v58
	v_div_fixup_f32 v13, v13, v46, 1.0
	v_add_f32_e32 v56, v56, v57
	v_mul_f32_e32 v13, v37, v13
	v_cmp_ngt_f32_e64 s[2:3], s21, v54
	v_exp_f32_e32 v56, v56
	v_cvt_i32_f32_e32 v57, v58
	v_fma_f32 v47, v12, v13, 1.0
	v_cndmask_b32_e64 v53, 0, v53, s[2:3]
	v_cmp_nlt_f32_e64 s[2:3], s16, v54
	v_div_scale_f32 v48, s[0:1], v47, v47, 1.0
	v_mul_f32_e32 v12, v12, v13
	v_cndmask_b32_e64 v53, v30, v53, s[2:3]
	v_rcp_f32_e32 v49, v48
	v_max_f32_e32 v15, 0x800000, v12
	v_mul_f32_e32 v53, 0x3f17381d, v53
	v_cmp_gt_f32_e64 s[0:1], s14, v15
	v_fmamk_f32 v52, v52, 0x3ed18fc5, v53
	v_ldexp_f32 v53, v56, v57
	v_cmp_ngt_f32_e64 s[2:3], s21, v55
	v_cndmask_b32_e64 v50, 0, 32, s[0:1]
	v_ldexp_f32 v15, v15, v50
	v_cndmask_b32_e64 v53, 0, v53, s[2:3]
	v_cmp_nlt_f32_e64 s[2:3], s16, v55
	v_fma_f32 v13, -v48, v49, 1.0
	v_log_f32_e32 v15, v15
	v_cndmask_b32_e64 v53, v30, v53, s[2:3]
	v_add_f32_e32 v52, v53, v52
	v_fmac_f32_e32 v49, v13, v49
	v_div_scale_f32 v13, vcc, 1.0, v47, 1.0
	v_max_f32_e32 v52, 0x800000, v52
	v_mul_f32_e32 v50, v13, v49
	v_cmp_gt_f32_e64 s[2:3], s14, v52
	v_fma_f32 v51, -v48, v50, v13
	v_fmac_f32_e32 v50, v51, v49
	v_cndmask_b32_e64 v53, 0, 32, s[2:3]
	v_mul_f32_e32 v51, 0x3e9a209a, v15
	v_ldexp_f32 v52, v52, v53
	v_fma_f32 v51, v15, s13, -v51
	v_log_f32_e32 v52, v52
	v_fmac_f32_e32 v51, 0x3284fbcf, v15
	v_fmac_f32_e32 v51, 0x3e9a209a, v15
	v_cmp_lt_f32_e64 s[4:5], |v15|, s15
	v_fma_f32 v13, -v48, v50, v13
	v_div_fmas_f32 v13, v13, v49, v50
	v_cndmask_b32_e64 v15, v15, v51, s[4:5]
	v_cndmask_b32_e64 v51, 0, v34, s[0:1]
	v_sub_f32_e32 v15, v15, v51
	v_mul_f32_e32 v51, 0x3e9a209a, v52
	v_fma_f32 v51, v52, s13, -v51
	v_fmac_f32_e32 v51, 0x3284fbcf, v52
	v_fmac_f32_e32 v51, 0x3e9a209a, v52
	v_cmp_lt_f32_e64 s[0:1], |v52|, s15
	v_div_fixup_f32 v13, v13, v47, 1.0
	v_mul_f32_e32 v12, v12, v13
	v_cndmask_b32_e64 v51, v52, v51, s[0:1]
	v_cndmask_b32_e64 v52, 0, v34, s[2:3]
	v_sub_f32_e32 v51, v51, v52
	v_fmamk_f32 v53, v51, 0x3f2b851f, v36
	v_fmamk_f32 v52, v51, 0xbfa28f5c, v31
	v_sub_f32_e32 v15, v15, v53
	v_fmac_f32_e32 v52, 0xbe0f5c29, v15
	v_div_scale_f32 v53, s[0:1], v52, v52, 1.0
	v_rcp_f32_e32 v54, v53
	v_mul_f32_e32 v47, 0xba2894d3, v35
	v_cmp_ngt_f32_e64 s[2:3], s21, v47
	v_fma_f32 v48, -v53, v54, 1.0
	v_fmac_f32_e32 v54, v48, v54
	v_div_scale_f32 v48, vcc, 1.0, v52, 1.0
	v_mul_f32_e32 v49, v48, v54
	v_fma_f32 v50, -v53, v49, v48
	v_fmac_f32_e32 v49, v50, v54
	v_fma_f32 v48, -v53, v49, v48
	v_div_fmas_f32 v48, v48, v54, v49
	v_div_fixup_f32 v48, v48, v52, 1.0
	v_mul_f32_e32 v15, v15, v48
	v_fma_f32 v15, v15, v15, 1.0
	v_div_scale_f32 v48, s[0:1], v15, v15, 1.0
	v_rcp_f32_e32 v49, v48
	s_nop 0
	v_fma_f32 v50, -v48, v49, 1.0
	v_fmac_f32_e32 v49, v50, v49
	v_div_scale_f32 v50, vcc, 1.0, v15, 1.0
	v_mul_f32_e32 v52, v50, v49
	v_fma_f32 v53, -v48, v52, v50
	v_fmac_f32_e32 v52, v53, v49
	v_fma_f32 v48, -v48, v52, v50
	v_div_fmas_f32 v48, v48, v49, v52
	v_div_fixup_f32 v15, v48, v15, 1.0
	v_mul_f32_e32 v15, v51, v15
	v_mul_f32_e32 v48, 0x40549a78, v15
	v_fma_f32 v49, v15, s17, -v48
	v_rndne_f32_e32 v50, v48
	v_fmac_f32_e32 v49, 0x33979a37, v15
	v_sub_f32_e32 v48, v48, v50
	v_add_f32_e32 v48, v48, v49
	v_exp_f32_e32 v48, v48
	v_cvt_i32_f32_e32 v49, v50
	v_cmp_ngt_f32_e32 vcc, s18, v15
	s_waitcnt vmcnt(0)
	v_mul_f32_e32 v50, v14, v41
	global_store_dword v[28:29], v50, off
	v_ldexp_f32 v13, v48, v49
	v_cndmask_b32_e32 v13, 0, v13, vcc
	v_cmp_nlt_f32_e32 vcc, s19, v15
	v_mad_u64_u32 v[14:15], s[0:1], s12, 15, v[0:1]
	s_nop 0
	v_cndmask_b32_e32 v13, v30, v13, vcc
	v_mul_f32_e32 v41, v12, v13
	v_mul_f32_e32 v12, v46, v41
	v_mov_b32_e32 v15, v1
	global_store_dword v[26:27], v12, off
	v_lshlrev_b64 v[12:13], 2, v[14:15]
	v_lshl_add_u64 v[26:27], s[8:9], 0, v[12:13]
	global_load_dword v0, v[26:27], off
	global_load_dword v15, v[16:17], off
	v_mul_f32_e32 v48, 0x3fb8aa3b, v47
	v_fma_f32 v49, v47, s20, -v48
	v_rndne_f32_e32 v50, v48
	v_fmac_f32_e32 v49, 0x32a5705f, v47
	v_sub_f32_e32 v48, v48, v50
	v_add_f32_e32 v48, v48, v49
	v_exp_f32_e32 v48, v48
	v_cvt_i32_f32_e32 v49, v50
	v_ldexp_f32 v48, v48, v49
	v_mul_f32_e32 v49, 0xc5834000, v38
	v_mul_f32_e32 v50, 0x3fb8aa3b, v49
	v_fma_f32 v51, v49, s20, -v50
	v_rndne_f32_e32 v52, v50
	v_fmac_f32_e32 v51, 0x32a5705f, v49
	v_sub_f32_e32 v50, v50, v52
	v_add_f32_e32 v50, v50, v51
	v_exp_f32_e32 v50, v50
	v_cvt_i32_f32_e32 v51, v52
	v_cndmask_b32_e64 v48, 0, v48, s[2:3]
	v_cmp_nlt_f32_e64 s[2:3], s16, v47
	s_waitcnt vmcnt(1)
	v_div_scale_f32 v11, s[0:1], v0, v0, 1.0
	v_rcp_f32_e32 v28, v11
	s_waitcnt vmcnt(0)
	v_mul_f32_e32 v15, v15, v42
	global_store_dword v[16:17], v15, off
	v_cndmask_b32_e64 v47, v30, v48, s[2:3]
	v_fma_f32 v15, -v11, v28, 1.0
	v_fmac_f32_e32 v28, v15, v28
	v_div_scale_f32 v15, vcc, 1.0, v0, 1.0
	v_mul_f32_e32 v16, v15, v28
	v_fma_f32 v17, -v11, v16, v15
	v_fmac_f32_e32 v16, v17, v28
	v_fma_f32 v11, -v11, v16, v15
	v_div_fmas_f32 v11, v11, v28, v16
	global_load_dword v28, v[20:21], off
	v_div_fixup_f32 v11, v11, v0, 1.0
	v_mul_f32_e32 v11, v37, v11
	v_fma_f32 v15, v10, v11, 1.0
	v_div_scale_f32 v16, s[0:1], v15, v15, 1.0
	v_mul_f32_e32 v10, v10, v11
	v_rcp_f32_e32 v17, v16
	v_max_f32_e32 v29, 0x800000, v10
	v_mul_f32_e32 v47, 0x3f420c4a, v47
	v_cmp_gt_f32_e64 s[0:1], s14, v29
	v_fmamk_f32 v40, v40, 0x3e77ced9, v47
	v_ldexp_f32 v47, v50, v51
	v_cmp_ngt_f32_e64 s[2:3], s21, v49
	v_cndmask_b32_e64 v42, 0, 32, s[0:1]
	v_ldexp_f32 v29, v29, v42
	v_cndmask_b32_e64 v47, 0, v47, s[2:3]
	v_cmp_nlt_f32_e64 s[2:3], s16, v49
	v_fma_f32 v11, -v16, v17, 1.0
	v_log_f32_e32 v29, v29
	v_cndmask_b32_e64 v47, v30, v47, s[2:3]
	v_add_f32_e32 v40, v47, v40
	v_fmac_f32_e32 v17, v11, v17
	v_div_scale_f32 v11, vcc, 1.0, v15, 1.0
	v_max_f32_e32 v40, 0x800000, v40
	v_mul_f32_e32 v42, v11, v17
	v_cmp_gt_f32_e64 s[2:3], s14, v40
	v_fma_f32 v46, -v16, v42, v11
	v_fmac_f32_e32 v42, v46, v17
	v_cndmask_b32_e64 v47, 0, 32, s[2:3]
	v_mul_f32_e32 v46, 0x3e9a209a, v29
	v_ldexp_f32 v40, v40, v47
	v_fma_f32 v46, v29, s13, -v46
	v_log_f32_e32 v40, v40
	v_fmac_f32_e32 v46, 0x3284fbcf, v29
	v_fmac_f32_e32 v46, 0x3e9a209a, v29
	v_cmp_lt_f32_e64 s[4:5], |v29|, s15
	v_fma_f32 v11, -v16, v42, v11
	v_div_fmas_f32 v11, v11, v17, v42
	v_cndmask_b32_e64 v29, v29, v46, s[4:5]
	v_cndmask_b32_e64 v46, 0, v34, s[0:1]
	v_sub_f32_e32 v29, v29, v46
	v_mul_f32_e32 v46, 0x3e9a209a, v40
	v_fma_f32 v46, v40, s13, -v46
	v_fmac_f32_e32 v46, 0x3284fbcf, v40
	v_fmac_f32_e32 v46, 0x3e9a209a, v40
	v_cmp_lt_f32_e64 s[0:1], |v40|, s15
	v_div_fixup_f32 v11, v11, v15, 1.0
	v_mul_f32_e32 v10, v10, v11
	v_cndmask_b32_e64 v40, v40, v46, s[0:1]
	v_cndmask_b32_e64 v46, 0, v34, s[2:3]
	v_sub_f32_e32 v40, v40, v46
	v_fmamk_f32 v47, v40, 0x3f2b851f, v36
	v_fmamk_f32 v46, v40, 0xbfa28f5c, v31
	v_sub_f32_e32 v29, v29, v47
	v_fmac_f32_e32 v46, 0xbe0f5c29, v29
	v_div_scale_f32 v47, s[0:1], v46, v46, 1.0
	v_rcp_f32_e32 v48, v47
	v_mad_u64_u32 v[14:15], s[0:1], s12, 7, v[14:15]
	v_mov_b32_e32 v15, v1
	v_fma_f32 v16, -v47, v48, 1.0
	v_fmac_f32_e32 v48, v16, v48
	v_div_scale_f32 v16, vcc, 1.0, v46, 1.0
	v_mul_f32_e32 v17, v16, v48
	v_fma_f32 v42, -v47, v17, v16
	v_fmac_f32_e32 v17, v42, v48
	v_fma_f32 v16, -v47, v17, v16
	v_div_fmas_f32 v16, v16, v48, v17
	v_div_fixup_f32 v16, v16, v46, 1.0
	v_mul_f32_e32 v16, v29, v16
	v_fma_f32 v16, v16, v16, 1.0
	v_div_scale_f32 v17, s[0:1], v16, v16, 1.0
	v_rcp_f32_e32 v29, v17
	s_nop 0
	v_fma_f32 v42, -v17, v29, 1.0
	v_fmac_f32_e32 v29, v42, v29
	v_div_scale_f32 v42, vcc, 1.0, v16, 1.0
	v_mul_f32_e32 v46, v42, v29
	v_fma_f32 v47, -v17, v46, v42
	v_fmac_f32_e32 v46, v47, v29
	v_fma_f32 v17, -v17, v46, v42
	v_div_fmas_f32 v17, v17, v29, v46
	v_div_fixup_f32 v16, v17, v16, 1.0
	v_mul_f32_e32 v16, v40, v16
	v_mul_f32_e32 v17, 0x40549a78, v16
	v_fma_f32 v29, v16, s17, -v17
	v_rndne_f32_e32 v40, v17
	v_fmac_f32_e32 v29, 0x33979a37, v16
	v_sub_f32_e32 v17, v17, v40
	v_add_f32_e32 v17, v17, v29
	v_exp_f32_e32 v17, v17
	v_cvt_i32_f32_e32 v29, v40
	v_cmp_ngt_f32_e32 vcc, s18, v16
	s_waitcnt vmcnt(0)
	v_mul_f32_e32 v40, v28, v43
	global_store_dword v[20:21], v40, off
	v_ldexp_f32 v11, v17, v29
	v_cndmask_b32_e32 v11, 0, v11, vcc
	v_cmp_nlt_f32_e32 vcc, s19, v16
	v_lshl_add_u64 v[20:21], s[10:11], 0, v[22:23]
	v_mul_f32_e32 v29, 0xbc5d67c9, v35
	v_cndmask_b32_e32 v11, v30, v11, vcc
	v_mul_f32_e32 v28, v10, v11
	v_mul_f32_e32 v0, v0, v28
	v_lshlrev_b64 v[10:11], 2, v[14:15]
	global_store_dword v[26:27], v0, off
	v_lshl_add_u64 v[16:17], s[8:9], 0, v[10:11]
	global_load_dword v0, v[16:17], off
	global_load_dword v15, v[20:21], off
	v_mul_f32_e32 v40, 0x3fb8aa3b, v29
	v_fma_f32 v42, v29, s20, -v40
	v_rndne_f32_e32 v43, v40
	v_fmac_f32_e32 v42, 0x32a5705f, v29
	v_sub_f32_e32 v40, v40, v43
	v_add_f32_e32 v40, v40, v42
	v_exp_f32_e32 v40, v40
	v_cvt_i32_f32_e32 v42, v43
	v_cmp_ngt_f32_e64 s[2:3], s21, v29
	v_ldexp_f32 v40, v40, v42
	v_mul_f32_e32 v42, 0xb9b244c4, v35
	v_mul_f32_e32 v43, 0x3fb8aa3b, v42
	v_rndne_f32_e32 v46, v43
	v_cndmask_b32_e64 v40, 0, v40, s[2:3]
	v_cmp_nlt_f32_e64 s[2:3], s16, v29
	s_waitcnt vmcnt(1)
	v_div_scale_f32 v9, s[0:1], v0, v0, 1.0
	v_rcp_f32_e32 v22, v9
	s_waitcnt vmcnt(0)
	v_mul_f32_e32 v15, v15, v44
	global_store_dword v[20:21], v15, off
	v_fma_f32 v44, v42, s20, -v43
	v_fma_f32 v15, -v9, v22, 1.0
	v_fmac_f32_e32 v22, v15, v22
	v_div_scale_f32 v15, vcc, 1.0, v0, 1.0
	v_mul_f32_e32 v20, v15, v22
	v_fma_f32 v21, -v9, v20, v15
	v_fmac_f32_e32 v20, v21, v22
	v_fma_f32 v9, -v9, v20, v15
	v_div_fmas_f32 v9, v9, v22, v20
	global_load_dword v22, v[18:19], off
	v_fmac_f32_e32 v44, 0x32a5705f, v42
	v_sub_f32_e32 v43, v43, v46
	v_add_f32_e32 v43, v43, v44
	v_exp_f32_e32 v43, v43
	v_cvt_i32_f32_e32 v44, v46
	v_cndmask_b32_e64 v29, v30, v40, s[2:3]
	v_div_fixup_f32 v9, v9, v0, 1.0
	v_mul_f32_e32 v9, v37, v9
	v_ldexp_f32 v40, v43, v44
	v_mul_f32_e32 v43, 0xc5d9a000, v38
	v_mul_f32_e32 v44, 0x3fb8aa3b, v43
	v_fma_f32 v46, v43, s20, -v44
	v_rndne_f32_e32 v47, v44
	v_fmac_f32_e32 v46, 0x32a5705f, v43
	v_sub_f32_e32 v44, v44, v47
	v_add_f32_e32 v44, v44, v46
	v_cmp_ngt_f32_e64 s[2:3], s21, v42
	v_exp_f32_e32 v44, v44
	v_cvt_i32_f32_e32 v46, v47
	v_fma_f32 v15, v8, v9, 1.0
	v_cndmask_b32_e64 v40, 0, v40, s[2:3]
	v_cmp_nlt_f32_e64 s[2:3], s16, v42
	v_div_scale_f32 v20, s[0:1], v15, v15, 1.0
	v_mul_f32_e32 v8, v8, v9
	v_cndmask_b32_e64 v40, v30, v40, s[2:3]
	v_rcp_f32_e32 v21, v20
	v_max_f32_e32 v23, 0x800000, v8
	v_mul_f32_e32 v40, 0x3f4872b0, v40
	v_cmp_gt_f32_e64 s[0:1], s14, v23
	v_fmamk_f32 v29, v29, 0x3e5e353f, v40
	v_ldexp_f32 v40, v44, v46
	v_cmp_ngt_f32_e64 s[2:3], s21, v43
	v_cndmask_b32_e64 v26, 0, 32, s[0:1]
	v_ldexp_f32 v23, v23, v26
	v_cndmask_b32_e64 v40, 0, v40, s[2:3]
	v_cmp_nlt_f32_e64 s[2:3], s16, v43
	v_fma_f32 v9, -v20, v21, 1.0
	v_log_f32_e32 v23, v23
	v_cndmask_b32_e64 v40, v30, v40, s[2:3]
	v_add_f32_e32 v29, v40, v29
	v_fmac_f32_e32 v21, v9, v21
	v_div_scale_f32 v9, vcc, 1.0, v15, 1.0
	v_max_f32_e32 v29, 0x800000, v29
	v_mul_f32_e32 v26, v9, v21
	v_cmp_gt_f32_e64 s[2:3], s14, v29
	v_fma_f32 v27, -v20, v26, v9
	v_fmac_f32_e32 v26, v27, v21
	v_cndmask_b32_e64 v40, 0, 32, s[2:3]
	v_mul_f32_e32 v27, 0x3e9a209a, v23
	v_ldexp_f32 v29, v29, v40
	v_fma_f32 v27, v23, s13, -v27
	v_log_f32_e32 v29, v29
	v_fmac_f32_e32 v27, 0x3284fbcf, v23
	v_fmac_f32_e32 v27, 0x3e9a209a, v23
	v_cmp_lt_f32_e64 s[4:5], |v23|, s15
	v_fma_f32 v9, -v20, v26, v9
	v_div_fmas_f32 v9, v9, v21, v26
	v_cndmask_b32_e64 v23, v23, v27, s[4:5]
	v_cndmask_b32_e64 v27, 0, v34, s[0:1]
	v_sub_f32_e32 v23, v23, v27
	v_mul_f32_e32 v27, 0x3e9a209a, v29
	v_fma_f32 v27, v29, s13, -v27
	v_fmac_f32_e32 v27, 0x3284fbcf, v29
	v_fmac_f32_e32 v27, 0x3e9a209a, v29
	v_cmp_lt_f32_e64 s[0:1], |v29|, s15
	v_div_fixup_f32 v9, v9, v15, 1.0
	v_mul_f32_e32 v8, v8, v9
	v_cndmask_b32_e64 v27, v29, v27, s[0:1]
	v_cndmask_b32_e64 v29, 0, v34, s[2:3]
	v_sub_f32_e32 v27, v27, v29
	v_fmamk_f32 v40, v27, 0x3f2b851f, v36
	v_fmamk_f32 v29, v27, 0xbfa28f5c, v31
	v_sub_f32_e32 v23, v23, v40
	v_fmac_f32_e32 v29, 0xbe0f5c29, v23
	v_div_scale_f32 v40, s[0:1], v29, v29, 1.0
	v_rcp_f32_e32 v42, v40
	s_waitcnt vmcnt(0)
	v_mul_f32_e32 v22, v22, v45
	global_store_dword v[18:19], v22, off
	v_lshl_add_u64 v[18:19], s[10:11], 0, v[24:25]
	v_fma_f32 v20, -v40, v42, 1.0
	v_fmac_f32_e32 v42, v20, v42
	v_div_scale_f32 v20, vcc, 1.0, v29, 1.0
	v_mul_f32_e32 v21, v20, v42
	v_fma_f32 v26, -v40, v21, v20
	v_fmac_f32_e32 v21, v26, v42
	v_fma_f32 v20, -v40, v21, v20
	v_div_fmas_f32 v20, v20, v42, v21
	v_div_fixup_f32 v20, v20, v29, 1.0
	v_mul_f32_e32 v20, v23, v20
	v_fma_f32 v20, v20, v20, 1.0
	v_div_scale_f32 v21, s[0:1], v20, v20, 1.0
	v_rcp_f32_e32 v23, v21
	s_mul_i32 s0, s12, 0xffffffbb
	v_fma_f32 v26, -v21, v23, 1.0
	v_fmac_f32_e32 v23, v26, v23
	v_div_scale_f32 v26, vcc, 1.0, v20, 1.0
	v_mul_f32_e32 v29, v26, v23
	v_fma_f32 v40, -v21, v29, v26
	v_fmac_f32_e32 v29, v40, v23
	v_fma_f32 v21, -v21, v29, v26
	v_div_fmas_f32 v21, v21, v23, v29
	v_div_fixup_f32 v20, v21, v20, 1.0
	v_mul_f32_e32 v20, v27, v20
	v_mul_f32_e32 v21, 0x40549a78, v20
	v_fma_f32 v23, v20, s17, -v21
	v_rndne_f32_e32 v26, v21
	v_fmac_f32_e32 v23, 0x33979a37, v20
	v_sub_f32_e32 v21, v21, v26
	v_add_f32_e32 v21, v21, v23
	v_exp_f32_e32 v21, v21
	v_cvt_i32_f32_e32 v23, v26
	v_cmp_ngt_f32_e32 vcc, s18, v20
	v_mul_f32_e32 v27, 0xbd9c9f71, v35
	v_mul_f32_e32 v29, 0x3fb8aa3b, v27
	v_ldexp_f32 v9, v21, v23
	v_cndmask_b32_e32 v9, 0, v9, vcc
	v_cmp_nlt_f32_e32 vcc, s19, v20
	v_fma_f32 v40, v27, s20, -v29
	v_fmac_f32_e32 v40, 0x32a5705f, v27
	v_cndmask_b32_e32 v9, v30, v9, vcc
	v_mul_f32_e32 v20, v8, v9
	v_mul_f32_e32 v0, v0, v20
	global_store_dword v[16:17], v0, off
	v_add_u32_e32 v0, s0, v14
	s_mul_i32 s0, s12, 0x50
	v_lshl_add_u64 v[16:17], v[0:1], 2, s[6:7]
	v_add_u32_e32 v0, s0, v0
	v_lshlrev_b64 v[8:9], 2, v[0:1]
	v_lshl_add_u64 v[14:15], s[8:9], 0, v[8:9]
	global_load_dword v21, v[14:15], off
	global_load_dword v22, v[18:19], off
	;; [unrolled: 1-line block ×3, first 2 shown]
	v_cmp_ngt_f32_e64 s[2:3], s21, v27
	v_lshl_add_u32 v0, s12, 2, v0
	global_load_dword v4, v[4:5], off
	s_waitcnt vmcnt(2)
	v_mul_f32_e32 v22, v22, v41
	v_rndne_f32_e32 v41, v29
	v_sub_f32_e32 v29, v29, v41
	v_add_f32_e32 v29, v29, v40
	v_exp_f32_e32 v29, v29
	v_cvt_i32_f32_e32 v40, v41
	v_div_scale_f32 v16, s[0:1], v21, v21, 1.0
	v_rcp_f32_e32 v17, v16
	v_ldexp_f32 v29, v29, v40
	v_mul_f32_e32 v40, 0xb9fc4ddc, v35
	v_mul_f32_e32 v41, 0x3fb8aa3b, v40
	v_fma_f32 v42, v40, s20, -v41
	v_rndne_f32_e32 v43, v41
	v_fmac_f32_e32 v42, 0x32a5705f, v40
	v_sub_f32_e32 v41, v41, v43
	v_add_f32_e32 v41, v41, v42
	v_exp_f32_e32 v41, v41
	v_cvt_i32_f32_e32 v42, v43
	global_store_dword v[18:19], v22, off
	v_fma_f32 v18, -v16, v17, 1.0
	v_fmac_f32_e32 v17, v18, v17
	v_div_scale_f32 v18, vcc, 1.0, v21, 1.0
	v_mul_f32_e32 v19, v18, v17
	v_cndmask_b32_e64 v29, 0, v29, s[2:3]
	v_cmp_nlt_f32_e64 s[2:3], s16, v27
	v_fma_f32 v22, -v16, v19, v18
	v_fmac_f32_e32 v19, v22, v17
	v_cndmask_b32_e64 v27, v30, v29, s[2:3]
	v_ldexp_f32 v29, v41, v42
	v_mul_f32_e32 v41, 0xc59f2800, v38
	v_mul_f32_e32 v42, 0x3fb8aa3b, v41
	v_fma_f32 v16, -v16, v19, v18
	v_fma_f32 v43, v41, s20, -v42
	v_rndne_f32_e32 v44, v42
	v_div_fmas_f32 v16, v16, v17, v19
	v_fmac_f32_e32 v43, 0x32a5705f, v41
	v_sub_f32_e32 v42, v42, v44
	v_div_fixup_f32 v16, v16, v21, 1.0
	v_add_f32_e32 v42, v42, v43
	v_mul_f32_e32 v18, v37, v16
	v_cmp_ngt_f32_e64 s[2:3], s21, v40
	v_exp_f32_e32 v42, v42
	v_cvt_i32_f32_e32 v43, v44
	s_waitcnt vmcnt(2)
	v_fma_f32 v19, v23, v18, 1.0
	v_cndmask_b32_e64 v29, 0, v29, s[2:3]
	v_cmp_nlt_f32_e64 s[2:3], s16, v40
	v_div_scale_f32 v22, s[0:1], v19, v19, 1.0
	v_lshl_add_u64 v[16:17], s[10:11], 0, v[12:13]
	v_mul_f32_e32 v12, v23, v18
	v_cndmask_b32_e64 v29, v30, v29, s[2:3]
	v_rcp_f32_e32 v24, v22
	v_max_f32_e32 v18, 0x800000, v12
	v_mul_f32_e32 v29, 0x3f1e075f, v29
	v_cmp_gt_f32_e64 s[0:1], s14, v18
	v_fmamk_f32 v27, v27, 0x3ec3f141, v29
	v_ldexp_f32 v29, v42, v43
	v_cmp_ngt_f32_e64 s[2:3], s21, v41
	v_cndmask_b32_e64 v23, 0, 32, s[0:1]
	v_ldexp_f32 v18, v18, v23
	v_cndmask_b32_e64 v29, 0, v29, s[2:3]
	v_cmp_nlt_f32_e64 s[2:3], s16, v41
	global_load_dword v25, v[16:17], off
	v_fma_f32 v13, -v22, v24, 1.0
	v_cndmask_b32_e64 v29, v30, v29, s[2:3]
	v_log_f32_e32 v18, v18
	v_add_f32_e32 v27, v29, v27
	v_fmac_f32_e32 v24, v13, v24
	v_div_scale_f32 v13, vcc, 1.0, v19, 1.0
	v_max_f32_e32 v27, 0x800000, v27
	v_mul_f32_e32 v23, v13, v24
	v_cmp_gt_f32_e64 s[2:3], s14, v27
	v_fma_f32 v26, -v22, v23, v13
	v_fmac_f32_e32 v23, v26, v24
	v_cndmask_b32_e64 v29, 0, 32, s[2:3]
	v_mul_f32_e32 v26, 0x3e9a209a, v18
	v_ldexp_f32 v27, v27, v29
	v_fma_f32 v26, v18, s13, -v26
	v_log_f32_e32 v27, v27
	v_fmac_f32_e32 v26, 0x3284fbcf, v18
	v_fmac_f32_e32 v26, 0x3e9a209a, v18
	v_cmp_lt_f32_e64 s[4:5], |v18|, s15
	v_fma_f32 v13, -v22, v23, v13
	v_div_fmas_f32 v13, v13, v24, v23
	v_cndmask_b32_e64 v18, v18, v26, s[4:5]
	v_cndmask_b32_e64 v26, 0, v34, s[0:1]
	v_sub_f32_e32 v18, v18, v26
	v_mul_f32_e32 v26, 0x3e9a209a, v27
	v_fma_f32 v26, v27, s13, -v26
	v_fmac_f32_e32 v26, 0x3284fbcf, v27
	v_fmac_f32_e32 v26, 0x3e9a209a, v27
	v_cmp_lt_f32_e64 s[0:1], |v27|, s15
	v_div_fixup_f32 v13, v13, v19, 1.0
	v_mul_f32_e32 v12, v12, v13
	v_cndmask_b32_e64 v26, v27, v26, s[0:1]
	v_cndmask_b32_e64 v27, 0, v34, s[2:3]
	v_sub_f32_e32 v26, v26, v27
	v_fmamk_f32 v29, v26, 0x3f2b851f, v36
	v_fmamk_f32 v27, v26, 0xbfa28f5c, v31
	v_sub_f32_e32 v18, v18, v29
	v_fmac_f32_e32 v27, 0xbe0f5c29, v18
	v_div_scale_f32 v29, s[0:1], v27, v27, 1.0
	v_rcp_f32_e32 v40, v29
	s_nop 0
	v_fma_f32 v22, -v29, v40, 1.0
	v_fmac_f32_e32 v40, v22, v40
	v_div_scale_f32 v22, vcc, 1.0, v27, 1.0
	v_mul_f32_e32 v23, v22, v40
	v_fma_f32 v24, -v29, v23, v22
	v_fmac_f32_e32 v23, v24, v40
	v_fma_f32 v22, -v29, v23, v22
	v_div_fmas_f32 v22, v22, v40, v23
	v_div_fixup_f32 v22, v22, v27, 1.0
	v_mul_f32_e32 v18, v18, v22
	v_fma_f32 v18, v18, v18, 1.0
	v_div_scale_f32 v22, s[0:1], v18, v18, 1.0
	v_rcp_f32_e32 v23, v22
	s_nop 0
	v_fma_f32 v24, -v22, v23, 1.0
	v_fmac_f32_e32 v23, v24, v23
	v_div_scale_f32 v24, vcc, 1.0, v18, 1.0
	v_mul_f32_e32 v27, v24, v23
	v_fma_f32 v29, -v22, v27, v24
	v_fmac_f32_e32 v27, v29, v23
	v_fma_f32 v22, -v22, v27, v24
	v_div_fmas_f32 v22, v22, v23, v27
	v_div_fixup_f32 v18, v22, v18, 1.0
	v_mul_f32_e32 v18, v26, v18
	v_mul_f32_e32 v22, 0x40549a78, v18
	v_fma_f32 v23, v18, s17, -v22
	v_rndne_f32_e32 v24, v22
	v_fmac_f32_e32 v23, 0x33979a37, v18
	v_sub_f32_e32 v22, v22, v24
	v_add_f32_e32 v22, v22, v23
	v_exp_f32_e32 v22, v22
	v_cvt_i32_f32_e32 v23, v24
	v_cmp_ngt_f32_e32 vcc, s18, v18
	v_ldexp_f32 v13, v22, v23
	s_nop 0
	v_cndmask_b32_e32 v13, 0, v13, vcc
	v_cmp_nlt_f32_e32 vcc, s19, v18
	s_nop 1
	v_cndmask_b32_e32 v13, v30, v13, vcc
	v_mul_f32_e32 v18, v12, v13
	v_mul_f32_e32 v12, v21, v18
	global_store_dword v[14:15], v12, off
	v_lshlrev_b64 v[12:13], 2, v[0:1]
	v_lshl_add_u64 v[14:15], s[8:9], 0, v[12:13]
	global_load_dword v19, v[14:15], off
	global_load_dword v21, v[6:7], off
	s_waitcnt vmcnt(3)
	v_mul_f32_e32 v6, v25, v28
	global_store_dword v[16:17], v6, off
	v_lshl_add_u64 v[6:7], s[10:11], 0, v[10:11]
	global_load_dword v10, v[6:7], off
	v_mul_f32_e32 v25, 0xbbd901b2, v35
	v_mul_f32_e32 v26, 0x3fb8aa3b, v25
	v_fma_f32 v27, v25, s20, -v26
	v_rndne_f32_e32 v28, v26
	v_fmac_f32_e32 v27, 0x32a5705f, v25
	v_sub_f32_e32 v26, v26, v28
	v_add_f32_e32 v26, v26, v27
	v_exp_f32_e32 v26, v26
	v_cvt_i32_f32_e32 v27, v28
	v_cmp_ngt_f32_e64 s[2:3], s21, v25
	v_lshl_add_u64 v[12:13], s[10:11], 0, v[12:13]
	v_ldexp_f32 v26, v26, v27
	v_mul_f32_e32 v27, 0xba7c8c16, v35
	v_mul_f32_e32 v28, 0x3fb8aa3b, v27
	v_fma_f32 v29, v27, s20, -v28
	v_rndne_f32_e32 v40, v28
	v_fmac_f32_e32 v29, 0x32a5705f, v27
	v_sub_f32_e32 v28, v28, v40
	v_add_f32_e32 v28, v28, v29
	v_exp_f32_e32 v28, v28
	v_cvt_i32_f32_e32 v29, v40
	v_cndmask_b32_e64 v26, 0, v26, s[2:3]
	v_cmp_nlt_f32_e64 s[2:3], s16, v25
	s_waitcnt vmcnt(3)
	v_div_scale_f32 v11, s[0:1], v19, v19, 1.0
	v_rcp_f32_e32 v16, v11
	v_cndmask_b32_e64 v25, v30, v26, s[2:3]
	v_ldexp_f32 v26, v28, v29
	v_mul_f32_e32 v28, 0xc59b5000, v38
	v_fma_f32 v17, -v11, v16, 1.0
	v_fmac_f32_e32 v16, v17, v16
	v_div_scale_f32 v17, vcc, 1.0, v19, 1.0
	v_mul_f32_e32 v22, v17, v16
	v_fma_f32 v23, -v11, v22, v17
	v_fmac_f32_e32 v22, v23, v16
	v_mul_f32_e32 v29, 0x3fb8aa3b, v28
	v_fma_f32 v11, -v11, v22, v17
	v_fma_f32 v40, v28, s20, -v29
	v_rndne_f32_e32 v41, v29
	v_div_fmas_f32 v11, v11, v16, v22
	v_fmac_f32_e32 v40, 0x32a5705f, v28
	v_sub_f32_e32 v29, v29, v41
	v_div_fixup_f32 v11, v11, v19, 1.0
	v_add_f32_e32 v29, v29, v40
	v_mul_f32_e32 v11, v37, v11
	v_cmp_ngt_f32_e64 s[2:3], s21, v27
	v_exp_f32_e32 v29, v29
	v_cvt_i32_f32_e32 v40, v41
	s_waitcnt vmcnt(2)
	v_fma_f32 v16, v21, v11, 1.0
	v_cndmask_b32_e64 v26, 0, v26, s[2:3]
	v_cmp_nlt_f32_e64 s[2:3], s16, v27
	v_div_scale_f32 v17, s[0:1], v16, v16, 1.0
	v_mul_f32_e32 v11, v21, v11
	v_cndmask_b32_e64 v26, v30, v26, s[2:3]
	v_rcp_f32_e32 v22, v17
	v_max_f32_e32 v21, 0x800000, v11
	v_mul_f32_e32 v26, 0x3f0851ec, v26
	v_cmp_gt_f32_e64 s[0:1], s14, v21
	v_fmamk_f32 v25, v25, 0x3eef5c29, v26
	v_ldexp_f32 v26, v29, v40
	v_cmp_ngt_f32_e64 s[2:3], s21, v28
	v_cndmask_b32_e64 v23, 0, 32, s[0:1]
	v_ldexp_f32 v21, v21, v23
	v_cndmask_b32_e64 v26, 0, v26, s[2:3]
	v_cmp_nlt_f32_e64 s[2:3], s16, v28
	s_waitcnt vmcnt(0)
	v_mul_f32_e32 v10, v10, v20
	v_fma_f32 v20, -v17, v22, 1.0
	v_cndmask_b32_e64 v26, v30, v26, s[2:3]
	v_log_f32_e32 v21, v21
	v_add_f32_e32 v25, v26, v25
	v_fmac_f32_e32 v22, v20, v22
	v_div_scale_f32 v20, vcc, 1.0, v16, 1.0
	v_max_f32_e32 v25, 0x800000, v25
	v_mul_f32_e32 v23, v20, v22
	v_cmp_gt_f32_e64 s[2:3], s14, v25
	v_fma_f32 v24, -v17, v23, v20
	v_fmac_f32_e32 v23, v24, v22
	v_cndmask_b32_e64 v26, 0, 32, s[2:3]
	v_mul_f32_e32 v24, 0x3e9a209a, v21
	v_ldexp_f32 v25, v25, v26
	v_fma_f32 v24, v21, s13, -v24
	v_log_f32_e32 v25, v25
	v_fmac_f32_e32 v24, 0x3284fbcf, v21
	v_fmac_f32_e32 v24, 0x3e9a209a, v21
	v_cmp_lt_f32_e64 s[4:5], |v21|, s15
	v_fma_f32 v17, -v17, v23, v20
	v_div_fmas_f32 v17, v17, v22, v23
	v_cndmask_b32_e64 v21, v21, v24, s[4:5]
	v_cndmask_b32_e64 v24, 0, v34, s[0:1]
	v_sub_f32_e32 v21, v21, v24
	v_mul_f32_e32 v24, 0x3e9a209a, v25
	v_fma_f32 v24, v25, s13, -v24
	v_fmac_f32_e32 v24, 0x3284fbcf, v25
	v_fmac_f32_e32 v24, 0x3e9a209a, v25
	v_cmp_lt_f32_e64 s[0:1], |v25|, s15
	global_store_dword v[6:7], v10, off
	v_lshl_add_u64 v[6:7], s[10:11], 0, v[8:9]
	v_cndmask_b32_e64 v24, v25, v24, s[0:1]
	v_cndmask_b32_e64 v25, 0, v34, s[2:3]
	v_sub_f32_e32 v24, v24, v25
	v_fmamk_f32 v26, v24, 0x3f2b851f, v36
	v_fmamk_f32 v25, v24, 0xbfa28f5c, v31
	v_sub_f32_e32 v21, v21, v26
	v_fmac_f32_e32 v25, 0xbe0f5c29, v21
	v_div_scale_f32 v26, s[0:1], v25, v25, 1.0
	v_rcp_f32_e32 v27, v26
	v_div_fixup_f32 v16, v17, v16, 1.0
	v_mul_f32_e32 v11, v11, v16
	v_fma_f32 v20, -v26, v27, 1.0
	v_fmac_f32_e32 v27, v20, v27
	v_div_scale_f32 v20, vcc, 1.0, v25, 1.0
	v_mul_f32_e32 v22, v20, v27
	v_fma_f32 v23, -v26, v22, v20
	v_fmac_f32_e32 v22, v23, v27
	v_fma_f32 v20, -v26, v22, v20
	v_div_fmas_f32 v20, v20, v27, v22
	v_div_fixup_f32 v20, v20, v25, 1.0
	v_mul_f32_e32 v20, v21, v20
	v_fma_f32 v20, v20, v20, 1.0
	global_load_dword v23, v[6:7], off
	v_div_scale_f32 v21, s[0:1], v20, v20, 1.0
	v_rcp_f32_e32 v22, v21
	s_waitcnt vmcnt(0)
	v_mul_f32_e32 v5, v23, v18
	v_fma_f32 v8, -v21, v22, 1.0
	v_fmac_f32_e32 v22, v8, v22
	v_div_scale_f32 v8, vcc, 1.0, v20, 1.0
	v_mul_f32_e32 v9, v8, v22
	v_fma_f32 v10, -v21, v9, v8
	v_fmac_f32_e32 v9, v10, v22
	v_fma_f32 v8, -v21, v9, v8
	v_div_fmas_f32 v8, v8, v22, v9
	v_div_fixup_f32 v8, v8, v20, 1.0
	v_mul_f32_e32 v8, v24, v8
	v_mul_f32_e32 v9, 0x40549a78, v8
	v_fma_f32 v10, v8, s17, -v9
	v_rndne_f32_e32 v20, v9
	v_fmac_f32_e32 v10, 0x33979a37, v8
	v_sub_f32_e32 v9, v9, v20
	v_add_f32_e32 v9, v9, v10
	v_exp_f32_e32 v9, v9
	v_cvt_i32_f32_e32 v10, v20
	v_cmp_ngt_f32_e32 vcc, s18, v8
	global_store_dword v[6:7], v5, off
	global_load_dword v7, v[12:13], off
	v_ldexp_f32 v9, v9, v10
	v_cndmask_b32_e32 v9, 0, v9, vcc
	v_cmp_nlt_f32_e32 vcc, s19, v8
	s_nop 1
	v_cndmask_b32_e32 v8, v30, v9, vcc
	v_mul_f32_e32 v16, v11, v8
	v_mul_f32_e32 v8, v19, v16
	global_store_dword v[14:15], v8, off
	v_mad_u64_u32 v[8:9], s[0:1], s12, 21, v[0:1]
	v_mov_b32_e32 v9, v1
	v_lshlrev_b64 v[10:11], 2, v[8:9]
	v_lshl_add_u64 v[14:15], s[8:9], 0, v[10:11]
	global_load_dword v0, v[14:15], off
	s_waitcnt vmcnt(0)
	v_div_scale_f32 v5, s[0:1], v0, v0, 1.0
	v_rcp_f32_e32 v6, v5
	s_nop 0
	v_fma_f32 v9, -v5, v6, 1.0
	v_fmac_f32_e32 v6, v9, v6
	v_div_scale_f32 v9, vcc, 1.0, v0, 1.0
	v_mul_f32_e32 v17, v9, v6
	v_fma_f32 v18, -v5, v17, v9
	v_fmac_f32_e32 v17, v18, v6
	v_fma_f32 v5, -v5, v17, v9
	v_div_fmas_f32 v5, v5, v6, v17
	v_div_fixup_f32 v5, v5, v0, 1.0
	v_mul_f32_e32 v5, v39, v5
	v_fma_f32 v6, v4, v5, 1.0
	v_div_scale_f32 v9, s[0:1], v6, v6, 1.0
	v_rcp_f32_e32 v17, v9
	v_mul_f32_e32 v4, v4, v5
	v_fma_f32 v5, -v9, v17, 1.0
	v_fmac_f32_e32 v17, v5, v17
	v_div_scale_f32 v5, vcc, 1.0, v6, 1.0
	v_mul_f32_e32 v18, v5, v17
	v_fma_f32 v19, -v9, v18, v5
	v_fmac_f32_e32 v18, v19, v17
	v_fma_f32 v5, -v9, v18, v5
	v_div_fmas_f32 v5, v5, v17, v18
	v_div_fixup_f32 v5, v5, v6, 1.0
	v_mul_f32_e32 v9, v4, v5
	v_mul_f32_e32 v0, v0, v9
	global_store_dword v[14:15], v0, off
	v_add_u32_e32 v0, s12, v8
	v_lshlrev_b64 v[4:5], 2, v[0:1]
	v_lshl_add_u64 v[0:1], s[8:9], 0, v[4:5]
	global_load_dword v6, v[0:1], off
	global_load_dword v8, v[2:3], off
	v_mul_f32_e32 v2, v7, v16
	global_store_dword v[12:13], v2, off
	v_lshl_add_u64 v[2:3], s[10:11], 0, v[10:11]
	global_load_dword v7, v[2:3], off
	s_waitcnt vmcnt(3)
	v_div_scale_f32 v10, s[0:1], v6, v6, 1.0
	v_rcp_f32_e32 v11, v10
	s_waitcnt vmcnt(0)
	v_mul_f32_e32 v7, v7, v9
	v_fma_f32 v12, -v10, v11, 1.0
	v_fmac_f32_e32 v11, v12, v11
	v_div_scale_f32 v12, vcc, 1.0, v6, 1.0
	v_mul_f32_e32 v13, v12, v11
	v_fma_f32 v14, -v10, v13, v12
	v_fmac_f32_e32 v13, v14, v11
	v_fma_f32 v10, -v10, v13, v12
	v_div_fmas_f32 v10, v10, v11, v13
	v_div_fixup_f32 v10, v10, v6, 1.0
	v_mul_f32_e32 v10, v37, v10
	v_fma_f32 v11, v8, v10, 1.0
	v_div_scale_f32 v12, s[0:1], v11, v11, 1.0
	v_rcp_f32_e32 v13, v12
	global_store_dword v[2:3], v7, off
	v_mul_f32_e32 v7, v8, v10
	v_div_scale_f32 v8, vcc, 1.0, v11, 1.0
	v_fma_f32 v2, -v12, v13, 1.0
	v_fmac_f32_e32 v13, v2, v13
	v_max_f32_e32 v2, 0x800000, v7
	v_cmp_gt_f32_e64 s[0:1], s14, v2
	v_mul_f32_e32 v10, v8, v13
	s_nop 0
	v_cndmask_b32_e64 v3, 0, 32, s[0:1]
	v_ldexp_f32 v2, v2, v3
	v_mul_f32_e32 v3, 0xb942c4c6, v35
	v_mul_f32_e32 v14, 0x3fb8aa3b, v3
	v_fma_f32 v15, v3, s20, -v14
	v_rndne_f32_e32 v16, v14
	v_fmac_f32_e32 v15, 0x32a5705f, v3
	v_sub_f32_e32 v14, v14, v16
	v_log_f32_e32 v9, v2
	v_add_f32_e32 v14, v14, v15
	v_exp_f32_e32 v14, v14
	v_cvt_i32_f32_e32 v15, v16
	v_fma_f32 v2, -v12, v10, v8
	v_fmac_f32_e32 v10, v2, v13
	v_mul_f32_e32 v2, 0x3e9a209a, v9
	v_fma_f32 v16, v9, s13, -v2
	v_ldexp_f32 v2, v14, v15
	v_mul_f32_e32 v14, 0xbe6e8448, v35
	v_mul_f32_e32 v15, 0x3fb8aa3b, v14
	v_fma_f32 v17, v14, s20, -v15
	v_rndne_f32_e32 v18, v15
	v_fmac_f32_e32 v17, 0x32a5705f, v14
	v_sub_f32_e32 v15, v15, v18
	v_add_f32_e32 v15, v15, v17
	v_exp_f32_e32 v15, v15
	v_cvt_i32_f32_e32 v17, v18
	v_cmp_ngt_f32_e64 s[2:3], s21, v3
	v_fmac_f32_e32 v16, 0x3284fbcf, v9
	v_fmac_f32_e32 v16, 0x3e9a209a, v9
	v_cndmask_b32_e64 v2, 0, v2, s[2:3]
	v_cmp_nlt_f32_e64 s[2:3], s16, v3
	v_ldexp_f32 v3, v15, v17
	v_mul_f32_e32 v15, 0x3da2d0e5, v38
	v_mul_f32_e32 v17, 0x3fb8aa3b, v15
	v_fma_f32 v18, v15, s20, -v17
	v_rndne_f32_e32 v19, v17
	v_fmac_f32_e32 v18, 0x32a5705f, v15
	v_sub_f32_e32 v17, v17, v19
	v_add_f32_e32 v17, v17, v18
	v_exp_f32_e32 v17, v17
	v_cvt_i32_f32_e32 v18, v19
	v_cndmask_b32_e64 v2, v30, v2, s[2:3]
	v_cmp_ngt_f32_e64 s[2:3], s21, v14
	v_mul_f32_e32 v2, 0xbf7b4a23, v2
	v_cmp_lt_f32_e64 s[4:5], |v9|, s15
	v_cndmask_b32_e64 v3, 0, v3, s[2:3]
	v_cmp_nlt_f32_e64 s[2:3], s16, v14
	v_cndmask_b32_e64 v9, v9, v16, s[4:5]
	v_fma_f32 v8, -v12, v10, v8
	v_cndmask_b32_e64 v3, v30, v3, s[2:3]
	v_fmamk_f32 v14, v3, 0x3ffda512, v2
	v_ldexp_f32 v2, v17, v18
	v_cmp_ngt_f32_e64 s[2:3], s21, v15
	v_div_fmas_f32 v8, v8, v13, v10
	v_div_fixup_f32 v8, v8, v11, 1.0
	v_cndmask_b32_e64 v17, 0, v2, s[2:3]
	v_lshl_add_u64 v[2:3], s[10:11], 0, v[4:5]
	global_load_dword v4, v[2:3], off
	v_cmp_nlt_f32_e64 s[2:3], s16, v15
	v_mul_f32_e32 v7, v7, v8
	s_nop 0
	v_cndmask_b32_e64 v5, v30, v17, s[2:3]
	v_add_f32_e32 v5, v5, v14
	v_max_f32_e32 v5, 0x800000, v5
	v_cmp_gt_f32_e64 s[2:3], s14, v5
	s_nop 1
	v_cndmask_b32_e64 v14, 0, 32, s[2:3]
	v_ldexp_f32 v5, v5, v14
	v_log_f32_e32 v5, v5
	v_cndmask_b32_e64 v14, 0, v34, s[0:1]
	v_sub_f32_e32 v9, v9, v14
	v_mul_f32_e32 v14, 0x3e9a209a, v5
	v_fma_f32 v14, v5, s13, -v14
	v_fmac_f32_e32 v14, 0x3284fbcf, v5
	v_fmac_f32_e32 v14, 0x3e9a209a, v5
	v_cmp_lt_f32_e64 s[0:1], |v5|, s15
	s_nop 1
	v_cndmask_b32_e64 v5, v5, v14, s[0:1]
	v_cndmask_b32_e64 v14, 0, v34, s[2:3]
	v_sub_f32_e32 v5, v5, v14
	v_fmac_f32_e32 v36, 0x3f2b851f, v5
	v_fmac_f32_e32 v31, 0xbfa28f5c, v5
	v_sub_f32_e32 v9, v9, v36
	v_fmac_f32_e32 v31, 0xbe0f5c29, v9
	v_div_scale_f32 v14, s[0:1], v31, v31, 1.0
	v_rcp_f32_e32 v15, v14
	s_nop 0
	v_fma_f32 v10, -v14, v15, 1.0
	v_fmac_f32_e32 v15, v10, v15
	v_div_scale_f32 v10, vcc, 1.0, v31, 1.0
	v_mul_f32_e32 v12, v10, v15
	v_fma_f32 v13, -v14, v12, v10
	v_fmac_f32_e32 v12, v13, v15
	v_fma_f32 v10, -v14, v12, v10
	v_div_fmas_f32 v10, v10, v15, v12
	v_div_fixup_f32 v10, v10, v31, 1.0
	v_mul_f32_e32 v9, v9, v10
	v_fma_f32 v9, v9, v9, 1.0
	v_div_scale_f32 v10, s[0:1], v9, v9, 1.0
	v_rcp_f32_e32 v12, v10
	s_nop 0
	v_fma_f32 v13, -v10, v12, 1.0
	v_fmac_f32_e32 v12, v13, v12
	v_div_scale_f32 v13, vcc, 1.0, v9, 1.0
	v_mul_f32_e32 v14, v13, v12
	v_fma_f32 v15, -v10, v14, v13
	v_fmac_f32_e32 v14, v15, v12
	v_fma_f32 v10, -v10, v14, v13
	v_div_fmas_f32 v10, v10, v12, v14
	v_div_fixup_f32 v9, v10, v9, 1.0
	v_mul_f32_e32 v5, v5, v9
	v_mul_f32_e32 v9, 0x40549a78, v5
	v_fma_f32 v10, v5, s17, -v9
	v_rndne_f32_e32 v12, v9
	v_fmac_f32_e32 v10, 0x33979a37, v5
	v_sub_f32_e32 v9, v9, v12
	v_add_f32_e32 v9, v9, v10
	v_exp_f32_e32 v9, v9
	v_cvt_i32_f32_e32 v10, v12
	v_cmp_ngt_f32_e32 vcc, s18, v5
	v_ldexp_f32 v8, v9, v10
	s_nop 0
	v_cndmask_b32_e32 v8, 0, v8, vcc
	v_cmp_nlt_f32_e32 vcc, s19, v5
	s_nop 1
	v_cndmask_b32_e32 v5, v30, v8, vcc
	v_mul_f32_e32 v5, v7, v5
	v_mul_f32_e32 v6, v6, v5
	global_store_dword v[0:1], v6, off
	s_waitcnt vmcnt(1)
	v_mul_f32_e32 v0, v4, v5
	global_store_dword v[2:3], v0, off
	s_endpgm
	.section	.rodata,"a",@progbits
	.p2align	6, 0x0
	.amdhsa_kernel _Z11ratx_kernelIfEvPKT_S2_PS0_S3_S2_S0_
		.amdhsa_group_segment_fixed_size 0
		.amdhsa_private_segment_fixed_size 0
		.amdhsa_kernarg_size 304
		.amdhsa_user_sgpr_count 2
		.amdhsa_user_sgpr_dispatch_ptr 0
		.amdhsa_user_sgpr_queue_ptr 0
		.amdhsa_user_sgpr_kernarg_segment_ptr 1
		.amdhsa_user_sgpr_dispatch_id 0
		.amdhsa_user_sgpr_kernarg_preload_length 0
		.amdhsa_user_sgpr_kernarg_preload_offset 0
		.amdhsa_user_sgpr_private_segment_size 0
		.amdhsa_uses_dynamic_stack 0
		.amdhsa_enable_private_segment 0
		.amdhsa_system_sgpr_workgroup_id_x 1
		.amdhsa_system_sgpr_workgroup_id_y 0
		.amdhsa_system_sgpr_workgroup_id_z 0
		.amdhsa_system_sgpr_workgroup_info 0
		.amdhsa_system_vgpr_workitem_id 0
		.amdhsa_next_free_vgpr 59
		.amdhsa_next_free_sgpr 22
		.amdhsa_accum_offset 60
		.amdhsa_reserve_vcc 1
		.amdhsa_float_round_mode_32 0
		.amdhsa_float_round_mode_16_64 0
		.amdhsa_float_denorm_mode_32 3
		.amdhsa_float_denorm_mode_16_64 3
		.amdhsa_dx10_clamp 1
		.amdhsa_ieee_mode 1
		.amdhsa_fp16_overflow 0
		.amdhsa_tg_split 0
		.amdhsa_exception_fp_ieee_invalid_op 0
		.amdhsa_exception_fp_denorm_src 0
		.amdhsa_exception_fp_ieee_div_zero 0
		.amdhsa_exception_fp_ieee_overflow 0
		.amdhsa_exception_fp_ieee_underflow 0
		.amdhsa_exception_fp_ieee_inexact 0
		.amdhsa_exception_int_div_zero 0
	.end_amdhsa_kernel
	.section	.text._Z11ratx_kernelIfEvPKT_S2_PS0_S3_S2_S0_,"axG",@progbits,_Z11ratx_kernelIfEvPKT_S2_PS0_S3_S2_S0_,comdat
.Lfunc_end12:
	.size	_Z11ratx_kernelIfEvPKT_S2_PS0_S3_S2_S0_, .Lfunc_end12-_Z11ratx_kernelIfEvPKT_S2_PS0_S3_S2_S0_
                                        ; -- End function
	.set _Z11ratx_kernelIfEvPKT_S2_PS0_S3_S2_S0_.num_vgpr, 59
	.set _Z11ratx_kernelIfEvPKT_S2_PS0_S3_S2_S0_.num_agpr, 0
	.set _Z11ratx_kernelIfEvPKT_S2_PS0_S3_S2_S0_.numbered_sgpr, 22
	.set _Z11ratx_kernelIfEvPKT_S2_PS0_S3_S2_S0_.num_named_barrier, 0
	.set _Z11ratx_kernelIfEvPKT_S2_PS0_S3_S2_S0_.private_seg_size, 0
	.set _Z11ratx_kernelIfEvPKT_S2_PS0_S3_S2_S0_.uses_vcc, 1
	.set _Z11ratx_kernelIfEvPKT_S2_PS0_S3_S2_S0_.uses_flat_scratch, 0
	.set _Z11ratx_kernelIfEvPKT_S2_PS0_S3_S2_S0_.has_dyn_sized_stack, 0
	.set _Z11ratx_kernelIfEvPKT_S2_PS0_S3_S2_S0_.has_recursion, 0
	.set _Z11ratx_kernelIfEvPKT_S2_PS0_S3_S2_S0_.has_indirect_call, 0
	.section	.AMDGPU.csdata,"",@progbits
; Kernel info:
; codeLenInByte = 12380
; TotalNumSgprs: 28
; NumVgprs: 59
; NumAgprs: 0
; TotalNumVgprs: 59
; ScratchSize: 0
; MemoryBound: 0
; FloatMode: 240
; IeeeMode: 1
; LDSByteSize: 0 bytes/workgroup (compile time only)
; SGPRBlocks: 3
; VGPRBlocks: 7
; NumSGPRsForWavesPerEU: 28
; NumVGPRsForWavesPerEU: 59
; AccumOffset: 60
; Occupancy: 8
; WaveLimiterHint : 0
; COMPUTE_PGM_RSRC2:SCRATCH_EN: 0
; COMPUTE_PGM_RSRC2:USER_SGPR: 2
; COMPUTE_PGM_RSRC2:TRAP_HANDLER: 0
; COMPUTE_PGM_RSRC2:TGID_X_EN: 1
; COMPUTE_PGM_RSRC2:TGID_Y_EN: 0
; COMPUTE_PGM_RSRC2:TGID_Z_EN: 0
; COMPUTE_PGM_RSRC2:TIDIG_COMP_CNT: 0
; COMPUTE_PGM_RSRC3_GFX90A:ACCUM_OFFSET: 14
; COMPUTE_PGM_RSRC3_GFX90A:TG_SPLIT: 0
	.section	.text._Z12ratxb_kernelIfEvPKT_S2_PS0_S3_S2_S0_,"axG",@progbits,_Z12ratxb_kernelIfEvPKT_S2_PS0_S3_S2_S0_,comdat
	.protected	_Z12ratxb_kernelIfEvPKT_S2_PS0_S3_S2_S0_ ; -- Begin function _Z12ratxb_kernelIfEvPKT_S2_PS0_S3_S2_S0_
	.globl	_Z12ratxb_kernelIfEvPKT_S2_PS0_S3_S2_S0_
	.p2align	8
	.type	_Z12ratxb_kernelIfEvPKT_S2_PS0_S3_S2_S0_,@function
_Z12ratxb_kernelIfEvPKT_S2_PS0_S3_S2_S0_: ; @_Z12ratxb_kernelIfEvPKT_S2_PS0_S3_S2_S0_
; %bb.0:
	s_load_dword s3, s[0:1], 0x3c
	s_load_dword s13, s[0:1], 0x30
	s_load_dwordx8 s[4:11], s[0:1], 0x0
	v_mov_b32_e32 v1, 0
	s_mov_b32 s19, 0x3fb8aa3b
	s_waitcnt lgkmcnt(0)
	s_and_b32 s3, s3, 0xffff
	s_mul_i32 s2, s2, s3
	v_add_u32_e32 v0, s2, v0
	s_mul_i32 s13, s13, s3
	v_lshlrev_b64 v[14:15], 2, v[0:1]
	v_add_u32_e32 v0, s13, v0
	v_lshl_add_u64 v[2:3], s[6:7], 0, v[14:15]
	v_lshl_add_u64 v[4:5], v[0:1], 2, s[6:7]
	v_add_u32_e32 v0, s13, v0
	v_lshl_add_u64 v[6:7], v[0:1], 2, s[6:7]
	global_load_dword v34, v[2:3], off
	global_load_dword v40, v[4:5], off
	;; [unrolled: 1-line block ×3, first 2 shown]
	v_add_u32_e32 v0, s13, v0
	v_lshl_add_u64 v[2:3], v[0:1], 2, s[6:7]
	v_add_u32_e32 v0, s13, v0
	v_lshl_add_u64 v[4:5], v[0:1], 2, s[6:7]
	;; [unrolled: 2-line block ×4, first 2 shown]
	v_add_u32_e32 v0, s13, v0
	global_load_dword v35, v[2:3], off
	global_load_dword v37, v[4:5], off
	;; [unrolled: 1-line block ×4, first 2 shown]
	v_lshl_add_u64 v[2:3], v[0:1], 2, s[6:7]
	v_add_u32_e32 v0, s13, v0
	v_lshl_add_u64 v[4:5], v[0:1], 2, s[6:7]
	v_add_u32_e32 v0, s13, v0
	v_lshlrev_b64 v[22:23], 2, v[0:1]
	v_add_u32_e32 v0, s13, v0
	v_lshlrev_b64 v[18:19], 2, v[0:1]
	;; [unrolled: 2-line block ×5, first 2 shown]
	v_add_u32_e32 v0, s13, v0
	v_lshl_add_u64 v[6:7], s[6:7], 0, v[22:23]
	v_lshl_add_u64 v[28:29], s[6:7], 0, v[18:19]
	;; [unrolled: 1-line block ×5, first 2 shown]
	v_lshlrev_b64 v[12:13], 2, v[0:1]
	v_add_u32_e32 v0, s13, v0
	global_load_dword v45, v[2:3], off
	global_load_dword v51, v[4:5], off
	global_load_dword v46, v[6:7], off
	global_load_dword v47, v[28:29], off
	global_load_dword v44, v[8:9], off
	global_load_dword v60, v[10:11], off
	global_load_dword v48, v[26:27], off
	v_lshlrev_b64 v[10:11], 2, v[0:1]
	v_add_u32_e32 v0, s13, v0
	v_lshl_add_u64 v[54:55], v[0:1], 2, s[6:7]
	v_add_u32_e32 v0, s13, v0
	v_lshlrev_b64 v[8:9], 2, v[0:1]
	v_add_u32_e32 v0, s13, v0
	v_lshlrev_b64 v[6:7], 2, v[0:1]
	v_add_u32_e32 v0, s13, v0
	v_lshl_add_u64 v[42:43], s[6:7], 0, v[12:13]
	v_lshlrev_b64 v[4:5], 2, v[0:1]
	v_lshl_add_u64 v[52:53], s[6:7], 0, v[10:11]
	v_lshl_add_u64 v[56:57], s[6:7], 0, v[8:9]
	;; [unrolled: 1-line block ×3, first 2 shown]
	v_add_u32_e32 v0, s13, v0
	v_lshl_add_u64 v[30:31], s[6:7], 0, v[4:5]
	global_load_dword v49, v[42:43], off
	global_load_dword v50, v[52:53], off
	;; [unrolled: 1-line block ×6, first 2 shown]
	v_lshlrev_b64 v[2:3], 2, v[0:1]
	v_add_u32_e32 v0, s13, v0
	v_lshl_add_u64 v[42:43], s[6:7], 0, v[2:3]
	v_lshl_add_u64 v[52:53], v[0:1], 2, s[6:7]
	global_load_dword v54, v[42:43], off
	global_load_dword v58, v[52:53], off
	;; [unrolled: 1-line block ×3, first 2 shown]
	s_mul_i32 s2, s13, 0xffffffef
	v_add_u32_e32 v0, s2, v0
	v_lshlrev_b64 v[52:53], 2, v[0:1]
	global_load_dword v43, v[28:29], off
	v_lshl_add_u32 v0, s13, 2, v0
	v_lshl_add_u64 v[14:15], s[4:5], 0, v[14:15]
	s_mul_i32 s20, s13, 5
	s_mov_b32 s17, 0xc2ce8ed0
	s_mov_b32 s18, 0x42b17218
	;; [unrolled: 1-line block ×6, first 2 shown]
	s_waitcnt vmcnt(23)
	v_add_f32_e32 v32, 0, v34
	s_waitcnt vmcnt(22)
	v_add_f32_e32 v32, v32, v40
	;; [unrolled: 2-line block ×3, first 2 shown]
	v_lshl_add_u64 v[32:33], s[8:9], 0, v[52:53]
	global_load_dword v55, v[32:33], off
	s_waitcnt vmcnt(21)
	v_add_f32_e32 v36, v36, v35
	s_waitcnt vmcnt(20)
	v_add_f32_e32 v36, v36, v37
	;; [unrolled: 2-line block ×4, first 2 shown]
	global_load_dword v41, v[30:31], off
	global_load_dword v59, v[26:27], off
	v_lshl_add_u64 v[30:31], s[6:7], 0, v[52:53]
	s_waitcnt vmcnt(19)
	v_add_f32_e32 v28, v36, v45
	s_waitcnt vmcnt(18)
	v_add_f32_e32 v28, v28, v51
	;; [unrolled: 2-line block ×7, first 2 shown]
	global_load_dword v60, v[30:31], off
	v_mad_u64_u32 v[36:37], s[2:3], s13, -6, v[0:1]
	v_mov_b32_e32 v37, v1
	v_lshl_add_u64 v[30:31], s[8:9], 0, v[22:23]
	s_waitcnt vmcnt(13)
	v_add_f32_e32 v26, v28, v49
	s_waitcnt vmcnt(12)
	v_add_f32_e32 v26, v26, v50
	s_waitcnt vmcnt(11)
	v_add_f32_e32 v26, v26, v61
	s_waitcnt vmcnt(10)
	v_add_f32_e32 v26, v26, v62
	s_waitcnt vmcnt(9)
	v_add_f32_e32 v26, v26, v63
	s_waitcnt vmcnt(8)
	v_add_f32_e32 v26, v26, v64
	s_waitcnt vmcnt(7)
	v_add_f32_e32 v26, v26, v54
	s_waitcnt vmcnt(6)
	v_add_f32_e32 v42, v26, v58
	v_sub_f32_e32 v26, v42, v34
	v_sub_f32_e32 v26, v26, v38
	v_add_f32_e32 v26, v26, v46
	v_sub_f32_e32 v45, v26, v44
	v_fmac_f32_e32 v45, 2.0, v50
	v_fmac_f32_e32 v45, 2.0, v48
	;; [unrolled: 1-line block ×3, first 2 shown]
	s_waitcnt vmcnt(3)
	v_mul_f32_e32 v26, v45, v55
	v_mul_f32_e32 v26, v26, v40
	v_mul_f32_e32 v26, v40, v26
	global_store_dword v[32:33], v26, off
	v_lshlrev_b64 v[26:27], 2, v[0:1]
	v_lshl_add_u64 v[28:29], s[8:9], 0, v[26:27]
	global_load_dword v51, v[28:29], off
	v_fmamk_f32 v0, v34, 0xbe8a3d71, v42
	v_fmamk_f32 v0, v38, 0x4029999a, v0
	v_add_f32_e32 v0, v46, v0
	v_fmac_f32_e32 v0, 2.0, v50
	v_fmac_f32_e32 v0, 2.0, v48
	;; [unrolled: 1-line block ×3, first 2 shown]
	v_lshl_add_u64 v[32:33], v[36:37], 2, s[6:7]
	s_waitcnt vmcnt(0)
	v_mul_f32_e32 v37, v0, v51
	v_mul_f32_e32 v37, v40, v37
	;; [unrolled: 1-line block ×3, first 2 shown]
	global_store_dword v[28:29], v37, off
	global_load_dword v51, v[30:31], off
	global_load_dword v61, v[32:33], off
	v_add_f32_e32 v33, v42, v34
	v_fmamk_f32 v32, v38, 0x40a00000, v33
	v_add_f32_e32 v32, v46, v32
	v_fmac_f32_e32 v32, 0.5, v47
	v_add_f32_e32 v32, v44, v32
	v_fmac_f32_e32 v32, 2.0, v50
	v_fma_f32 v37, 2.0, v48, v32
	v_fmac_f32_e32 v37, 2.0, v49
	v_lshl_add_u64 v[28:29], s[8:9], 0, v[18:19]
	v_mad_u64_u32 v[56:57], s[2:3], s13, 26, v[36:37]
	v_mov_b32_e32 v57, v1
	v_fmac_f32_e32 v33, 0x40a00000, v35
	v_fmac_f32_e32 v33, 0x40a00000, v38
	s_waitcnt vmcnt(1)
	v_mul_f32_e32 v51, v37, v51
	s_waitcnt vmcnt(0)
	v_mul_f32_e32 v51, v51, v61
	v_mul_f32_e32 v51, v40, v51
	global_store_dword v[30:31], v51, off
	global_load_dword v51, v[28:29], off
	v_lshl_add_u64 v[30:31], s[10:11], 0, v[52:53]
	v_fmamk_f32 v52, v34, 0x3fb33333, v42
	v_fmamk_f32 v52, v38, 0x41666666, v52
	global_load_dword v54, v[30:31], off
	v_add_f32_e32 v52, v46, v52
	v_fmac_f32_e32 v52, 0x3f400000, v47
	v_fmamk_f32 v62, v44, 0x40266666, v52
	v_fmac_f32_e32 v62, 2.0, v50
	v_fmac_f32_e32 v62, 2.0, v48
	v_fmac_f32_e32 v62, 2.0, v49
	v_lshl_add_u64 v[52:53], s[8:9], 0, v[20:21]
	s_waitcnt vmcnt(1)
	v_mul_f32_e32 v51, v62, v51
	v_mul_f32_e32 v51, v61, v51
	;; [unrolled: 1-line block ×3, first 2 shown]
	global_store_dword v[28:29], v51, off
	global_load_dword v51, v[52:53], off
	s_waitcnt vmcnt(2)
	v_mul_f32_e32 v28, v45, v54
	v_mul_f32_e32 v28, v34, v28
	global_store_dword v[30:31], v28, off
	v_sub_f32_e32 v30, v42, v35
	v_sub_f32_e32 v30, v30, v38
	v_fmamk_f32 v30, v47, 0xbe800000, v30
	v_fmac_f32_e32 v30, 0.5, v44
	v_fmac_f32_e32 v30, 0.5, v50
	v_sub_f32_e32 v45, v30, v58
	v_fmac_f32_e32 v45, 2.0, v48
	v_fmac_f32_e32 v45, 2.0, v49
	v_lshl_add_u64 v[54:55], s[10:11], 0, v[26:27]
	v_lshlrev_b64 v[28:29], 2, v[56:57]
	global_load_dword v34, v[54:55], off
	v_mad_u64_u32 v[56:57], s[2:3], s13, 17, v[56:57]
	v_mov_b32_e32 v57, v1
	s_mul_i32 s2, s13, 0x4b
	v_lshl_add_u64 v[26:27], s[6:7], 0, v[26:27]
	s_mov_b32 s6, 0x3e9a209a
	s_mov_b32 s7, 0x7f800000
	s_waitcnt vmcnt(2)
	v_mul_f32_e32 v30, v45, v51
	v_mul_f32_e32 v30, v40, v30
	;; [unrolled: 1-line block ×3, first 2 shown]
	global_store_dword v[52:53], v30, off
	v_lshl_add_u64 v[30:31], s[8:9], 0, v[28:29]
	global_load_dword v36, v[30:31], off
	v_lshl_add_u64 v[52:53], s[10:11], 0, v[22:23]
	v_add_f32_e32 v22, v46, v33
	v_fmac_f32_e32 v22, 0.5, v47
	v_fmamk_f32 v46, v44, 0x40200000, v22
	v_fmac_f32_e32 v46, 2.0, v50
	v_fmac_f32_e32 v46, 2.0, v48
	;; [unrolled: 1-line block ×3, first 2 shown]
	v_lshlrev_b64 v[22:23], 2, v[56:57]
	s_waitcnt vmcnt(2)
	v_mul_f32_e32 v0, v0, v34
	v_mul_f32_e32 v0, v38, v0
	global_store_dword v[54:55], v0, off
	global_load_dword v33, v[52:53], off
	v_lshl_add_u64 v[48:49], s[8:9], 0, v[22:23]
	v_lshl_add_u64 v[50:51], s[10:11], 0, v[18:19]
	global_load_dword v38, v[14:15], off
	v_lshl_add_u64 v[22:23], s[10:11], 0, v[22:23]
	s_waitcnt vmcnt(3)
	v_mul_f32_e32 v0, v46, v36
	v_mul_f32_e32 v0, v47, v0
	;; [unrolled: 1-line block ×3, first 2 shown]
	global_store_dword v[30:31], v0, off
	global_load_dword v30, v[48:49], off
	v_add_u32_e32 v0, s2, v56
	v_lshlrev_b64 v[18:19], 2, v[0:1]
	global_load_dword v36, v[26:27], off
	v_add_u32_e32 v0, s20, v0
	s_waitcnt vmcnt(4)
	v_mul_f32_e32 v31, v37, v33
	v_mul_f32_e32 v31, v60, v31
	global_store_dword v[52:53], v31, off
	global_load_dword v33, v[50:51], off
	v_lshl_add_u64 v[52:53], s[8:9], 0, v[18:19]
	s_waitcnt vmcnt(3)
	v_mul_f32_e32 v30, v37, v30
	global_store_dword v[48:49], v30, off
	global_load_dword v34, v[52:53], off
	v_lshl_add_u64 v[30:31], s[10:11], 0, v[20:21]
	v_lshlrev_b64 v[20:21], 2, v[0:1]
	v_lshl_add_u64 v[26:27], s[8:9], 0, v[20:21]
	s_waitcnt vmcnt(2)
	v_mul_f32_e32 v14, v62, v33
	v_mul_f32_e32 v14, v35, v14
	global_store_dword v[50:51], v14, off
	global_load_dword v49, v[30:31], off
	v_mov_b32_e32 v35, 0x411a209b
	v_mov_b32_e32 v33, 0x3f400000
	s_waitcnt vmcnt(2)
	v_mul_f32_e32 v14, v42, v34
	v_mul_f32_e32 v14, v14, v59
	;; [unrolled: 1-line block ×3, first 2 shown]
	global_store_dword v[52:53], v14, off
	global_load_dword v47, v[26:27], off
	s_load_dwordx2 s[4:5], s[0:1], 0x20
	s_load_dword s2, s[0:1], 0x28
	v_mov_b32_e32 v34, 0x7f800000
	v_mov_b32_e32 v36, 0x3ecccccd
	s_waitcnt lgkmcnt(0)
	v_lshl_add_u64 v[14:15], s[4:5], 0, v[24:25]
	global_load_dword v48, v[14:15], off
	v_mul_f32_e32 v38, s2, v38
	v_lshl_add_u64 v[24:25], s[10:11], 0, v[28:29]
	v_mad_u64_u32 v[28:29], s[0:1], s13, 6, v[0:1]
	v_mul_f32_e32 v0, 0xba1991ec, v38
	v_mov_b32_e32 v29, v1
	v_mul_f32_e32 v52, 0x3fb8aa3b, v0
	v_lshl_add_u64 v[16:17], s[4:5], 0, v[16:17]
	v_fma_f32 v55, v0, s19, -v52
	v_rndne_f32_e32 v56, v52
	global_load_dword v16, v[16:17], off
	v_lshlrev_b64 v[14:15], 2, v[28:29]
	v_mul_f32_e32 v29, 0xb9a3d70a, v38
	v_mul_f32_e32 v53, 0x3fb8aa3b, v29
	v_fmac_f32_e32 v55, 0x32a5705f, v0
	v_sub_f32_e32 v52, v52, v56
	v_fma_f32 v57, v29, s19, -v53
	v_add_f32_e32 v52, v52, v55
	v_rndne_f32_e32 v55, v53
	v_fmac_f32_e32 v57, 0x32a5705f, v29
	v_sub_f32_e32 v53, v53, v55
	v_cvt_i32_f32_e32 v56, v56
	v_add_f32_e32 v53, v53, v57
	v_exp_f32_e32 v52, v52
	v_cvt_i32_f32_e32 v55, v55
	v_exp_f32_e32 v53, v53
	v_cmp_ngt_f32_e32 vcc, s17, v0
	v_ldexp_f32 v52, v52, v56
	v_div_scale_f32 v50, s[0:1], v38, v38, 1.0
	v_ldexp_f32 v53, v53, v55
	v_cndmask_b32_e32 v52, 0, v52, vcc
	v_cmp_ngt_f32_e32 vcc, s17, v29
	v_rcp_f32_e32 v54, v50
	v_div_scale_f32 v51, s[0:1], 1.0, v38, 1.0
	v_cndmask_b32_e32 v53, 0, v53, vcc
	v_cmp_nlt_f32_e32 vcc, s18, v0
	v_fma_f32 v57, -v50, v54, 1.0
	v_fmac_f32_e32 v54, v57, v54
	v_cndmask_b32_e32 v0, v34, v52, vcc
	v_cmp_nlt_f32_e32 vcc, s18, v29
	v_mul_f32_e32 v57, v51, v54
	v_fma_f32 v56, -v50, v57, v51
	v_cndmask_b32_e32 v29, v34, v53, vcc
	v_mul_f32_e32 v29, 0x3eac8b44, v29
	v_fmamk_f32 v0, v0, 0x3f29ba5e, v29
	s_waitcnt vmcnt(4)
	v_mul_f32_e32 v29, v45, v49
	v_fmac_f32_e32 v57, v56, v54
	v_fma_f32 v50, -v50, v57, v51
	v_mul_f32_e32 v29, v29, v39
	global_store_dword v[30:31], v29, off
	v_mul_f32_e32 v17, 0xbb9deb07, v38
	v_lshl_add_u64 v[12:13], s[4:5], 0, v[12:13]
	v_lshl_add_u64 v[10:11], s[4:5], 0, v[10:11]
	;; [unrolled: 1-line block ×6, first 2 shown]
	s_waitcnt vmcnt(3)
	v_div_scale_f32 v45, s[2:3], v47, v47, 1.0
	v_rcp_f32_e32 v49, v45
	v_div_scale_f32 v39, vcc, 1.0, v47, 1.0
	v_fma_f32 v51, -v45, v49, 1.0
	v_fmac_f32_e32 v49, v51, v49
	v_mul_f32_e32 v51, v39, v49
	v_fma_f32 v52, -v45, v51, v39
	v_fmac_f32_e32 v51, v52, v49
	v_fma_f32 v39, -v45, v51, v39
	v_div_fmas_f32 v39, v39, v49, v51
	v_div_fixup_f32 v39, v39, v47, 1.0
	v_mul_f32_e32 v39, v37, v39
	s_waitcnt vmcnt(2)
	v_mul_f32_e32 v45, v48, v39
	v_fma_f32 v48, v48, v39, 1.0
	v_div_scale_f32 v39, s[2:3], v48, v48, 1.0
	v_rcp_f32_e32 v52, v39
	v_div_scale_f32 v49, vcc, 1.0, v48, 1.0
	v_max_f32_e32 v51, 0x800000, v45
	v_fma_f32 v55, -v39, v52, 1.0
	v_fmac_f32_e32 v52, v55, v52
	v_mul_f32_e32 v55, v49, v52
	v_fma_f32 v56, -v39, v55, v49
	v_fmac_f32_e32 v55, v56, v52
	v_fma_f32 v39, -v39, v55, v49
	v_div_fmas_f32 v49, v39, v52, v55
	s_mov_b64 vcc, s[0:1]
	v_div_fmas_f32 v39, v50, v54, v57
	v_div_fixup_f32 v39, v39, v38, 1.0
	v_mul_f32_e32 v50, 0xc5811800, v39
	v_mul_f32_e32 v52, 0x3fb8aa3b, v50
	v_fma_f32 v54, v50, s19, -v52
	v_rndne_f32_e32 v55, v52
	v_fmac_f32_e32 v54, 0x32a5705f, v50
	v_sub_f32_e32 v52, v52, v55
	v_add_f32_e32 v52, v52, v54
	v_cvt_i32_f32_e32 v55, v55
	v_exp_f32_e32 v52, v52
	v_cmp_ngt_f32_e32 vcc, s17, v50
	v_cmp_gt_f32_e64 s[2:3], s12, v51
	v_div_fixup_f32 v48, v49, v48, 1.0
	v_ldexp_f32 v52, v52, v55
	v_cndmask_b32_e32 v52, 0, v52, vcc
	v_cmp_nlt_f32_e32 vcc, s18, v50
	v_cndmask_b32_e64 v53, 0, 32, s[2:3]
	v_ldexp_f32 v51, v51, v53
	v_cndmask_b32_e32 v50, v34, v52, vcc
	v_add_f32_e32 v0, v50, v0
	v_max_f32_e32 v0, 0x800000, v0
	v_cmp_gt_f32_e32 vcc, s12, v0
	v_log_f32_e32 v51, v51
	v_cndmask_b32_e64 v53, 0, v35, s[2:3]
	v_cndmask_b32_e64 v50, 0, 32, vcc
	v_ldexp_f32 v0, v0, v50
	v_log_f32_e32 v0, v0
	v_mul_f32_e32 v56, 0x3e9a209a, v51
	v_fma_f32 v54, v51, s6, -v56
	v_fmac_f32_e32 v54, 0x3284fbcf, v51
	v_mul_f32_e32 v52, 0x3e9a209a, v0
	v_fma_f32 v52, v0, s6, -v52
	v_fmac_f32_e32 v54, 0x3e9a209a, v51
	v_cmp_lt_f32_e64 s[0:1], |v51|, s7
	v_fmac_f32_e32 v52, 0x3284fbcf, v0
	v_fmac_f32_e32 v52, 0x3e9a209a, v0
	v_cndmask_b32_e64 v50, v51, v54, s[0:1]
	v_cndmask_b32_e32 v51, 0, v35, vcc
	v_cmp_lt_f32_e64 vcc, |v0|, s7
	v_sub_f32_e32 v50, v50, v53
	v_mul_f32_e32 v45, v45, v48
	v_cndmask_b32_e32 v0, v0, v52, vcc
	v_sub_f32_e32 v0, v0, v51
	v_fmamk_f32 v52, v0, 0x3f2b851f, v36
	v_fmamk_f32 v51, v0, 0xbfa28f5c, v33
	v_sub_f32_e32 v50, v50, v52
	v_fmac_f32_e32 v51, 0xbe0f5c29, v50
	v_div_scale_f32 v52, s[0:1], v51, v51, 1.0
	v_rcp_f32_e32 v53, v52
	v_div_scale_f32 v29, vcc, 1.0, v51, 1.0
	v_fma_f32 v30, -v52, v53, 1.0
	v_fmac_f32_e32 v53, v30, v53
	v_mul_f32_e32 v30, v29, v53
	v_fma_f32 v31, -v52, v30, v29
	v_fmac_f32_e32 v30, v31, v53
	v_fma_f32 v29, -v52, v30, v29
	v_div_fmas_f32 v29, v29, v53, v30
	v_div_fixup_f32 v29, v29, v51, 1.0
	v_mul_f32_e32 v29, v50, v29
	v_fma_f32 v29, v29, v29, 1.0
	v_div_scale_f32 v30, s[0:1], v29, v29, 1.0
	v_rcp_f32_e32 v31, v30
	v_div_scale_f32 v51, vcc, 1.0, v29, 1.0
	global_load_dword v50, v[24:25], off
	v_fma_f32 v52, -v30, v31, 1.0
	v_fmac_f32_e32 v31, v52, v31
	v_mul_f32_e32 v52, v51, v31
	v_fma_f32 v53, -v30, v52, v51
	v_fmac_f32_e32 v52, v53, v31
	v_fma_f32 v30, -v30, v52, v51
	v_div_fmas_f32 v30, v30, v31, v52
	v_div_fixup_f32 v29, v30, v29, 1.0
	v_mul_f32_e32 v0, v0, v29
	v_mul_f32_e32 v29, 0x40549a78, v0
	v_fma_f32 v30, v0, s14, -v29
	v_rndne_f32_e32 v31, v29
	v_fmac_f32_e32 v30, 0x33979a37, v0
	v_sub_f32_e32 v29, v29, v31
	v_add_f32_e32 v29, v29, v30
	v_cvt_i32_f32_e32 v51, v31
	v_exp_f32_e32 v29, v29
	v_cmp_ngt_f32_e32 vcc, s15, v0
	v_lshl_add_u64 v[30:31], s[8:9], 0, v[14:15]
	v_ldexp_f32 v29, v29, v51
	v_cndmask_b32_e32 v29, 0, v29, vcc
	v_cmp_nlt_f32_e32 vcc, s16, v0
	s_nop 1
	v_cndmask_b32_e32 v0, v34, v29, vcc
	v_mul_f32_e32 v45, v45, v0
	v_mul_f32_e32 v0, v47, v45
	global_store_dword v[26:27], v0, off
	global_load_dword v0, v[30:31], off
	v_mul_f32_e32 v26, 0xb9c4e0f3, v38
	v_mul_f32_e32 v27, 0x3fb8aa3b, v17
	;; [unrolled: 1-line block ×3, first 2 shown]
	v_fma_f32 v47, v17, s19, -v27
	v_rndne_f32_e32 v48, v27
	v_fma_f32 v49, v26, s19, -v29
	v_rndne_f32_e32 v51, v29
	v_fmac_f32_e32 v47, 0x32a5705f, v17
	v_sub_f32_e32 v27, v27, v48
	v_fmac_f32_e32 v49, 0x32a5705f, v26
	v_sub_f32_e32 v29, v29, v51
	v_add_f32_e32 v27, v27, v47
	v_cvt_i32_f32_e32 v48, v48
	v_add_f32_e32 v29, v29, v49
	v_exp_f32_e32 v27, v27
	v_cvt_i32_f32_e32 v51, v51
	v_exp_f32_e32 v47, v29
	v_cmp_ngt_f32_e32 vcc, s17, v17
	v_ldexp_f32 v27, v27, v48
	v_mad_u64_u32 v[28:29], s[0:1], s13, 13, v[28:29]
	v_ldexp_f32 v47, v47, v51
	v_cndmask_b32_e32 v27, 0, v27, vcc
	v_cmp_ngt_f32_e32 vcc, s17, v26
	v_mov_b32_e32 v29, v1
	s_nop 0
	v_cndmask_b32_e32 v47, 0, v47, vcc
	v_cmp_nlt_f32_e32 vcc, s18, v17
	s_nop 1
	v_cndmask_b32_e32 v17, v34, v27, vcc
	v_cmp_nlt_f32_e32 vcc, s18, v26
	v_mul_f32_e32 v27, 0xc5be7800, v39
	s_nop 0
	v_cndmask_b32_e32 v26, v34, v47, vcc
	v_mul_f32_e32 v47, 0x3fb8aa3b, v27
	v_fma_f32 v48, v27, s19, -v47
	v_rndne_f32_e32 v49, v47
	v_fmac_f32_e32 v48, 0x32a5705f, v27
	v_sub_f32_e32 v47, v47, v49
	v_add_f32_e32 v47, v47, v48
	v_cvt_i32_f32_e32 v49, v49
	v_exp_f32_e32 v47, v47
	v_mul_f32_e32 v26, 0x3f483127, v26
	v_fmamk_f32 v17, v17, 0x3e5f3b64, v26
	v_cmp_ngt_f32_e32 vcc, s17, v27
	s_waitcnt vmcnt(2)
	v_mul_f32_e32 v26, v46, v50
	v_mul_f32_e32 v26, v44, v26
	v_ldexp_f32 v44, v47, v49
	v_cndmask_b32_e32 v44, 0, v44, vcc
	v_cmp_nlt_f32_e32 vcc, s18, v27
	global_store_dword v[24:25], v26, off
	global_load_dword v46, v[22:23], off
	v_cndmask_b32_e32 v27, v34, v44, vcc
	v_add_f32_e32 v17, v27, v17
	v_max_f32_e32 v17, 0x800000, v17
	v_cmp_gt_f32_e32 vcc, s12, v17
	s_nop 1
	v_cndmask_b32_e64 v27, 0, 32, vcc
	v_ldexp_f32 v17, v17, v27
	v_log_f32_e32 v17, v17
	v_cndmask_b32_e32 v24, 0, v35, vcc
	v_mul_f32_e32 v25, 0x3e9a209a, v17
	v_fma_f32 v25, v17, s6, -v25
	v_fmac_f32_e32 v25, 0x3284fbcf, v17
	v_fmac_f32_e32 v25, 0x3e9a209a, v17
	v_cmp_lt_f32_e64 vcc, |v17|, s7
	s_nop 1
	v_cndmask_b32_e32 v17, v17, v25, vcc
	v_sub_f32_e32 v24, v17, v24
	v_fmamk_f32 v27, v24, 0x3f2b851f, v36
	v_fmamk_f32 v17, v24, 0xbfa28f5c, v33
	s_waitcnt vmcnt(2)
	v_div_scale_f32 v25, s[0:1], v0, v0, 1.0
	v_rcp_f32_e32 v26, v25
	v_div_scale_f32 v44, vcc, 1.0, v0, 1.0
	v_fma_f32 v47, -v25, v26, 1.0
	v_fmac_f32_e32 v26, v47, v26
	v_mul_f32_e32 v47, v44, v26
	v_fma_f32 v48, -v25, v47, v44
	v_fmac_f32_e32 v47, v48, v26
	v_fma_f32 v25, -v25, v47, v44
	v_div_fmas_f32 v25, v25, v26, v47
	v_div_fixup_f32 v25, v25, v0, 1.0
	v_mul_f32_e32 v25, v37, v25
	v_mul_f32_e32 v26, v16, v25
	v_fma_f32 v44, v16, v25, 1.0
	v_div_scale_f32 v16, s[0:1], v44, v44, 1.0
	v_max_f32_e32 v47, 0x800000, v26
	v_cmp_gt_f32_e64 s[0:1], s12, v47
	v_rcp_f32_e32 v48, v16
	v_div_scale_f32 v25, vcc, 1.0, v44, 1.0
	v_cndmask_b32_e64 v49, 0, 32, s[0:1]
	v_ldexp_f32 v47, v47, v49
	v_log_f32_e32 v47, v47
	v_fma_f32 v50, -v16, v48, 1.0
	v_fmac_f32_e32 v48, v50, v48
	v_mul_f32_e32 v50, v25, v48
	v_mul_f32_e32 v51, 0x3e9a209a, v47
	v_fma_f32 v51, v47, s6, -v51
	v_fma_f32 v52, -v16, v50, v25
	v_fmac_f32_e32 v51, 0x3284fbcf, v47
	v_cndmask_b32_e64 v49, 0, v35, s[0:1]
	v_fmac_f32_e32 v50, v52, v48
	v_fmac_f32_e32 v51, 0x3e9a209a, v47
	v_cmp_lt_f32_e64 s[0:1], |v47|, s7
	v_fma_f32 v16, -v16, v50, v25
	v_div_fmas_f32 v48, v16, v48, v50
	v_cndmask_b32_e64 v25, v47, v51, s[0:1]
	v_sub_f32_e32 v25, v25, v49
	v_sub_f32_e32 v25, v25, v27
	v_fmac_f32_e32 v17, 0xbe0f5c29, v25
	v_div_scale_f32 v27, s[0:1], v17, v17, 1.0
	v_rcp_f32_e32 v47, v27
	v_div_scale_f32 v16, vcc, 1.0, v17, 1.0
	v_div_fixup_f32 v44, v48, v44, 1.0
	v_fma_f32 v49, -v27, v47, 1.0
	v_fmac_f32_e32 v47, v49, v47
	v_mul_f32_e32 v49, v16, v47
	v_fma_f32 v50, -v27, v49, v16
	v_fmac_f32_e32 v49, v50, v47
	v_fma_f32 v16, -v27, v49, v16
	v_div_fmas_f32 v16, v16, v47, v49
	v_div_fixup_f32 v16, v16, v17, 1.0
	v_mul_f32_e32 v16, v25, v16
	v_fma_f32 v25, v16, v16, 1.0
	v_div_scale_f32 v27, s[0:1], v25, v25, 1.0
	v_rcp_f32_e32 v47, v27
	v_lshlrev_b64 v[16:17], 2, v[28:29]
	v_div_scale_f32 v29, vcc, 1.0, v25, 1.0
	v_fma_f32 v49, -v27, v47, 1.0
	v_fmac_f32_e32 v47, v49, v47
	v_mul_f32_e32 v49, v29, v47
	v_fma_f32 v50, -v27, v49, v29
	v_fmac_f32_e32 v49, v50, v47
	v_fma_f32 v27, -v27, v49, v29
	v_div_fmas_f32 v27, v27, v47, v49
	v_div_fixup_f32 v25, v27, v25, 1.0
	v_mul_f32_e32 v27, v24, v25
	v_mul_f32_e32 v24, 0x40549a78, v27
	v_fma_f32 v25, v27, s14, -v24
	v_rndne_f32_e32 v29, v24
	v_fmac_f32_e32 v25, 0x33979a37, v27
	v_sub_f32_e32 v24, v24, v29
	v_add_f32_e32 v24, v24, v25
	v_cvt_i32_f32_e32 v29, v29
	v_exp_f32_e32 v47, v24
	v_cmp_ngt_f32_e32 vcc, s15, v27
	v_mul_f32_e32 v26, v26, v44
	v_lshl_add_u64 v[24:25], s[8:9], 0, v[16:17]
	v_ldexp_f32 v29, v47, v29
	v_cndmask_b32_e32 v29, 0, v29, vcc
	v_cmp_nlt_f32_e32 vcc, s16, v27
	s_nop 1
	v_cndmask_b32_e32 v27, v34, v29, vcc
	v_mul_f32_e32 v44, v26, v27
	v_mul_f32_e32 v0, v0, v44
	global_store_dword v[30:31], v0, off
	global_load_dword v0, v[24:25], off
	v_lshl_add_u64 v[26:27], s[10:11], 0, v[18:19]
	global_load_dword v30, v[12:13], off
	v_mul_f32_e32 v18, 0xba438ad4, v38
	v_lshl_add_u64 v[12:13], s[10:11], 0, v[20:21]
	v_mul_f32_e32 v19, 0xb78bcf65, v38
	v_mul_f32_e32 v20, 0x3fb8aa3b, v18
	;; [unrolled: 1-line block ×3, first 2 shown]
	v_fma_f32 v29, v18, s19, -v20
	v_rndne_f32_e32 v31, v20
	v_fma_f32 v47, v19, s19, -v21
	v_rndne_f32_e32 v48, v21
	v_fmac_f32_e32 v29, 0x32a5705f, v18
	v_sub_f32_e32 v20, v20, v31
	v_fmac_f32_e32 v47, 0x32a5705f, v19
	v_sub_f32_e32 v21, v21, v48
	v_add_f32_e32 v20, v20, v29
	v_cvt_i32_f32_e32 v31, v31
	v_add_f32_e32 v21, v21, v47
	v_exp_f32_e32 v20, v20
	v_cvt_i32_f32_e32 v48, v48
	v_exp_f32_e32 v21, v21
	v_cmp_ngt_f32_e32 vcc, s17, v18
	v_ldexp_f32 v20, v20, v31
	v_mad_u64_u32 v[28:29], s[0:1], s13, 3, v[28:29]
	v_ldexp_f32 v21, v21, v48
	v_cndmask_b32_e32 v20, 0, v20, vcc
	v_cmp_ngt_f32_e32 vcc, s17, v19
	v_mov_b32_e32 v29, v1
	s_nop 0
	v_cndmask_b32_e32 v21, 0, v21, vcc
	v_cmp_nlt_f32_e32 vcc, s18, v18
	s_nop 1
	v_cndmask_b32_e32 v18, v34, v20, vcc
	v_cmp_nlt_f32_e32 vcc, s18, v19
	v_mul_f32_e32 v20, 0xc61e6f33, v39
	s_nop 0
	v_cndmask_b32_e32 v19, v34, v21, vcc
	v_mul_f32_e32 v19, 0x3e333333, v19
	v_fmamk_f32 v18, v18, 0x3f533333, v19
	s_waitcnt vmcnt(3)
	v_mul_f32_e32 v19, v37, v46
	v_mul_f32_e32 v19, v19, v43
	;; [unrolled: 1-line block ×3, first 2 shown]
	global_store_dword v[22:23], v19, off
	global_load_dword v22, v[26:27], off
	v_mul_f32_e32 v21, 0x3fb8aa3b, v20
	v_fma_f32 v31, v20, s19, -v21
	v_rndne_f32_e32 v43, v21
	v_fmac_f32_e32 v31, 0x32a5705f, v20
	v_sub_f32_e32 v21, v21, v43
	v_add_f32_e32 v21, v21, v31
	v_cvt_i32_f32_e32 v43, v43
	v_exp_f32_e32 v21, v21
	v_cmp_ngt_f32_e32 vcc, s17, v20
	v_ldexp_f32 v19, v21, v43
	s_nop 0
	v_cndmask_b32_e32 v19, 0, v19, vcc
	v_cmp_nlt_f32_e32 vcc, s18, v20
	s_waitcnt vmcnt(0)
	v_mul_f32_e32 v22, v42, v22
	v_cndmask_b32_e32 v19, v34, v19, vcc
	v_add_f32_e32 v18, v19, v18
	v_max_f32_e32 v18, 0x800000, v18
	v_cmp_gt_f32_e32 vcc, s12, v18
	v_mul_f32_e32 v22, v22, v41
	global_store_dword v[26:27], v22, off
	v_cndmask_b32_e64 v19, 0, 32, vcc
	v_ldexp_f32 v18, v18, v19
	v_log_f32_e32 v23, v18
	v_lshlrev_b64 v[18:19], 2, v[28:29]
	v_cndmask_b32_e32 v29, 0, v35, vcc
	v_lshl_add_u64 v[20:21], s[8:9], 0, v[18:19]
	v_mul_f32_e32 v31, 0x3e9a209a, v23
	v_fma_f32 v31, v23, s6, -v31
	v_fmac_f32_e32 v31, 0x3284fbcf, v23
	v_fmac_f32_e32 v31, 0x3e9a209a, v23
	v_cmp_lt_f32_e64 vcc, |v23|, s7
	global_load_dword v26, v[12:13], off
	global_load_dword v27, v[10:11], off
	v_cndmask_b32_e32 v23, v23, v31, vcc
	v_div_scale_f32 v31, s[0:1], v0, v0, 1.0
	v_rcp_f32_e32 v40, v31
	v_div_scale_f32 v46, vcc, 1.0, v0, 1.0
	v_sub_f32_e32 v23, v23, v29
	v_fma_f32 v47, -v31, v40, 1.0
	v_fmac_f32_e32 v40, v47, v40
	v_mul_f32_e32 v47, v46, v40
	v_fma_f32 v48, -v31, v47, v46
	v_fmac_f32_e32 v47, v48, v40
	v_fma_f32 v31, -v31, v47, v46
	v_div_fmas_f32 v31, v31, v40, v47
	v_div_fixup_f32 v31, v31, v0, 1.0
	v_mul_f32_e32 v31, v37, v31
	v_mul_f32_e32 v40, v30, v31
	v_fma_f32 v30, v30, v31, 1.0
	v_div_scale_f32 v31, s[0:1], v30, v30, 1.0
	v_max_f32_e32 v47, 0x800000, v40
	v_cmp_gt_f32_e64 s[0:1], s12, v47
	v_rcp_f32_e32 v48, v31
	v_div_scale_f32 v46, vcc, 1.0, v30, 1.0
	v_cndmask_b32_e64 v49, 0, 32, s[0:1]
	v_ldexp_f32 v47, v47, v49
	v_log_f32_e32 v47, v47
	v_fma_f32 v50, -v31, v48, 1.0
	v_fmac_f32_e32 v48, v50, v48
	v_mul_f32_e32 v50, v46, v48
	v_mul_f32_e32 v51, 0x3e9a209a, v47
	v_fma_f32 v51, v47, s6, -v51
	v_fma_f32 v52, -v31, v50, v46
	v_fmac_f32_e32 v51, 0x3284fbcf, v47
	v_cndmask_b32_e64 v49, 0, v35, s[0:1]
	v_fmac_f32_e32 v50, v52, v48
	v_fmac_f32_e32 v51, 0x3e9a209a, v47
	v_cmp_lt_f32_e64 s[0:1], |v47|, s7
	v_fma_f32 v31, -v31, v50, v46
	v_fmamk_f32 v43, v23, 0x3f2b851f, v36
	v_cndmask_b32_e64 v46, v47, v51, s[0:1]
	v_sub_f32_e32 v46, v46, v49
	v_fmamk_f32 v29, v23, 0xbfa28f5c, v33
	v_sub_f32_e32 v43, v46, v43
	v_fmac_f32_e32 v29, 0xbe0f5c29, v43
	v_div_scale_f32 v46, s[0:1], v29, v29, 1.0
	v_rcp_f32_e32 v47, v46
	v_div_fmas_f32 v31, v31, v48, v50
	v_div_scale_f32 v48, vcc, 1.0, v29, 1.0
	v_fma_f32 v49, -v46, v47, 1.0
	v_fmac_f32_e32 v47, v49, v47
	v_mul_f32_e32 v49, v48, v47
	v_fma_f32 v50, -v46, v49, v48
	v_fmac_f32_e32 v49, v50, v47
	v_fma_f32 v46, -v46, v49, v48
	v_div_fmas_f32 v46, v46, v47, v49
	v_div_fixup_f32 v29, v46, v29, 1.0
	v_mul_f32_e32 v29, v43, v29
	v_fma_f32 v29, v29, v29, 1.0
	v_div_scale_f32 v43, s[0:1], v29, v29, 1.0
	v_rcp_f32_e32 v46, v43
	v_div_scale_f32 v42, vcc, 1.0, v29, 1.0
	v_div_fixup_f32 v30, v31, v30, 1.0
	v_fma_f32 v47, -v43, v46, 1.0
	v_fmac_f32_e32 v46, v47, v46
	v_mul_f32_e32 v47, v42, v46
	v_fma_f32 v48, -v43, v47, v42
	v_fmac_f32_e32 v47, v48, v46
	v_fma_f32 v42, -v43, v47, v42
	v_div_fmas_f32 v42, v42, v46, v47
	v_div_fixup_f32 v29, v42, v29, 1.0
	v_mul_f32_e32 v23, v23, v29
	v_mul_f32_e32 v29, 0x40549a78, v23
	v_fma_f32 v42, v23, s14, -v29
	v_rndne_f32_e32 v43, v29
	v_fmac_f32_e32 v42, 0x33979a37, v23
	v_sub_f32_e32 v29, v29, v43
	v_add_f32_e32 v29, v29, v42
	v_cvt_i32_f32_e32 v43, v43
	v_exp_f32_e32 v29, v29
	v_cmp_ngt_f32_e32 vcc, s15, v23
	v_mul_f32_e32 v30, v40, v30
	s_mul_i32 s0, s13, 0xffffff7d
	v_ldexp_f32 v29, v29, v43
	v_cndmask_b32_e32 v29, 0, v29, vcc
	v_cmp_nlt_f32_e32 vcc, s16, v23
	s_mul_i32 s1, s13, 0x8a
	s_waitcnt vmcnt(1)
	v_mul_f32_e32 v26, v26, v45
	v_cndmask_b32_e32 v23, v34, v29, vcc
	v_mul_f32_e32 v29, v30, v23
	v_mul_f32_e32 v0, v0, v29
	global_store_dword v[24:25], v0, off
	global_load_dword v30, v[20:21], off
	v_lshl_add_u64 v[24:25], s[10:11], 0, v[14:15]
	v_mul_f32_e32 v14, 0xb8eba293, v38
	v_mul_f32_e32 v15, 0xb9710d4d, v38
	v_mul_f32_e32 v10, 0x3fb8aa3b, v14
	v_mul_f32_e32 v11, 0x3fb8aa3b, v15
	v_fma_f32 v22, v14, s19, -v10
	v_rndne_f32_e32 v23, v10
	v_add_u32_e32 v0, s0, v28
	v_fma_f32 v28, v15, s19, -v11
	v_rndne_f32_e32 v31, v11
	v_fmac_f32_e32 v22, 0x32a5705f, v14
	v_sub_f32_e32 v10, v10, v23
	v_fmac_f32_e32 v28, 0x32a5705f, v15
	v_sub_f32_e32 v11, v11, v31
	v_add_f32_e32 v10, v10, v22
	v_cvt_i32_f32_e32 v23, v23
	v_add_f32_e32 v11, v11, v28
	v_exp_f32_e32 v22, v10
	v_cvt_i32_f32_e32 v31, v31
	v_exp_f32_e32 v28, v11
	v_cmp_ngt_f32_e32 vcc, s17, v14
	v_ldexp_f32 v22, v22, v23
	v_lshl_add_u64 v[10:11], v[0:1], 2, s[4:5]
	v_ldexp_f32 v23, v28, v31
	v_cndmask_b32_e32 v22, 0, v22, vcc
	v_cmp_ngt_f32_e32 vcc, s17, v15
	v_add_u32_e32 v0, s1, v0
	global_store_dword v[12:13], v26, off
	v_cndmask_b32_e32 v23, 0, v23, vcc
	v_cmp_nlt_f32_e32 vcc, s18, v14
	s_waitcnt vmcnt(1)
	v_div_scale_f32 v41, s[0:1], v30, v30, 1.0
	v_cndmask_b32_e32 v14, v34, v22, vcc
	v_mul_f32_e32 v22, 0xc5e26000, v39
	v_mul_f32_e32 v28, 0x3fb8aa3b, v22
	v_fma_f32 v31, v22, s19, -v28
	v_rndne_f32_e32 v40, v28
	v_fmac_f32_e32 v31, 0x32a5705f, v22
	v_sub_f32_e32 v28, v28, v40
	v_add_f32_e32 v28, v28, v31
	v_cvt_i32_f32_e32 v40, v40
	v_exp_f32_e32 v28, v28
	v_cmp_nlt_f32_e32 vcc, s18, v15
	v_rcp_f32_e32 v42, v41
	s_nop 0
	v_cndmask_b32_e32 v15, v34, v23, vcc
	v_mul_f32_e32 v15, 0x3f0ccccd, v15
	v_fmamk_f32 v14, v14, 0x3ee66666, v15
	v_ldexp_f32 v15, v28, v40
	v_cmp_ngt_f32_e32 vcc, s17, v22
	v_fma_f32 v45, -v41, v42, 1.0
	v_fmac_f32_e32 v42, v45, v42
	v_cndmask_b32_e32 v15, 0, v15, vcc
	v_cmp_nlt_f32_e32 vcc, s18, v22
	s_nop 1
	v_cndmask_b32_e32 v15, v34, v15, vcc
	v_add_f32_e32 v14, v15, v14
	v_max_f32_e32 v14, 0x800000, v14
	v_cmp_gt_f32_e32 vcc, s12, v14
	s_nop 1
	v_cndmask_b32_e64 v15, 0, 32, vcc
	v_ldexp_f32 v14, v14, v15
	v_log_f32_e32 v28, v14
	v_cndmask_b32_e32 v31, 0, v35, vcc
	v_lshlrev_b64 v[14:15], 2, v[0:1]
	v_lshl_add_u64 v[22:23], s[8:9], 0, v[14:15]
	v_mul_f32_e32 v40, 0x3e9a209a, v28
	v_fma_f32 v40, v28, s6, -v40
	v_fmac_f32_e32 v40, 0x3284fbcf, v28
	v_fmac_f32_e32 v40, 0x3e9a209a, v28
	v_cmp_lt_f32_e64 vcc, |v28|, s7
	v_add_u32_e32 v0, s13, v0
	s_nop 0
	v_cndmask_b32_e32 v28, v28, v40, vcc
	v_div_scale_f32 v43, vcc, 1.0, v30, 1.0
	v_mul_f32_e32 v45, v43, v42
	v_fma_f32 v46, -v41, v45, v43
	v_fmac_f32_e32 v45, v46, v42
	v_fma_f32 v41, -v41, v45, v43
	v_div_fmas_f32 v41, v41, v42, v45
	v_div_fixup_f32 v41, v41, v30, 1.0
	v_mul_f32_e32 v41, v37, v41
	v_mul_f32_e32 v42, v27, v41
	v_fma_f32 v27, v27, v41, 1.0
	v_div_scale_f32 v41, s[0:1], v27, v27, 1.0
	v_max_f32_e32 v45, 0x800000, v42
	v_cmp_gt_f32_e64 s[0:1], s12, v45
	v_rcp_f32_e32 v46, v41
	v_div_scale_f32 v43, vcc, 1.0, v27, 1.0
	v_cndmask_b32_e64 v47, 0, 32, s[0:1]
	v_ldexp_f32 v45, v45, v47
	v_log_f32_e32 v45, v45
	v_fma_f32 v48, -v41, v46, 1.0
	v_fmac_f32_e32 v46, v48, v46
	v_mul_f32_e32 v48, v43, v46
	v_mul_f32_e32 v49, 0x3e9a209a, v45
	v_fma_f32 v49, v45, s6, -v49
	v_fma_f32 v50, -v41, v48, v43
	v_fmac_f32_e32 v49, 0x3284fbcf, v45
	v_cndmask_b32_e64 v47, 0, v35, s[0:1]
	v_fmac_f32_e32 v48, v50, v46
	v_fmac_f32_e32 v49, 0x3e9a209a, v45
	v_cmp_lt_f32_e64 s[0:1], |v45|, s7
	v_sub_f32_e32 v28, v28, v31
	v_fma_f32 v41, -v41, v48, v43
	v_cndmask_b32_e64 v43, v45, v49, s[0:1]
	v_fmamk_f32 v40, v28, 0x3f2b851f, v36
	v_sub_f32_e32 v43, v43, v47
	v_fmamk_f32 v31, v28, 0xbfa28f5c, v33
	v_sub_f32_e32 v40, v43, v40
	v_fmac_f32_e32 v31, 0xbe0f5c29, v40
	v_div_scale_f32 v43, s[0:1], v31, v31, 1.0
	v_rcp_f32_e32 v45, v43
	v_div_fmas_f32 v41, v41, v46, v48
	v_div_scale_f32 v46, vcc, 1.0, v31, 1.0
	v_fma_f32 v47, -v43, v45, 1.0
	v_fmac_f32_e32 v45, v47, v45
	v_mul_f32_e32 v47, v46, v45
	v_fma_f32 v48, -v43, v47, v46
	v_fmac_f32_e32 v47, v48, v45
	v_fma_f32 v43, -v43, v47, v46
	v_div_fmas_f32 v43, v43, v45, v47
	v_div_fixup_f32 v31, v43, v31, 1.0
	v_mul_f32_e32 v31, v40, v31
	v_fma_f32 v31, v31, v31, 1.0
	v_div_scale_f32 v40, s[0:1], v31, v31, 1.0
	v_rcp_f32_e32 v43, v40
	v_div_scale_f32 v12, vcc, 1.0, v31, 1.0
	v_fma_f32 v13, -v40, v43, 1.0
	v_fmac_f32_e32 v43, v13, v43
	v_mul_f32_e32 v13, v12, v43
	v_fma_f32 v26, -v40, v13, v12
	v_fmac_f32_e32 v13, v26, v43
	v_fma_f32 v12, -v40, v13, v12
	v_div_fmas_f32 v12, v12, v43, v13
	v_div_fixup_f32 v12, v12, v31, 1.0
	v_mul_f32_e32 v12, v28, v12
	v_mul_f32_e32 v13, 0x40549a78, v12
	v_fma_f32 v26, v12, s14, -v13
	v_rndne_f32_e32 v28, v13
	v_fmac_f32_e32 v26, 0x33979a37, v12
	v_sub_f32_e32 v13, v13, v28
	v_add_f32_e32 v13, v13, v26
	v_cvt_i32_f32_e32 v28, v28
	v_exp_f32_e32 v13, v13
	v_cmp_ngt_f32_e32 vcc, s15, v12
	global_load_dword v31, v[24:25], off
	v_div_fixup_f32 v26, v41, v27, 1.0
	v_ldexp_f32 v13, v13, v28
	v_cndmask_b32_e32 v13, 0, v13, vcc
	v_cmp_nlt_f32_e32 vcc, s16, v12
	v_mul_f32_e32 v26, v42, v26
	s_nop 0
	v_cndmask_b32_e32 v12, v34, v13, vcc
	v_mul_f32_e32 v26, v26, v12
	v_mul_f32_e32 v12, v30, v26
	global_store_dword v[20:21], v12, off
	global_load_dword v27, v[22:23], off
	global_load_dword v28, v[10:11], off
	v_mul_f32_e32 v12, 0xbbb60b61, v38
	v_mul_f32_e32 v13, 0xba7d477b, v38
	v_mul_f32_e32 v10, 0x3fb8aa3b, v12
	v_mul_f32_e32 v11, 0x3fb8aa3b, v13
	v_fma_f32 v20, v12, s19, -v10
	v_rndne_f32_e32 v21, v10
	v_fma_f32 v30, v13, s19, -v11
	v_rndne_f32_e32 v40, v11
	v_fmac_f32_e32 v20, 0x32a5705f, v12
	v_sub_f32_e32 v10, v10, v21
	v_fmac_f32_e32 v30, 0x32a5705f, v13
	v_sub_f32_e32 v11, v11, v40
	v_add_f32_e32 v10, v10, v20
	v_cvt_i32_f32_e32 v41, v21
	v_add_f32_e32 v11, v11, v30
	v_exp_f32_e32 v30, v10
	v_cvt_i32_f32_e32 v40, v40
	v_exp_f32_e32 v42, v11
	v_lshl_add_u64 v[20:21], s[10:11], 0, v[16:17]
	v_ldexp_f32 v16, v30, v41
	v_cmp_ngt_f32_e32 vcc, s17, v12
	v_ldexp_f32 v17, v42, v40
	v_lshl_add_u64 v[10:11], s[10:11], 0, v[18:19]
	v_cndmask_b32_e32 v16, 0, v16, vcc
	v_cmp_ngt_f32_e32 vcc, s17, v13
	s_nop 1
	v_cndmask_b32_e32 v17, 0, v17, vcc
	v_cmp_nlt_f32_e32 vcc, s18, v12
	s_nop 1
	v_cndmask_b32_e32 v12, v34, v16, vcc
	v_mul_f32_e32 v16, 0xc5a94800, v39
	v_mul_f32_e32 v18, 0x3fb8aa3b, v16
	v_fma_f32 v19, v16, s19, -v18
	v_rndne_f32_e32 v30, v18
	v_fmac_f32_e32 v19, 0x32a5705f, v16
	v_sub_f32_e32 v18, v18, v30
	v_add_f32_e32 v18, v18, v19
	v_cvt_i32_f32_e32 v30, v30
	v_exp_f32_e32 v18, v18
	v_cmp_nlt_f32_e32 vcc, s18, v13
	s_waitcnt vmcnt(3)
	v_mul_f32_e32 v19, v31, v44
	v_cndmask_b32_e32 v13, v34, v17, vcc
	v_mul_f32_e32 v13, 0x3f3c0831, v13
	v_fmamk_f32 v12, v12, 0x3e87ef9e, v13
	v_ldexp_f32 v13, v18, v30
	v_cmp_ngt_f32_e32 vcc, s17, v16
	global_store_dword v[24:25], v19, off
	global_load_dword v25, v[20:21], off
	v_cndmask_b32_e32 v13, 0, v13, vcc
	v_cmp_nlt_f32_e32 vcc, s18, v16
	s_waitcnt vmcnt(3)
	v_div_scale_f32 v19, s[0:1], v27, v27, 1.0
	v_cndmask_b32_e32 v13, v34, v13, vcc
	v_add_f32_e32 v12, v13, v12
	v_max_f32_e32 v12, 0x800000, v12
	v_cmp_gt_f32_e32 vcc, s12, v12
	v_rcp_f32_e32 v24, v19
	s_waitcnt vmcnt(0)
	v_mul_f32_e32 v25, v25, v29
	v_cndmask_b32_e64 v13, 0, 32, vcc
	v_ldexp_f32 v12, v12, v13
	v_log_f32_e32 v16, v12
	v_cndmask_b32_e32 v17, 0, v35, vcc
	v_fma_f32 v31, -v19, v24, 1.0
	v_fmac_f32_e32 v24, v31, v24
	v_mul_f32_e32 v18, 0x3e9a209a, v16
	v_fma_f32 v18, v16, s6, -v18
	v_fmac_f32_e32 v18, 0x3284fbcf, v16
	v_fmac_f32_e32 v18, 0x3e9a209a, v16
	v_cmp_lt_f32_e64 vcc, |v16|, s7
	v_lshlrev_b64 v[12:13], 2, v[0:1]
	global_store_dword v[20:21], v25, off
	v_cndmask_b32_e32 v16, v16, v18, vcc
	v_div_scale_f32 v30, vcc, 1.0, v27, 1.0
	v_mul_f32_e32 v31, v30, v24
	v_fma_f32 v40, -v19, v31, v30
	v_fmac_f32_e32 v31, v40, v24
	v_fma_f32 v19, -v19, v31, v30
	v_div_fmas_f32 v19, v19, v24, v31
	v_div_fixup_f32 v19, v19, v27, 1.0
	v_mul_f32_e32 v19, v37, v19
	v_mul_f32_e32 v24, v28, v19
	v_fma_f32 v19, v28, v19, 1.0
	v_div_scale_f32 v28, s[0:1], v19, v19, 1.0
	v_max_f32_e32 v31, 0x800000, v24
	v_cmp_gt_f32_e64 s[0:1], s12, v31
	v_rcp_f32_e32 v40, v28
	v_div_scale_f32 v30, vcc, 1.0, v19, 1.0
	v_cndmask_b32_e64 v41, 0, 32, s[0:1]
	v_ldexp_f32 v31, v31, v41
	v_log_f32_e32 v31, v31
	v_fma_f32 v42, -v28, v40, 1.0
	v_fmac_f32_e32 v40, v42, v40
	v_mul_f32_e32 v42, v30, v40
	v_mul_f32_e32 v43, 0x3e9a209a, v31
	v_fma_f32 v43, v31, s6, -v43
	v_fma_f32 v44, -v28, v42, v30
	v_fmac_f32_e32 v43, 0x3284fbcf, v31
	v_cndmask_b32_e64 v41, 0, v35, s[0:1]
	v_fmac_f32_e32 v42, v44, v40
	v_fmac_f32_e32 v43, 0x3e9a209a, v31
	v_cmp_lt_f32_e64 s[0:1], |v31|, s7
	v_sub_f32_e32 v18, v16, v17
	v_fma_f32 v28, -v28, v42, v30
	v_cndmask_b32_e64 v30, v31, v43, s[0:1]
	v_fmamk_f32 v17, v18, 0x3f2b851f, v36
	v_sub_f32_e32 v30, v30, v41
	v_fmamk_f32 v16, v18, 0xbfa28f5c, v33
	v_sub_f32_e32 v17, v30, v17
	v_fmac_f32_e32 v16, 0xbe0f5c29, v17
	v_div_scale_f32 v30, s[0:1], v16, v16, 1.0
	v_rcp_f32_e32 v31, v30
	v_div_fmas_f32 v28, v28, v40, v42
	v_div_scale_f32 v40, vcc, 1.0, v16, 1.0
	v_fma_f32 v41, -v30, v31, 1.0
	v_fmac_f32_e32 v31, v41, v31
	v_mul_f32_e32 v41, v40, v31
	v_fma_f32 v42, -v30, v41, v40
	v_fmac_f32_e32 v41, v42, v31
	v_fma_f32 v30, -v30, v41, v40
	v_div_fmas_f32 v30, v30, v31, v41
	v_div_fixup_f32 v16, v30, v16, 1.0
	v_mul_f32_e32 v16, v17, v16
	v_fma_f32 v30, v16, v16, 1.0
	v_div_scale_f32 v31, s[0:1], v30, v30, 1.0
	v_rcp_f32_e32 v40, v31
	v_div_scale_f32 v41, vcc, 1.0, v30, 1.0
	v_div_fixup_f32 v19, v28, v19, 1.0
	v_fma_f32 v42, -v31, v40, 1.0
	v_fmac_f32_e32 v40, v42, v40
	v_mul_f32_e32 v42, v41, v40
	v_fma_f32 v43, -v31, v42, v41
	v_fmac_f32_e32 v42, v43, v40
	v_fma_f32 v31, -v31, v42, v41
	v_div_fmas_f32 v31, v31, v40, v42
	v_div_fixup_f32 v30, v31, v30, 1.0
	v_mul_f32_e32 v18, v18, v30
	v_mul_f32_e32 v30, 0x40549a78, v18
	v_fma_f32 v31, v18, s14, -v30
	v_rndne_f32_e32 v40, v30
	v_fmac_f32_e32 v31, 0x33979a37, v18
	v_sub_f32_e32 v30, v30, v40
	v_add_f32_e32 v30, v30, v31
	v_cvt_i32_f32_e32 v40, v40
	v_exp_f32_e32 v30, v30
	v_mul_f32_e32 v19, v24, v19
	v_cmp_ngt_f32_e32 vcc, s15, v18
	v_lshl_add_u64 v[16:17], s[8:9], 0, v[12:13]
	v_ldexp_f32 v24, v30, v40
	v_cndmask_b32_e32 v24, 0, v24, vcc
	v_cmp_nlt_f32_e32 vcc, s16, v18
	global_load_dword v25, v[8:9], off
	v_lshl_add_u64 v[8:9], s[10:11], 0, v[14:15]
	v_cndmask_b32_e32 v18, v34, v24, vcc
	v_mul_f32_e32 v24, v19, v18
	v_mul_f32_e32 v18, v27, v24
	global_store_dword v[22:23], v18, off
	global_load_dword v22, v[16:17], off
	v_mul_f32_e32 v14, 0xbb9c09c1, v38
	global_load_dword v23, v[10:11], off
	v_mul_f32_e32 v15, 0xba853408, v38
	v_mul_f32_e32 v18, 0x3fb8aa3b, v14
	;; [unrolled: 1-line block ×3, first 2 shown]
	v_fma_f32 v20, v14, s19, -v18
	v_rndne_f32_e32 v21, v18
	v_fma_f32 v27, v15, s19, -v19
	v_rndne_f32_e32 v28, v19
	v_fmac_f32_e32 v20, 0x32a5705f, v14
	v_sub_f32_e32 v18, v18, v21
	v_fmac_f32_e32 v27, 0x32a5705f, v15
	v_sub_f32_e32 v19, v19, v28
	v_add_f32_e32 v18, v18, v20
	v_cvt_i32_f32_e32 v21, v21
	v_add_f32_e32 v19, v19, v27
	v_exp_f32_e32 v20, v18
	v_cvt_i32_f32_e32 v28, v28
	v_exp_f32_e32 v27, v19
	v_mad_u64_u32 v[18:19], s[0:1], s13, 14, v[0:1]
	v_ldexp_f32 v0, v20, v21
	v_cmp_ngt_f32_e32 vcc, s17, v14
	v_ldexp_f32 v20, v27, v28
	v_mov_b32_e32 v19, v1
	v_cndmask_b32_e32 v0, 0, v0, vcc
	v_cmp_ngt_f32_e32 vcc, s17, v15
	s_waitcnt vmcnt(0)
	v_mul_f32_e32 v23, v23, v26
	v_cndmask_b32_e32 v20, 0, v20, vcc
	v_cmp_nlt_f32_e32 vcc, s18, v14
	v_mul_f32_e32 v14, 0xc588b000, v39
	v_mul_f32_e32 v21, 0x3fb8aa3b, v14
	v_fma_f32 v27, v14, s19, -v21
	v_rndne_f32_e32 v28, v21
	v_fmac_f32_e32 v27, 0x32a5705f, v14
	v_sub_f32_e32 v21, v21, v28
	v_add_f32_e32 v21, v21, v27
	v_cvt_i32_f32_e32 v28, v28
	v_exp_f32_e32 v21, v21
	v_cndmask_b32_e32 v0, v34, v0, vcc
	v_cmp_nlt_f32_e32 vcc, s18, v15
	global_store_dword v[10:11], v23, off
	s_nop 0
	v_cndmask_b32_e32 v15, v34, v20, vcc
	v_mul_f32_e32 v15, 0x3f79ad43, v15
	v_fmamk_f32 v0, v0, 0x3cca57a8, v15
	v_ldexp_f32 v15, v21, v28
	v_cmp_ngt_f32_e32 vcc, s17, v14
	v_div_scale_f32 v28, s[0:1], v22, v22, 1.0
	s_nop 0
	v_cndmask_b32_e32 v15, 0, v15, vcc
	v_cmp_nlt_f32_e32 vcc, s18, v14
	v_rcp_f32_e32 v29, v28
	v_lshlrev_b64 v[20:21], 2, v[18:19]
	v_cndmask_b32_e32 v14, v34, v15, vcc
	v_add_f32_e32 v0, v14, v0
	v_max_f32_e32 v0, 0x800000, v0
	v_cmp_gt_f32_e32 vcc, s12, v0
	v_fma_f32 v30, -v28, v29, 1.0
	v_fmac_f32_e32 v29, v30, v29
	v_cndmask_b32_e64 v14, 0, 32, vcc
	v_ldexp_f32 v0, v0, v14
	v_log_f32_e32 v0, v0
	v_cndmask_b32_e32 v19, 0, v35, vcc
	v_lshl_add_u64 v[14:15], s[8:9], 0, v[20:21]
	v_mul_f32_e32 v27, 0x3e9a209a, v0
	v_fma_f32 v27, v0, s6, -v27
	v_fmac_f32_e32 v27, 0x3284fbcf, v0
	v_fmac_f32_e32 v27, 0x3e9a209a, v0
	v_cmp_lt_f32_e64 vcc, |v0|, s7
	s_nop 1
	v_cndmask_b32_e32 v0, v0, v27, vcc
	v_div_scale_f32 v26, vcc, 1.0, v22, 1.0
	v_mul_f32_e32 v30, v26, v29
	v_fma_f32 v31, -v28, v30, v26
	v_fmac_f32_e32 v30, v31, v29
	v_fma_f32 v26, -v28, v30, v26
	v_div_fmas_f32 v26, v26, v29, v30
	v_div_fixup_f32 v26, v26, v22, 1.0
	v_mul_f32_e32 v26, v37, v26
	v_mul_f32_e32 v28, v25, v26
	v_fma_f32 v25, v25, v26, 1.0
	v_div_scale_f32 v26, s[0:1], v25, v25, 1.0
	v_max_f32_e32 v30, 0x800000, v28
	v_cmp_gt_f32_e64 s[0:1], s12, v30
	v_rcp_f32_e32 v31, v26
	v_div_scale_f32 v29, vcc, 1.0, v25, 1.0
	v_cndmask_b32_e64 v40, 0, 32, s[0:1]
	v_ldexp_f32 v30, v30, v40
	v_log_f32_e32 v30, v30
	v_fma_f32 v41, -v26, v31, 1.0
	v_fmac_f32_e32 v31, v41, v31
	v_mul_f32_e32 v41, v29, v31
	v_mul_f32_e32 v42, 0x3e9a209a, v30
	v_fma_f32 v42, v30, s6, -v42
	v_fma_f32 v43, -v26, v41, v29
	v_fmac_f32_e32 v42, 0x3284fbcf, v30
	v_cndmask_b32_e64 v40, 0, v35, s[0:1]
	v_fmac_f32_e32 v41, v43, v31
	v_fmac_f32_e32 v42, 0x3e9a209a, v30
	v_cmp_lt_f32_e64 s[0:1], |v30|, s7
	v_sub_f32_e32 v0, v0, v19
	v_fma_f32 v26, -v26, v41, v29
	v_cndmask_b32_e64 v29, v30, v42, s[0:1]
	v_fmamk_f32 v27, v0, 0x3f2b851f, v36
	v_sub_f32_e32 v29, v29, v40
	v_fmamk_f32 v19, v0, 0xbfa28f5c, v33
	v_sub_f32_e32 v27, v29, v27
	v_fmac_f32_e32 v19, 0xbe0f5c29, v27
	v_div_scale_f32 v29, s[0:1], v19, v19, 1.0
	v_rcp_f32_e32 v30, v29
	v_div_fmas_f32 v26, v26, v31, v41
	v_div_scale_f32 v31, vcc, 1.0, v19, 1.0
	v_fma_f32 v40, -v29, v30, 1.0
	v_fmac_f32_e32 v30, v40, v30
	v_mul_f32_e32 v40, v31, v30
	v_fma_f32 v41, -v29, v40, v31
	v_fmac_f32_e32 v40, v41, v30
	v_fma_f32 v29, -v29, v40, v31
	v_div_fmas_f32 v29, v29, v30, v40
	v_div_fixup_f32 v19, v29, v19, 1.0
	v_mul_f32_e32 v19, v27, v19
	v_fma_f32 v19, v19, v19, 1.0
	v_div_scale_f32 v27, s[0:1], v19, v19, 1.0
	v_rcp_f32_e32 v29, v27
	v_div_scale_f32 v10, vcc, 1.0, v19, 1.0
	v_fma_f32 v11, -v27, v29, 1.0
	v_fmac_f32_e32 v29, v11, v29
	v_mul_f32_e32 v11, v10, v29
	v_fma_f32 v23, -v27, v11, v10
	v_fmac_f32_e32 v11, v23, v29
	v_fma_f32 v10, -v27, v11, v10
	v_div_fmas_f32 v10, v10, v29, v11
	v_div_fixup_f32 v10, v10, v19, 1.0
	v_mul_f32_e32 v0, v0, v10
	v_mul_f32_e32 v10, 0x40549a78, v0
	v_fma_f32 v11, v0, s14, -v10
	v_rndne_f32_e32 v19, v10
	v_fmac_f32_e32 v11, 0x33979a37, v0
	v_sub_f32_e32 v10, v10, v19
	v_add_f32_e32 v10, v10, v11
	v_cvt_i32_f32_e32 v19, v19
	v_exp_f32_e32 v10, v10
	v_cmp_ngt_f32_e32 vcc, s15, v0
	v_div_fixup_f32 v11, v26, v25, 1.0
	global_load_dword v23, v[8:9], off
	v_ldexp_f32 v10, v10, v19
	v_cndmask_b32_e32 v10, 0, v10, vcc
	v_cmp_nlt_f32_e32 vcc, s16, v0
	v_mul_f32_e32 v11, v28, v11
	s_nop 0
	v_cndmask_b32_e32 v0, v34, v10, vcc
	v_mul_f32_e32 v19, v11, v0
	v_mul_f32_e32 v0, v22, v19
	global_store_dword v[16:17], v0, off
	global_load_dword v0, v[14:15], off
	v_mul_f32_e32 v16, 0xbc03126f, v38
	global_load_dword v22, v[6:7], off
	v_mul_f32_e32 v17, 0xb9ec45af, v38
	v_mul_f32_e32 v6, 0x3fb8aa3b, v16
	v_lshl_add_u64 v[10:11], s[10:11], 0, v[12:13]
	v_mul_f32_e32 v7, 0x3fb8aa3b, v17
	v_fma_f32 v12, v16, s19, -v6
	v_rndne_f32_e32 v13, v6
	v_fma_f32 v25, v17, s19, -v7
	v_rndne_f32_e32 v26, v7
	v_fmac_f32_e32 v12, 0x32a5705f, v16
	v_sub_f32_e32 v6, v6, v13
	v_fmac_f32_e32 v25, 0x32a5705f, v17
	v_sub_f32_e32 v7, v7, v26
	v_add_f32_e32 v6, v6, v12
	v_cvt_i32_f32_e32 v27, v13
	v_add_f32_e32 v7, v7, v25
	v_exp_f32_e32 v25, v6
	v_cvt_i32_f32_e32 v26, v26
	v_exp_f32_e32 v28, v7
	v_mad_u64_u32 v[12:13], s[0:1], s13, 15, v[18:19]
	v_ldexp_f32 v13, v25, v27
	v_cmp_ngt_f32_e32 vcc, s17, v16
	v_ldexp_f32 v18, v28, v26
	v_lshl_add_u64 v[6:7], s[10:11], 0, v[20:21]
	v_cndmask_b32_e32 v13, 0, v13, vcc
	v_cmp_ngt_f32_e32 vcc, s17, v17
	s_nop 1
	v_cndmask_b32_e32 v18, 0, v18, vcc
	v_cmp_nlt_f32_e32 vcc, s18, v16
	v_mul_f32_e32 v16, 0xc5d71000, v39
	v_mul_f32_e32 v20, 0x3fb8aa3b, v16
	v_fma_f32 v21, v16, s19, -v20
	v_rndne_f32_e32 v25, v20
	v_fmac_f32_e32 v21, 0x32a5705f, v16
	v_sub_f32_e32 v20, v20, v25
	v_add_f32_e32 v20, v20, v21
	v_cvt_i32_f32_e32 v25, v25
	v_exp_f32_e32 v20, v20
	v_cndmask_b32_e32 v13, v34, v13, vcc
	v_cmp_nlt_f32_e32 vcc, s18, v17
	s_waitcnt vmcnt(3)
	v_mul_f32_e32 v21, v23, v24
	v_cndmask_b32_e32 v17, v34, v18, vcc
	v_mul_f32_e32 v17, 0x3f579a6b, v17
	v_fmamk_f32 v13, v13, 0x3e219653, v17
	v_ldexp_f32 v17, v20, v25
	v_cmp_ngt_f32_e32 vcc, s17, v16
	global_store_dword v[8:9], v21, off
	global_load_dword v21, v[10:11], off
	v_cndmask_b32_e32 v17, 0, v17, vcc
	v_cmp_nlt_f32_e32 vcc, s18, v16
	s_waitcnt vmcnt(3)
	v_div_scale_f32 v8, s[0:1], v0, v0, 1.0
	v_cndmask_b32_e32 v16, v34, v17, vcc
	v_add_f32_e32 v13, v16, v13
	v_max_f32_e32 v13, 0x800000, v13
	v_cmp_gt_f32_e32 vcc, s12, v13
	v_rcp_f32_e32 v9, v8
	s_waitcnt vmcnt(0)
	v_mul_f32_e32 v19, v21, v19
	v_cndmask_b32_e64 v16, 0, 32, vcc
	v_ldexp_f32 v13, v13, v16
	v_log_f32_e32 v18, v13
	v_mov_b32_e32 v13, v1
	v_lshlrev_b64 v[16:17], 2, v[12:13]
	v_cndmask_b32_e32 v13, 0, v35, vcc
	v_mul_f32_e32 v20, 0x3e9a209a, v18
	v_fma_f32 v20, v18, s6, -v20
	v_fmac_f32_e32 v20, 0x3284fbcf, v18
	v_fmac_f32_e32 v20, 0x3e9a209a, v18
	v_cmp_lt_f32_e64 vcc, |v18|, s7
	v_fma_f32 v24, -v8, v9, 1.0
	v_fmac_f32_e32 v9, v24, v9
	v_cndmask_b32_e32 v18, v18, v20, vcc
	v_div_scale_f32 v23, vcc, 1.0, v0, 1.0
	v_mul_f32_e32 v24, v23, v9
	v_fma_f32 v25, -v8, v24, v23
	v_fmac_f32_e32 v24, v25, v9
	v_fma_f32 v8, -v8, v24, v23
	v_div_fmas_f32 v8, v8, v9, v24
	v_div_fixup_f32 v8, v8, v0, 1.0
	v_mul_f32_e32 v8, v37, v8
	v_mul_f32_e32 v23, v22, v8
	v_fma_f32 v22, v22, v8, 1.0
	v_div_scale_f32 v8, s[0:1], v22, v22, 1.0
	v_max_f32_e32 v24, 0x800000, v23
	v_cmp_gt_f32_e64 s[0:1], s12, v24
	v_rcp_f32_e32 v25, v8
	v_div_scale_f32 v9, vcc, 1.0, v22, 1.0
	v_cndmask_b32_e64 v26, 0, 32, s[0:1]
	v_ldexp_f32 v24, v24, v26
	v_log_f32_e32 v24, v24
	v_fma_f32 v27, -v8, v25, 1.0
	v_fmac_f32_e32 v25, v27, v25
	v_mul_f32_e32 v27, v9, v25
	v_mul_f32_e32 v28, 0x3e9a209a, v24
	v_fma_f32 v28, v24, s6, -v28
	v_fma_f32 v29, -v8, v27, v9
	v_fmac_f32_e32 v28, 0x3284fbcf, v24
	v_cndmask_b32_e64 v26, 0, v35, s[0:1]
	v_fmac_f32_e32 v27, v29, v25
	v_fmac_f32_e32 v28, 0x3e9a209a, v24
	v_cmp_lt_f32_e64 s[0:1], |v24|, s7
	v_sub_f32_e32 v13, v18, v13
	v_fma_f32 v8, -v8, v27, v9
	v_cndmask_b32_e64 v9, v24, v28, s[0:1]
	v_fmamk_f32 v20, v13, 0x3f2b851f, v36
	v_sub_f32_e32 v9, v9, v26
	v_fmamk_f32 v18, v13, 0xbfa28f5c, v33
	v_sub_f32_e32 v9, v9, v20
	v_fmac_f32_e32 v18, 0xbe0f5c29, v9
	v_div_scale_f32 v20, s[0:1], v18, v18, 1.0
	v_rcp_f32_e32 v24, v20
	v_div_fmas_f32 v25, v8, v25, v27
	v_div_scale_f32 v8, vcc, 1.0, v18, 1.0
	v_fma_f32 v26, -v20, v24, 1.0
	v_fmac_f32_e32 v24, v26, v24
	v_mul_f32_e32 v26, v8, v24
	v_fma_f32 v27, -v20, v26, v8
	v_fmac_f32_e32 v26, v27, v24
	v_fma_f32 v8, -v20, v26, v8
	v_div_fmas_f32 v8, v8, v24, v26
	v_div_fixup_f32 v8, v8, v18, 1.0
	v_mul_f32_e32 v8, v9, v8
	v_fma_f32 v18, v8, v8, 1.0
	v_div_scale_f32 v20, s[0:1], v18, v18, 1.0
	v_rcp_f32_e32 v24, v20
	v_div_scale_f32 v26, vcc, 1.0, v18, 1.0
	v_lshl_add_u64 v[8:9], s[8:9], 0, v[16:17]
	v_fma_f32 v27, -v20, v24, 1.0
	v_fmac_f32_e32 v24, v27, v24
	v_mul_f32_e32 v27, v26, v24
	v_fma_f32 v28, -v20, v27, v26
	v_fmac_f32_e32 v27, v28, v24
	v_fma_f32 v20, -v20, v27, v26
	v_div_fmas_f32 v20, v20, v24, v27
	v_div_fixup_f32 v18, v20, v18, 1.0
	v_mul_f32_e32 v13, v13, v18
	v_mul_f32_e32 v18, 0x40549a78, v13
	v_fma_f32 v20, v13, s14, -v18
	v_rndne_f32_e32 v24, v18
	v_fmac_f32_e32 v20, 0x33979a37, v13
	v_sub_f32_e32 v18, v18, v24
	v_add_f32_e32 v18, v18, v20
	v_cvt_i32_f32_e32 v24, v24
	v_exp_f32_e32 v18, v18
	v_cmp_ngt_f32_e32 vcc, s15, v13
	v_div_fixup_f32 v20, v25, v22, 1.0
	v_mul_f32_e32 v20, v23, v20
	v_ldexp_f32 v18, v18, v24
	v_cndmask_b32_e32 v18, 0, v18, vcc
	v_cmp_nlt_f32_e32 vcc, s16, v13
	global_store_dword v[10:11], v19, off
	v_mul_f32_e32 v10, 0xba6f0d37, v38
	v_cndmask_b32_e32 v13, v34, v18, vcc
	v_mul_f32_e32 v18, v20, v13
	v_mul_f32_e32 v0, v0, v18
	global_store_dword v[14:15], v0, off
	global_load_dword v13, v[8:9], off
	v_mul_f32_e32 v0, 0x3fb8aa3b, v10
	global_load_dword v14, v[6:7], off
	global_load_dword v15, v[4:5], off
	v_fma_f32 v4, v10, s19, -v0
	v_rndne_f32_e32 v5, v0
	v_fmac_f32_e32 v4, 0x32a5705f, v10
	v_sub_f32_e32 v0, v0, v5
	v_add_f32_e32 v0, v0, v4
	v_cvt_i32_f32_e32 v11, v5
	v_exp_f32_e32 v19, v0
	v_add_u32_e32 v0, s20, v12
	v_lshlrev_b64 v[4:5], 2, v[0:1]
	v_mul_f32_e32 v1, 0xc5d65c00, v39
	v_ldexp_f32 v0, v19, v11
	v_mul_f32_e32 v11, 0x3fb8aa3b, v1
	v_fma_f32 v12, v1, s19, -v11
	v_rndne_f32_e32 v19, v11
	v_fmac_f32_e32 v12, 0x32a5705f, v1
	v_sub_f32_e32 v11, v11, v19
	v_add_f32_e32 v11, v11, v12
	v_cmp_ngt_f32_e32 vcc, s17, v10
	v_cvt_i32_f32_e32 v19, v19
	v_exp_f32_e32 v11, v11
	v_cndmask_b32_e32 v0, 0, v0, vcc
	v_cmp_nlt_f32_e32 vcc, s18, v10
	s_waitcnt vmcnt(1)
	v_mul_f32_e32 v14, v14, v18
	v_cndmask_b32_e32 v0, v34, v0, vcc
	v_mul_f32_e32 v10, 0x3ca3d70a, v0
	v_fmamk_f32 v0, v0, 0x3f7ae148, v10
	v_ldexp_f32 v10, v11, v19
	v_cmp_ngt_f32_e32 vcc, s17, v1
	v_div_scale_f32 v19, s[0:1], v13, v13, 1.0
	s_nop 0
	v_cndmask_b32_e32 v10, 0, v10, vcc
	v_cmp_nlt_f32_e32 vcc, s18, v1
	v_rcp_f32_e32 v20, v19
	global_store_dword v[6:7], v14, off
	v_cndmask_b32_e32 v1, v34, v10, vcc
	v_add_f32_e32 v0, v1, v0
	v_max_f32_e32 v0, 0x800000, v0
	v_cmp_gt_f32_e32 vcc, s12, v0
	v_lshl_add_u64 v[10:11], s[10:11], 0, v[16:17]
	v_fma_f32 v21, -v19, v20, 1.0
	v_cndmask_b32_e64 v1, 0, 32, vcc
	v_ldexp_f32 v0, v0, v1
	v_log_f32_e32 v12, v0
	v_cndmask_b32_e32 v16, 0, v35, vcc
	v_fmac_f32_e32 v20, v21, v20
	v_lshl_add_u64 v[0:1], s[8:9], 0, v[4:5]
	v_mul_f32_e32 v17, 0x3e9a209a, v12
	v_fma_f32 v17, v12, s6, -v17
	v_fmac_f32_e32 v17, 0x3284fbcf, v12
	v_fmac_f32_e32 v17, 0x3e9a209a, v12
	v_cmp_lt_f32_e64 vcc, |v12|, s7
	s_nop 1
	v_cndmask_b32_e32 v12, v12, v17, vcc
	v_div_scale_f32 v18, vcc, 1.0, v13, 1.0
	v_mul_f32_e32 v21, v18, v20
	v_fma_f32 v22, -v19, v21, v18
	v_fmac_f32_e32 v21, v22, v20
	v_fma_f32 v18, -v19, v21, v18
	v_div_fmas_f32 v18, v18, v20, v21
	v_div_fixup_f32 v18, v18, v13, 1.0
	v_mul_f32_e32 v18, v37, v18
	s_waitcnt vmcnt(1)
	v_mul_f32_e32 v19, v15, v18
	v_fma_f32 v15, v15, v18, 1.0
	v_div_scale_f32 v18, s[0:1], v15, v15, 1.0
	v_max_f32_e32 v21, 0x800000, v19
	v_cmp_gt_f32_e64 s[0:1], s12, v21
	v_rcp_f32_e32 v22, v18
	v_div_scale_f32 v20, vcc, 1.0, v15, 1.0
	v_cndmask_b32_e64 v23, 0, 32, s[0:1]
	v_ldexp_f32 v21, v21, v23
	v_log_f32_e32 v21, v21
	v_fma_f32 v24, -v18, v22, 1.0
	v_fmac_f32_e32 v22, v24, v22
	v_mul_f32_e32 v24, v20, v22
	v_mul_f32_e32 v25, 0x3e9a209a, v21
	v_fma_f32 v25, v21, s6, -v25
	v_fma_f32 v26, -v18, v24, v20
	v_fmac_f32_e32 v25, 0x3284fbcf, v21
	v_cndmask_b32_e64 v23, 0, v35, s[0:1]
	v_fmac_f32_e32 v24, v26, v22
	v_fmac_f32_e32 v25, 0x3e9a209a, v21
	v_cmp_lt_f32_e64 s[0:1], |v21|, s7
	v_sub_f32_e32 v12, v12, v16
	v_fma_f32 v18, -v18, v24, v20
	v_cndmask_b32_e64 v20, v21, v25, s[0:1]
	v_fmamk_f32 v17, v12, 0x3f2b851f, v36
	v_sub_f32_e32 v20, v20, v23
	v_fmamk_f32 v16, v12, 0xbfa28f5c, v33
	v_sub_f32_e32 v17, v20, v17
	v_fmac_f32_e32 v16, 0xbe0f5c29, v17
	v_div_scale_f32 v20, s[0:1], v16, v16, 1.0
	v_rcp_f32_e32 v21, v20
	v_div_fmas_f32 v18, v18, v22, v24
	v_div_scale_f32 v22, vcc, 1.0, v16, 1.0
	v_fma_f32 v23, -v20, v21, 1.0
	v_fmac_f32_e32 v21, v23, v21
	v_mul_f32_e32 v23, v22, v21
	v_fma_f32 v24, -v20, v23, v22
	v_fmac_f32_e32 v23, v24, v21
	v_fma_f32 v20, -v20, v23, v22
	v_div_fmas_f32 v20, v20, v21, v23
	v_div_fixup_f32 v16, v20, v16, 1.0
	v_mul_f32_e32 v16, v17, v16
	v_fma_f32 v16, v16, v16, 1.0
	v_div_scale_f32 v17, s[0:1], v16, v16, 1.0
	v_rcp_f32_e32 v20, v17
	v_div_scale_f32 v6, vcc, 1.0, v16, 1.0
	v_div_fixup_f32 v15, v18, v15, 1.0
	v_fma_f32 v7, -v17, v20, 1.0
	v_fmac_f32_e32 v20, v7, v20
	v_mul_f32_e32 v7, v6, v20
	v_fma_f32 v14, -v17, v7, v6
	v_fmac_f32_e32 v7, v14, v20
	v_fma_f32 v6, -v17, v7, v6
	v_div_fmas_f32 v6, v6, v20, v7
	v_div_fixup_f32 v6, v6, v16, 1.0
	v_mul_f32_e32 v6, v12, v6
	v_mul_f32_e32 v7, 0x40549a78, v6
	v_fma_f32 v12, v6, s14, -v7
	v_rndne_f32_e32 v14, v7
	v_fmac_f32_e32 v12, 0x33979a37, v6
	v_sub_f32_e32 v7, v7, v14
	v_add_f32_e32 v7, v7, v12
	v_cvt_i32_f32_e32 v14, v14
	v_exp_f32_e32 v7, v7
	global_load_dword v12, v[10:11], off
	v_cmp_ngt_f32_e32 vcc, s15, v6
	v_mul_f32_e32 v15, v19, v15
	v_ldexp_f32 v7, v7, v14
	v_cndmask_b32_e32 v7, 0, v7, vcc
	v_cmp_nlt_f32_e32 vcc, s16, v6
	s_nop 1
	v_cndmask_b32_e32 v6, v34, v7, vcc
	v_mul_f32_e32 v7, v15, v6
	v_mul_f32_e32 v6, v13, v7
	global_store_dword v[8:9], v6, off
	global_load_dword v6, v[0:1], off
	s_nop 0
	global_load_dword v8, v[2:3], off
	v_mul_f32_e32 v2, 0xba83126f, v38
	v_mul_f32_e32 v3, 0xba481c24, v38
	;; [unrolled: 1-line block ×4, first 2 shown]
	v_fma_f32 v14, v2, s19, -v9
	v_rndne_f32_e32 v15, v9
	v_fma_f32 v16, v3, s19, -v13
	v_rndne_f32_e32 v17, v13
	v_fmac_f32_e32 v14, 0x32a5705f, v2
	v_sub_f32_e32 v9, v9, v15
	v_fmac_f32_e32 v16, 0x32a5705f, v3
	v_sub_f32_e32 v13, v13, v17
	v_add_f32_e32 v9, v9, v14
	v_cvt_i32_f32_e32 v15, v15
	v_add_f32_e32 v13, v13, v16
	v_exp_f32_e32 v9, v9
	v_cvt_i32_f32_e32 v17, v17
	v_exp_f32_e32 v13, v13
	v_cmp_ngt_f32_e32 vcc, s17, v2
	v_ldexp_f32 v9, v9, v15
	v_ldexp_f32 v13, v13, v17
	v_cndmask_b32_e32 v9, 0, v9, vcc
	v_cmp_ngt_f32_e32 vcc, s17, v3
	s_nop 1
	v_cndmask_b32_e32 v13, 0, v13, vcc
	v_cmp_nlt_f32_e32 vcc, s18, v2
	s_nop 1
	v_cndmask_b32_e32 v2, v34, v9, vcc
	v_mul_f32_e32 v9, 0xc73be100, v39
	v_mul_f32_e32 v14, 0x3fb8aa3b, v9
	v_fma_f32 v15, v9, s19, -v14
	v_rndne_f32_e32 v16, v14
	v_fmac_f32_e32 v15, 0x32a5705f, v9
	v_sub_f32_e32 v14, v14, v16
	v_add_f32_e32 v14, v14, v15
	v_cvt_i32_f32_e32 v16, v16
	v_exp_f32_e32 v14, v14
	v_cmp_nlt_f32_e32 vcc, s18, v3
	s_nop 1
	v_cndmask_b32_e32 v3, v34, v13, vcc
	v_fmac_f32_e32 v3, 0, v2
	v_ldexp_f32 v2, v14, v16
	v_cmp_ngt_f32_e32 vcc, s17, v9
	s_nop 1
	v_cndmask_b32_e32 v2, 0, v2, vcc
	v_cmp_nlt_f32_e32 vcc, s18, v9
	s_nop 1
	v_cndmask_b32_e32 v2, v34, v2, vcc
	v_add_f32_e32 v2, v2, v3
	v_max_f32_e32 v2, 0x800000, v2
	v_cmp_gt_f32_e32 vcc, s12, v2
	s_nop 1
	v_cndmask_b32_e64 v3, 0, 32, vcc
	v_ldexp_f32 v2, v2, v3
	v_log_f32_e32 v9, v2
	v_lshl_add_u64 v[2:3], s[10:11], 0, v[4:5]
	v_cndmask_b32_e32 v4, 0, v35, vcc
	v_mul_f32_e32 v5, 0x3e9a209a, v9
	v_fma_f32 v5, v9, s6, -v5
	v_fmac_f32_e32 v5, 0x3284fbcf, v9
	v_fmac_f32_e32 v5, 0x3e9a209a, v9
	v_cmp_lt_f32_e64 vcc, |v9|, s7
	s_nop 1
	v_cndmask_b32_e32 v5, v9, v5, vcc
	v_sub_f32_e32 v4, v5, v4
	s_waitcnt vmcnt(3)
	v_mul_f32_e32 v5, v12, v7
	global_store_dword v[10:11], v5, off
	global_load_dword v9, v[2:3], off
	s_waitcnt vmcnt(3)
	v_div_scale_f32 v5, s[0:1], v6, v6, 1.0
	v_rcp_f32_e32 v7, v5
	v_div_scale_f32 v10, vcc, 1.0, v6, 1.0
	v_fmac_f32_e32 v36, 0x3f2b851f, v4
	v_fma_f32 v11, -v5, v7, 1.0
	v_fmac_f32_e32 v7, v11, v7
	v_mul_f32_e32 v11, v10, v7
	v_fma_f32 v12, -v5, v11, v10
	v_fmac_f32_e32 v11, v12, v7
	v_fma_f32 v5, -v5, v11, v10
	v_div_fmas_f32 v5, v5, v7, v11
	v_div_fixup_f32 v5, v5, v6, 1.0
	v_mul_f32_e32 v5, v32, v5
	s_waitcnt vmcnt(2)
	v_mul_f32_e32 v7, v8, v5
	v_fma_f32 v5, v8, v5, 1.0
	v_div_scale_f32 v8, s[0:1], v5, v5, 1.0
	v_max_f32_e32 v11, 0x800000, v7
	v_cmp_gt_f32_e64 s[0:1], s12, v11
	v_rcp_f32_e32 v12, v8
	v_div_scale_f32 v10, vcc, 1.0, v5, 1.0
	v_cndmask_b32_e64 v13, 0, 32, s[0:1]
	v_ldexp_f32 v11, v11, v13
	v_log_f32_e32 v11, v11
	v_fma_f32 v14, -v8, v12, 1.0
	v_fmac_f32_e32 v12, v14, v12
	v_mul_f32_e32 v14, v10, v12
	v_mul_f32_e32 v15, 0x3e9a209a, v11
	v_fma_f32 v15, v11, s6, -v15
	v_fma_f32 v16, -v8, v14, v10
	v_fmac_f32_e32 v15, 0x3284fbcf, v11
	v_cndmask_b32_e64 v13, 0, v35, s[0:1]
	v_fmac_f32_e32 v14, v16, v12
	v_fmac_f32_e32 v15, 0x3e9a209a, v11
	v_cmp_lt_f32_e64 s[0:1], |v11|, s7
	v_fma_f32 v8, -v8, v14, v10
	v_fmac_f32_e32 v33, 0xbfa28f5c, v4
	v_cndmask_b32_e64 v10, v11, v15, s[0:1]
	v_sub_f32_e32 v10, v10, v13
	v_sub_f32_e32 v10, v10, v36
	v_fmac_f32_e32 v33, 0xbe0f5c29, v10
	v_div_scale_f32 v11, s[0:1], v33, v33, 1.0
	v_rcp_f32_e32 v13, v11
	v_div_fmas_f32 v8, v8, v12, v14
	v_div_scale_f32 v12, vcc, 1.0, v33, 1.0
	v_fma_f32 v14, -v11, v13, 1.0
	v_fmac_f32_e32 v13, v14, v13
	v_mul_f32_e32 v14, v12, v13
	v_fma_f32 v15, -v11, v14, v12
	v_fmac_f32_e32 v14, v15, v13
	v_fma_f32 v11, -v11, v14, v12
	v_div_fmas_f32 v11, v11, v13, v14
	v_div_fixup_f32 v11, v11, v33, 1.0
	v_mul_f32_e32 v10, v10, v11
	v_fma_f32 v10, v10, v10, 1.0
	v_div_scale_f32 v11, s[0:1], v10, v10, 1.0
	v_rcp_f32_e32 v12, v11
	v_div_scale_f32 v13, vcc, 1.0, v10, 1.0
	v_div_fixup_f32 v5, v8, v5, 1.0
	v_fma_f32 v14, -v11, v12, 1.0
	v_fmac_f32_e32 v12, v14, v12
	v_mul_f32_e32 v14, v13, v12
	v_fma_f32 v15, -v11, v14, v13
	v_fmac_f32_e32 v14, v15, v12
	v_fma_f32 v11, -v11, v14, v13
	v_div_fmas_f32 v11, v11, v12, v14
	v_div_fixup_f32 v10, v11, v10, 1.0
	v_mul_f32_e32 v4, v4, v10
	v_mul_f32_e32 v10, 0x40549a78, v4
	v_fma_f32 v11, v4, s14, -v10
	v_rndne_f32_e32 v12, v10
	v_fmac_f32_e32 v11, 0x33979a37, v4
	v_sub_f32_e32 v10, v10, v12
	v_add_f32_e32 v10, v10, v11
	v_cvt_i32_f32_e32 v12, v12
	v_exp_f32_e32 v10, v10
	v_mul_f32_e32 v5, v7, v5
	v_cmp_ngt_f32_e32 vcc, s15, v4
	v_ldexp_f32 v7, v10, v12
	s_nop 0
	v_cndmask_b32_e32 v7, 0, v7, vcc
	v_cmp_nlt_f32_e32 vcc, s16, v4
	s_nop 1
	v_cndmask_b32_e32 v4, v34, v7, vcc
	v_mul_f32_e32 v4, v5, v4
	v_mul_f32_e32 v5, v6, v4
	s_waitcnt vmcnt(0)
	v_mul_f32_e32 v4, v9, v4
	global_store_dword v[0:1], v5, off
	global_store_dword v[2:3], v4, off
	s_endpgm
	.section	.rodata,"a",@progbits
	.p2align	6, 0x0
	.amdhsa_kernel _Z12ratxb_kernelIfEvPKT_S2_PS0_S3_S2_S0_
		.amdhsa_group_segment_fixed_size 0
		.amdhsa_private_segment_fixed_size 0
		.amdhsa_kernarg_size 304
		.amdhsa_user_sgpr_count 2
		.amdhsa_user_sgpr_dispatch_ptr 0
		.amdhsa_user_sgpr_queue_ptr 0
		.amdhsa_user_sgpr_kernarg_segment_ptr 1
		.amdhsa_user_sgpr_dispatch_id 0
		.amdhsa_user_sgpr_kernarg_preload_length 0
		.amdhsa_user_sgpr_kernarg_preload_offset 0
		.amdhsa_user_sgpr_private_segment_size 0
		.amdhsa_uses_dynamic_stack 0
		.amdhsa_enable_private_segment 0
		.amdhsa_system_sgpr_workgroup_id_x 1
		.amdhsa_system_sgpr_workgroup_id_y 0
		.amdhsa_system_sgpr_workgroup_id_z 0
		.amdhsa_system_sgpr_workgroup_info 0
		.amdhsa_system_vgpr_workitem_id 0
		.amdhsa_next_free_vgpr 65
		.amdhsa_next_free_sgpr 21
		.amdhsa_accum_offset 68
		.amdhsa_reserve_vcc 1
		.amdhsa_float_round_mode_32 0
		.amdhsa_float_round_mode_16_64 0
		.amdhsa_float_denorm_mode_32 3
		.amdhsa_float_denorm_mode_16_64 3
		.amdhsa_dx10_clamp 1
		.amdhsa_ieee_mode 1
		.amdhsa_fp16_overflow 0
		.amdhsa_tg_split 0
		.amdhsa_exception_fp_ieee_invalid_op 0
		.amdhsa_exception_fp_denorm_src 0
		.amdhsa_exception_fp_ieee_div_zero 0
		.amdhsa_exception_fp_ieee_overflow 0
		.amdhsa_exception_fp_ieee_underflow 0
		.amdhsa_exception_fp_ieee_inexact 0
		.amdhsa_exception_int_div_zero 0
	.end_amdhsa_kernel
	.section	.text._Z12ratxb_kernelIfEvPKT_S2_PS0_S3_S2_S0_,"axG",@progbits,_Z12ratxb_kernelIfEvPKT_S2_PS0_S3_S2_S0_,comdat
.Lfunc_end13:
	.size	_Z12ratxb_kernelIfEvPKT_S2_PS0_S3_S2_S0_, .Lfunc_end13-_Z12ratxb_kernelIfEvPKT_S2_PS0_S3_S2_S0_
                                        ; -- End function
	.set _Z12ratxb_kernelIfEvPKT_S2_PS0_S3_S2_S0_.num_vgpr, 65
	.set _Z12ratxb_kernelIfEvPKT_S2_PS0_S3_S2_S0_.num_agpr, 0
	.set _Z12ratxb_kernelIfEvPKT_S2_PS0_S3_S2_S0_.numbered_sgpr, 21
	.set _Z12ratxb_kernelIfEvPKT_S2_PS0_S3_S2_S0_.num_named_barrier, 0
	.set _Z12ratxb_kernelIfEvPKT_S2_PS0_S3_S2_S0_.private_seg_size, 0
	.set _Z12ratxb_kernelIfEvPKT_S2_PS0_S3_S2_S0_.uses_vcc, 1
	.set _Z12ratxb_kernelIfEvPKT_S2_PS0_S3_S2_S0_.uses_flat_scratch, 0
	.set _Z12ratxb_kernelIfEvPKT_S2_PS0_S3_S2_S0_.has_dyn_sized_stack, 0
	.set _Z12ratxb_kernelIfEvPKT_S2_PS0_S3_S2_S0_.has_recursion, 0
	.set _Z12ratxb_kernelIfEvPKT_S2_PS0_S3_S2_S0_.has_indirect_call, 0
	.section	.AMDGPU.csdata,"",@progbits
; Kernel info:
; codeLenInByte = 10624
; TotalNumSgprs: 27
; NumVgprs: 65
; NumAgprs: 0
; TotalNumVgprs: 65
; ScratchSize: 0
; MemoryBound: 0
; FloatMode: 240
; IeeeMode: 1
; LDSByteSize: 0 bytes/workgroup (compile time only)
; SGPRBlocks: 3
; VGPRBlocks: 8
; NumSGPRsForWavesPerEU: 27
; NumVGPRsForWavesPerEU: 65
; AccumOffset: 68
; Occupancy: 7
; WaveLimiterHint : 0
; COMPUTE_PGM_RSRC2:SCRATCH_EN: 0
; COMPUTE_PGM_RSRC2:USER_SGPR: 2
; COMPUTE_PGM_RSRC2:TRAP_HANDLER: 0
; COMPUTE_PGM_RSRC2:TGID_X_EN: 1
; COMPUTE_PGM_RSRC2:TGID_Y_EN: 0
; COMPUTE_PGM_RSRC2:TGID_Z_EN: 0
; COMPUTE_PGM_RSRC2:TIDIG_COMP_CNT: 0
; COMPUTE_PGM_RSRC3_GFX90A:ACCUM_OFFSET: 16
; COMPUTE_PGM_RSRC3_GFX90A:TG_SPLIT: 0
	.section	.text._Z12ratx2_kernelIfEvPKT_PS0_S3_,"axG",@progbits,_Z12ratx2_kernelIfEvPKT_PS0_S3_,comdat
	.protected	_Z12ratx2_kernelIfEvPKT_PS0_S3_ ; -- Begin function _Z12ratx2_kernelIfEvPKT_PS0_S3_
	.globl	_Z12ratx2_kernelIfEvPKT_PS0_S3_
	.p2align	8
	.type	_Z12ratx2_kernelIfEvPKT_PS0_S3_,@function
_Z12ratx2_kernelIfEvPKT_PS0_S3_:        ; @_Z12ratx2_kernelIfEvPKT_PS0_S3_
; %bb.0:
	s_load_dword s3, s[0:1], 0x24
	s_load_dwordx4 s[4:7], s[0:1], 0x0
	s_load_dword s8, s[0:1], 0x18
	v_mov_b32_e32 v1, 0
	v_mov_b32_e32 v3, v1
	s_waitcnt lgkmcnt(0)
	s_and_b32 s0, s3, 0xffff
	s_mul_i32 s2, s2, s0
	v_add_u32_e32 v0, s2, v0
	s_mul_i32 s0, s8, s0
	v_add_u32_e32 v2, s0, v0
	s_lshl_b32 s1, s0, 1
	v_lshlrev_b64 v[6:7], 2, v[0:1]
	v_lshlrev_b64 v[8:9], 2, v[2:3]
	v_add_u32_e32 v2, s1, v2
	v_add_u32_e32 v0, s1, v0
	v_lshl_add_u64 v[10:11], s[6:7], 0, v[6:7]
	v_lshl_add_u64 v[4:5], s[4:5], 0, v[8:9]
	v_lshlrev_b64 v[12:13], 2, v[2:3]
	v_lshlrev_b64 v[14:15], 2, v[0:1]
	global_load_dword v18, v[10:11], off
	global_load_dword v44, v[4:5], off
	v_lshl_add_u64 v[2:3], s[4:5], 0, v[12:13]
	v_lshl_add_u64 v[16:17], s[6:7], 0, v[8:9]
	;; [unrolled: 1-line block ×3, first 2 shown]
	global_load_dword v45, v[8:9], off
	global_load_dword v28, v[2:3], off
	v_lshl_add_u64 v[34:35], s[4:5], 0, v[6:7]
	v_add_u32_e32 v0, s1, v0
	v_lshl_add_u64 v[12:13], s[6:7], 0, v[12:13]
	s_waitcnt vmcnt(2)
	v_mul_f32_e32 v6, v18, v44
	s_waitcnt vmcnt(0)
	v_mul_f32_e32 v6, v6, v28
	global_store_dword v[10:11], v6, off
	global_load_dword v18, v[16:17], off
	global_load_dword v19, v[34:35], off
	v_lshl_add_u64 v[10:11], s[6:7], 0, v[14:15]
	v_lshl_add_u64 v[6:7], v[0:1], 2, s[4:5]
	global_load_dword v46, v[6:7], off
	v_add_u32_e32 v0, s0, v0
	s_waitcnt vmcnt(2)
	v_mul_f32_e32 v14, v18, v45
	s_waitcnt vmcnt(1)
	v_mul_f32_e32 v14, v14, v19
	global_store_dword v[16:17], v14, off
	global_load_dword v14, v[10:11], off
	s_waitcnt vmcnt(0)
	v_mul_f32_e32 v14, v14, v46
	v_mul_f32_e32 v14, v19, v14
	global_store_dword v[10:11], v14, off
	global_load_dword v16, v[12:13], off
	v_lshlrev_b64 v[10:11], 2, v[0:1]
	v_lshl_add_u64 v[14:15], s[6:7], 0, v[10:11]
	v_add_u32_e32 v0, s0, v0
	v_lshl_add_u64 v[32:33], s[4:5], 0, v[10:11]
	global_load_dword v29, v[32:33], off
	s_waitcnt vmcnt(1)
	v_mul_f32_e32 v16, v46, v16
	v_mul_f32_e32 v16, v46, v16
	global_store_dword v[12:13], v16, off
	global_load_dword v18, v[14:15], off
	v_lshlrev_b64 v[12:13], 2, v[0:1]
	v_lshl_add_u64 v[16:17], s[6:7], 0, v[12:13]
	v_add_u32_e32 v0, s0, v0
	s_waitcnt vmcnt(0)
	v_mul_f32_e32 v18, v44, v18
	v_mul_f32_e32 v18, v44, v18
	;; [unrolled: 1-line block ×3, first 2 shown]
	global_store_dword v[14:15], v18, off
	global_load_dword v14, v[16:17], off
	v_lshlrev_b64 v[18:19], 2, v[0:1]
	v_lshl_add_u64 v[10:11], s[6:7], 0, v[18:19]
	v_lshl_add_u32 v0, s0, 2, v0
	v_lshl_add_u64 v[30:31], v[0:1], 2, s[4:5]
	v_add_u32_e32 v0, s0, v0
	v_lshlrev_b64 v[22:23], 2, v[0:1]
	v_add_u32_e32 v0, s0, v0
	v_lshlrev_b64 v[26:27], 2, v[0:1]
	;; [unrolled: 2-line block ×3, first 2 shown]
	v_lshl_add_u64 v[24:25], s[6:7], 0, v[20:21]
	v_lshl_add_u64 v[18:19], s[4:5], 0, v[18:19]
	;; [unrolled: 1-line block ×3, first 2 shown]
	s_waitcnt vmcnt(0)
	v_mul_f32_e32 v14, v44, v14
	v_mul_f32_e32 v14, v44, v14
	;; [unrolled: 1-line block ×3, first 2 shown]
	global_store_dword v[16:17], v14, off
	global_load_dword v16, v[10:11], off
	v_lshl_add_u64 v[14:15], s[6:7], 0, v[22:23]
	global_load_dword v17, v[30:31], off
	s_waitcnt vmcnt(1)
	v_mul_f32_e32 v16, v44, v16
	v_mul_f32_e32 v16, v44, v16
	s_waitcnt vmcnt(0)
	v_mul_f32_e32 v16, v17, v16
	global_store_dword v[10:11], v16, off
	global_load_dword v16, v[14:15], off
	v_lshl_add_u64 v[10:11], s[6:7], 0, v[26:27]
	v_lshl_add_u64 v[26:27], s[4:5], 0, v[26:27]
	s_waitcnt vmcnt(0)
	v_mul_f32_e32 v16, v44, v16
	v_mul_f32_e32 v16, v28, v16
	;; [unrolled: 1-line block ×3, first 2 shown]
	global_store_dword v[14:15], v16, off
	global_load_dword v16, v[10:11], off
	v_mad_u64_u32 v[14:15], s[2:3], s0, 7, v[0:1]
	v_mov_b32_e32 v15, v1
	v_lshlrev_b64 v[38:39], 2, v[14:15]
	v_lshl_add_u64 v[36:37], s[4:5], 0, v[38:39]
	v_mad_u64_u32 v[14:15], s[2:3], s0, -6, v[14:15]
	v_mov_b32_e32 v15, v1
	v_lshl_add_u64 v[38:39], s[6:7], 0, v[38:39]
	s_mul_i32 s2, s0, 0xffffffed
	s_waitcnt vmcnt(0)
	v_mul_f32_e32 v0, v44, v16
	v_mul_f32_e32 v0, v28, v0
	;; [unrolled: 1-line block ×3, first 2 shown]
	global_store_dword v[10:11], v0, off
	global_load_dword v0, v[24:25], off
	v_lshlrev_b64 v[16:17], 2, v[14:15]
	global_load_dword v10, v[36:37], off
	v_lshl_add_u64 v[40:41], s[6:7], 0, v[16:17]
	v_lshl_add_u64 v[16:17], s[4:5], 0, v[16:17]
	s_waitcnt vmcnt(1)
	v_mul_f32_e32 v0, v44, v0
	v_mul_f32_e32 v0, v28, v0
	s_waitcnt vmcnt(0)
	v_mul_f32_e32 v0, v10, v0
	global_store_dword v[24:25], v0, off
	global_load_dword v15, v[40:41], off
	v_add_u32_e32 v0, s0, v14
	v_lshlrev_b64 v[28:29], 2, v[0:1]
	v_lshl_add_u64 v[10:11], s[4:5], 0, v[12:13]
	v_lshl_add_u64 v[12:13], s[6:7], 0, v[28:29]
	global_load_dword v47, v[10:11], off
	v_add_u32_e32 v0, s0, v0
	v_lshlrev_b64 v[24:25], 2, v[0:1]
	v_add_u32_e32 v0, s0, v0
	s_waitcnt vmcnt(1)
	v_mul_f32_e32 v14, v46, v15
	v_mul_f32_e32 v14, v46, v14
	global_store_dword v[40:41], v14, off
	global_load_dword v40, v[12:13], off
	v_lshl_add_u64 v[14:15], s[6:7], 0, v[24:25]
	v_lshl_add_u64 v[24:25], s[4:5], 0, v[24:25]
	s_waitcnt vmcnt(0)
	v_mul_f32_e32 v40, v40, v47
	v_mul_f32_e32 v40, v44, v40
	global_store_dword v[12:13], v40, off
	global_load_dword v40, v[14:15], off
	v_lshl_add_u64 v[12:13], v[0:1], 2, s[6:7]
	v_add_u32_e32 v0, s0, v0
	s_waitcnt vmcnt(0)
	v_mul_f32_e32 v40, v47, v40
	v_mul_f32_e32 v40, v44, v40
	global_store_dword v[14:15], v40, off
	global_load_dword v42, v[12:13], off
	v_lshlrev_b64 v[14:15], 2, v[0:1]
	v_lshl_add_u64 v[40:41], s[6:7], 0, v[14:15]
	v_add_u32_e32 v0, s0, v0
	v_lshl_add_u64 v[14:15], s[4:5], 0, v[14:15]
	s_waitcnt vmcnt(0)
	v_mul_f32_e32 v42, v47, v42
	v_mul_f32_e32 v42, v44, v42
	global_store_dword v[12:13], v42, off
	global_load_dword v48, v[40:41], off
	v_lshlrev_b64 v[12:13], 2, v[0:1]
	v_lshl_add_u64 v[42:43], s[6:7], 0, v[12:13]
	v_add_u32_e32 v0, s1, v0
	v_lshl_add_u64 v[12:13], s[4:5], 0, v[12:13]
	s_waitcnt vmcnt(0)
	v_mul_f32_e32 v48, v47, v48
	v_mul_f32_e32 v48, v45, v48
	global_store_dword v[40:41], v48, off
	global_load_dword v40, v[42:43], off
	s_waitcnt vmcnt(0)
	v_mul_f32_e32 v40, v47, v40
	v_mul_f32_e32 v40, v46, v40
	global_store_dword v[42:43], v40, off
	global_load_dword v42, v[38:39], off
	v_lshl_add_u64 v[40:41], v[0:1], 2, s[6:7]
	v_add_u32_e32 v0, s0, v0
	global_load_dword v48, v[18:19], off
	s_waitcnt vmcnt(1)
	v_mul_f32_e32 v42, v47, v42
	v_mul_f32_e32 v42, v47, v42
	global_store_dword v[38:39], v42, off
	global_load_dword v42, v[40:41], off
	v_lshl_add_u64 v[38:39], v[0:1], 2, s[6:7]
	v_add_u32_e32 v0, s0, v0
	s_waitcnt vmcnt(0)
	v_mul_f32_e32 v42, v47, v42
	v_mul_f32_e32 v42, v47, v42
	global_store_dword v[40:41], v42, off
	global_load_dword v42, v[38:39], off
	v_lshl_add_u64 v[40:41], v[0:1], 2, s[6:7]
	v_add_u32_e32 v0, s0, v0
	;; [unrolled: 7-line block ×5, first 2 shown]
	s_waitcnt vmcnt(0)
	v_mul_f32_e32 v38, v48, v38
	v_mul_f32_e32 v38, v46, v38
	global_store_dword v[40:41], v38, off
	global_load_dword v44, v[42:43], off
	global_load_dword v46, v[6:7], off
	v_lshl_add_u64 v[40:41], v[0:1], 2, s[6:7]
	v_add_u32_e32 v0, s2, v0
	v_lshl_add_u64 v[38:39], v[0:1], 2, s[4:5]
	global_load_dword v49, v[38:39], off
	s_waitcnt vmcnt(2)
	v_mul_f32_e32 v44, v44, v48
	s_waitcnt vmcnt(1)
	v_mul_f32_e32 v44, v44, v46
	global_store_dword v[42:43], v44, off
	global_load_dword v47, v[40:41], off
	v_mad_u64_u32 v[42:43], s[2:3], s0, 20, v[0:1]
	v_mov_b32_e32 v43, v1
	v_lshl_add_u64 v[44:45], v[42:43], 2, s[6:7]
	s_waitcnt vmcnt(0)
	v_mul_f32_e32 v0, v47, v49
	v_mul_f32_e32 v0, v0, v46
	global_store_dword v[40:41], v0, off
	global_load_dword v43, v[44:45], off
	global_load_dword v47, v[34:35], off
	v_add_u32_e32 v0, s0, v42
	v_lshl_add_u64 v[40:41], v[0:1], 2, s[6:7]
	v_add_u32_e32 v0, s0, v0
	s_waitcnt vmcnt(1)
	v_mul_f32_e32 v42, v43, v49
	s_waitcnt vmcnt(0)
	v_mul_f32_e32 v42, v42, v47
	global_store_dword v[44:45], v42, off
	global_load_dword v42, v[40:41], off
	s_nop 0
	global_load_dword v43, v[2:3], off
	v_lshl_add_u64 v[44:45], v[0:1], 2, s[6:7]
	v_add_u32_e32 v0, s0, v0
	s_waitcnt vmcnt(1)
	v_mul_f32_e32 v42, v42, v49
	s_waitcnt vmcnt(0)
	v_mul_f32_e32 v42, v42, v43
	global_store_dword v[40:41], v42, off
	global_load_dword v48, v[44:45], off
	global_load_dword v50, v[10:11], off
	s_nop 0
	global_load_dword v42, v[8:9], off
	v_lshl_add_u64 v[40:41], v[0:1], 2, s[6:7]
	v_add_u32_e32 v0, s0, v0
	s_waitcnt vmcnt(2)
	v_mul_f32_e32 v48, v48, v49
	s_waitcnt vmcnt(1)
	v_mul_f32_e32 v48, v48, v50
	global_store_dword v[44:45], v48, off
	global_load_dword v48, v[40:41], off
	v_lshl_add_u64 v[44:45], v[0:1], 2, s[6:7]
	v_add_u32_e32 v0, s0, v0
	s_waitcnt vmcnt(0)
	v_mul_f32_e32 v48, v48, v42
	global_store_dword v[40:41], v48, off
	global_load_dword v48, v[44:45], off
	v_lshl_add_u64 v[40:41], v[0:1], 2, s[6:7]
	v_add_u32_e32 v0, s0, v0
	s_waitcnt vmcnt(0)
	v_mul_f32_e32 v46, v48, v46
	global_store_dword v[44:45], v46, off
	global_load_dword v46, v[40:41], off
	s_nop 0
	global_load_dword v48, v[32:33], off
	v_lshl_add_u64 v[44:45], v[0:1], 2, s[6:7]
	v_add_u32_e32 v0, s0, v0
	s_waitcnt vmcnt(1)
	v_mul_f32_e32 v46, v46, v47
	global_store_dword v[40:41], v46, off
	global_load_dword v46, v[44:45], off
	v_lshl_add_u64 v[40:41], v[0:1], 2, s[6:7]
	v_add_u32_e32 v0, s0, v0
	s_waitcnt vmcnt(0)
	v_mul_f32_e32 v46, v46, v48
	global_store_dword v[44:45], v46, off
	;; [unrolled: 6-line block ×3, first 2 shown]
	global_load_dword v45, v[46:47], off
	s_nop 0
	global_load_dword v44, v[30:31], off
	v_lshl_add_u64 v[40:41], v[0:1], 2, s[6:7]
	v_add_u32_e32 v0, s0, v0
	s_waitcnt vmcnt(1)
	v_mul_f32_e32 v45, v45, v49
	global_store_dword v[46:47], v45, off
	global_load_dword v45, v[40:41], off
	s_nop 0
	global_load_dword v48, v[4:5], off
	v_lshl_add_u64 v[46:47], v[0:1], 2, s[6:7]
	v_add_u32_e32 v0, s0, v0
	s_waitcnt vmcnt(1)
	v_mul_f32_e32 v44, v45, v44
	global_store_dword v[40:41], v44, off
	global_load_dword v44, v[46:47], off
	v_lshl_add_u64 v[40:41], v[0:1], 2, s[6:7]
	v_add_u32_e32 v0, s0, v0
	s_waitcnt vmcnt(0)
	v_mul_f32_e32 v44, v44, v48
	global_store_dword v[46:47], v44, off
	;; [unrolled: 6-line block ×4, first 2 shown]
	global_load_dword v41, v[46:47], off
	s_nop 0
	global_load_dword v40, v[6:7], off
	v_lshl_add_u64 v[44:45], v[0:1], 2, s[6:7]
	v_add_u32_e32 v0, s1, v0
	s_waitcnt vmcnt(1)
	v_mul_f32_e32 v41, v41, v42
	global_store_dword v[46:47], v41, off
	global_load_dword v41, v[44:45], off
	v_lshl_add_u64 v[46:47], v[0:1], 2, s[6:7]
	v_add_u32_e32 v0, s0, v0
	s_waitcnt vmcnt(0)
	v_mul_f32_e32 v41, v41, v40
	global_store_dword v[44:45], v41, off
	;; [unrolled: 6-line block ×3, first 2 shown]
	global_load_dword v41, v[44:45], off
	s_nop 0
	global_load_dword v46, v[34:35], off
	v_lshl_add_u64 v[34:35], v[0:1], 2, s[6:7]
	v_add_u32_e32 v0, s0, v0
	s_waitcnt vmcnt(1)
	v_mul_f32_e32 v41, v41, v48
	global_store_dword v[44:45], v41, off
	global_load_dword v41, v[34:35], off
	v_lshl_add_u64 v[44:45], v[0:1], 2, s[6:7]
	v_add_u32_e32 v0, s0, v0
	s_waitcnt vmcnt(0)
	v_mul_f32_e32 v41, v41, v46
	global_store_dword v[34:35], v41, off
	global_load_dword v41, v[44:45], off
	v_lshl_add_u64 v[34:35], v[0:1], 2, s[6:7]
	v_add_u32_e32 v0, s0, v0
	s_waitcnt vmcnt(0)
	v_mul_f32_e32 v41, v41, v42
	global_store_dword v[44:45], v41, off
	global_load_dword v41, v[34:35], off
	v_lshl_add_u64 v[44:45], v[0:1], 2, s[6:7]
	v_add_u32_e32 v0, s0, v0
	s_waitcnt vmcnt(0)
	v_mul_f32_e32 v41, v41, v43
	global_store_dword v[34:35], v41, off
	global_load_dword v41, v[44:45], off
	v_lshl_add_u64 v[34:35], v[0:1], 2, s[6:7]
	v_add_u32_e32 v0, s0, v0
	s_waitcnt vmcnt(0)
	v_mul_f32_e32 v41, v41, v43
	global_store_dword v[44:45], v41, off
	global_load_dword v41, v[34:35], off
	v_lshl_add_u64 v[44:45], v[0:1], 2, s[6:7]
	v_add_u32_e32 v0, s0, v0
	s_waitcnt vmcnt(0)
	v_mul_f32_e32 v41, v41, v40
	global_store_dword v[34:35], v41, off
	global_load_dword v41, v[44:45], off
	s_nop 0
	global_load_dword v43, v[10:11], off
	v_lshl_add_u64 v[34:35], v[0:1], 2, s[6:7]
	v_add_u32_e32 v0, s0, v0
	s_waitcnt vmcnt(1)
	v_mul_f32_e32 v41, v41, v40
	global_store_dword v[44:45], v41, off
	global_load_dword v41, v[34:35], off
	s_nop 0
	global_load_dword v44, v[38:39], off
	v_lshl_add_u64 v[38:39], v[0:1], 2, s[6:7]
	s_waitcnt vmcnt(1)
	v_mul_f32_e32 v41, v41, v43
	global_store_dword v[34:35], v41, off
	global_load_dword v41, v[38:39], off
	s_nop 0
	global_load_dword v43, v[36:37], off
	v_mad_u64_u32 v[36:37], s[2:3], s0, 3, v[0:1]
	v_mov_b32_e32 v37, v1
	v_lshl_add_u64 v[34:35], v[36:37], 2, s[6:7]
	s_mul_i32 s2, s0, 0xffffffbb
	s_waitcnt vmcnt(1)
	v_mul_f32_e32 v0, v41, v44
	global_store_dword v[38:39], v0, off
	global_load_dword v38, v[34:35], off
	s_nop 0
	global_load_dword v39, v[4:5], off
	v_add_u32_e32 v0, s0, v36
	v_lshl_add_u64 v[36:37], v[0:1], 2, s[6:7]
	v_add_u32_e32 v0, s0, v0
	s_waitcnt vmcnt(1)
	v_mul_f32_e32 v38, v38, v43
	global_store_dword v[34:35], v38, off
	global_load_dword v38, v[36:37], off
	v_lshl_add_u64 v[34:35], v[0:1], 2, s[6:7]
	v_add_u32_e32 v0, s0, v0
	s_waitcnt vmcnt(0)
	v_mul_f32_e32 v38, v38, v39
	global_store_dword v[36:37], v38, off
	global_load_dword v38, v[34:35], off
	;; [unrolled: 6-line block ×5, first 2 shown]
	s_nop 0
	global_load_dword v41, v[2:3], off
	v_lshl_add_u64 v[34:35], v[0:1], 2, s[6:7]
	v_add_u32_e32 v0, s0, v0
	s_waitcnt vmcnt(1)
	v_mul_f32_e32 v38, v38, v46
	global_store_dword v[36:37], v38, off
	global_load_dword v38, v[34:35], off
	v_lshl_add_u64 v[36:37], v[0:1], 2, s[6:7]
	v_add_u32_e32 v0, s0, v0
	s_waitcnt vmcnt(0)
	v_mul_f32_e32 v38, v38, v41
	global_store_dword v[34:35], v38, off
	global_load_dword v34, v[36:37], off
	s_nop 0
	global_load_dword v38, v[32:33], off
	v_lshl_add_u64 v[32:33], v[0:1], 2, s[6:7]
	v_add_u32_e32 v0, s0, v0
	s_waitcnt vmcnt(1)
	v_mul_f32_e32 v34, v34, v41
	global_store_dword v[36:37], v34, off
	global_load_dword v36, v[32:33], off
	v_lshl_add_u64 v[34:35], v[0:1], 2, s[6:7]
	v_add_u32_e32 v0, s0, v0
	s_waitcnt vmcnt(0)
	v_mul_f32_e32 v36, v36, v38
	global_store_dword v[32:33], v36, off
	global_load_dword v32, v[34:35], off
	;; [unrolled: 14-line block ×3, first 2 shown]
	v_lshl_add_u64 v[30:31], s[4:5], 0, v[22:23]
	v_lshl_add_u64 v[22:23], v[0:1], 2, s[6:7]
	global_load_dword v35, v[30:31], off
	v_add_u32_e32 v0, s0, v0
	s_waitcnt vmcnt(1)
	v_mul_f32_e32 v34, v34, v36
	global_store_dword v[32:33], v34, off
	global_load_dword v34, v[22:23], off
	v_lshl_add_u64 v[32:33], v[0:1], 2, s[6:7]
	v_add_u32_e32 v0, s0, v0
	s_waitcnt vmcnt(0)
	v_mul_f32_e32 v34, v34, v35
	v_mul_f32_e32 v34, v34, v39
	global_store_dword v[22:23], v34, off
	global_load_dword v34, v[32:33], off
	v_lshl_add_u64 v[22:23], v[0:1], 2, s[6:7]
	v_add_u32_e32 v0, s0, v0
	s_waitcnt vmcnt(0)
	v_mul_f32_e32 v34, v34, v35
	v_mul_f32_e32 v34, v34, v39
	global_store_dword v[32:33], v34, off
	global_load_dword v34, v[22:23], off
	s_nop 0
	global_load_dword v38, v[8:9], off
	v_lshl_add_u64 v[32:33], v[0:1], 2, s[6:7]
	v_add_u32_e32 v0, s0, v0
	s_waitcnt vmcnt(1)
	v_mul_f32_e32 v34, v34, v35
	s_waitcnt vmcnt(0)
	v_mul_f32_e32 v34, v34, v38
	global_store_dword v[22:23], v34, off
	global_load_dword v34, v[32:33], off
	v_lshl_add_u64 v[22:23], v[0:1], 2, s[6:7]
	v_add_u32_e32 v0, s0, v0
	s_waitcnt vmcnt(0)
	v_mul_f32_e32 v34, v34, v35
	v_mul_f32_e32 v34, v34, v40
	global_store_dword v[32:33], v34, off
	global_load_dword v34, v[22:23], off
	v_lshl_add_u64 v[32:33], v[0:1], 2, s[6:7]
	v_add_u32_e32 v0, s0, v0
	v_lshl_add_u64 v[36:37], v[0:1], 2, s[6:7]
	v_add_u32_e32 v0, s0, v0
	s_waitcnt vmcnt(0)
	v_mul_f32_e32 v34, v34, v35
	v_mul_f32_e32 v34, v34, v41
	global_store_dword v[22:23], v34, off
	global_load_dword v22, v[32:33], off
	s_nop 0
	global_load_dword v39, v[10:11], off
	s_waitcnt vmcnt(1)
	v_mul_f32_e32 v22, v22, v35
	s_waitcnt vmcnt(0)
	v_mul_f32_e32 v22, v22, v39
	global_store_dword v[32:33], v22, off
	global_load_dword v40, v[36:37], off
	v_lshl_add_u64 v[32:33], v[0:1], 2, s[6:7]
	v_add_u32_e32 v0, s2, v0
	v_lshl_add_u64 v[22:23], v[0:1], 2, s[4:5]
	global_load_dword v34, v[22:23], off
	s_mul_i32 s2, s0, 0x46
	v_add_u32_e32 v0, s2, v0
	s_mul_i32 s2, s0, 0xffffffa4
	s_waitcnt vmcnt(1)
	v_mul_f32_e32 v35, v40, v35
	global_store_dword v[36:37], v35, off
	global_load_dword v35, v[32:33], off
	s_nop 0
	global_load_dword v40, v[4:5], off
	v_lshl_add_u64 v[36:37], v[0:1], 2, s[6:7]
	v_add_u32_e32 v0, s0, v0
	s_waitcnt vmcnt(1)
	v_mul_f32_e32 v35, v35, v34
	s_waitcnt vmcnt(0)
	v_mul_f32_e32 v35, v35, v40
	global_store_dword v[32:33], v35, off
	global_load_dword v35, v[36:37], off
	v_lshl_add_u64 v[32:33], v[0:1], 2, s[6:7]
	v_add_u32_e32 v0, s0, v0
	s_waitcnt vmcnt(0)
	v_mul_f32_e32 v35, v35, v34
	v_mul_f32_e32 v35, v35, v38
	global_store_dword v[36:37], v35, off
	global_load_dword v35, v[32:33], off
	s_nop 0
	global_load_dword v38, v[6:7], off
	v_lshl_add_u64 v[36:37], v[0:1], 2, s[6:7]
	v_add_u32_e32 v0, s0, v0
	s_waitcnt vmcnt(1)
	v_mul_f32_e32 v35, v35, v34
	s_waitcnt vmcnt(0)
	v_mul_f32_e32 v35, v35, v38
	global_store_dword v[32:33], v35, off
	global_load_dword v35, v[36:37], off
	v_lshl_add_u64 v[32:33], v[0:1], 2, s[6:7]
	v_add_u32_e32 v0, s0, v0
	s_waitcnt vmcnt(0)
	v_mul_f32_e32 v35, v35, v34
	;; [unrolled: 17-line block ×3, first 2 shown]
	v_mul_f32_e32 v35, v35, v38
	global_store_dword v[36:37], v35, off
	global_load_dword v35, v[32:33], off
	v_lshl_add_u64 v[36:37], v[0:1], 2, s[6:7]
	v_add_u32_e32 v0, s0, v0
	s_waitcnt vmcnt(0)
	v_mul_f32_e32 v35, v35, v34
	v_mul_f32_e32 v35, v35, v39
	global_store_dword v[32:33], v35, off
	global_load_dword v35, v[36:37], off
	v_lshl_add_u64 v[32:33], v[0:1], 2, s[6:7]
	v_add_u32_e32 v0, s0, v0
	s_waitcnt vmcnt(0)
	v_mul_f32_e32 v35, v35, v34
	v_mul_f32_e32 v35, v35, v39
	global_store_dword v[36:37], v35, off
	global_load_dword v35, v[32:33], off
	s_nop 0
	global_load_dword v38, v[18:19], off
	v_lshl_add_u64 v[36:37], v[0:1], 2, s[6:7]
	v_add_u32_e32 v0, s0, v0
	s_waitcnt vmcnt(1)
	v_mul_f32_e32 v35, v35, v34
	s_waitcnt vmcnt(0)
	v_mul_f32_e32 v35, v35, v38
	global_store_dword v[32:33], v35, off
	global_load_dword v35, v[36:37], off
	v_lshl_add_u64 v[32:33], v[0:1], 2, s[6:7]
	v_add_u32_e32 v0, s0, v0
	s_waitcnt vmcnt(0)
	v_mul_f32_e32 v35, v35, v34
	global_store_dword v[36:37], v35, off
	global_load_dword v35, v[32:33], off
	v_lshl_add_u64 v[36:37], v[0:1], 2, s[6:7]
	v_add_u32_e32 v0, s0, v0
	;; [unrolled: 6-line block ×3, first 2 shown]
	s_waitcnt vmcnt(0)
	v_mul_f32_e32 v35, v35, v34
	global_store_dword v[36:37], v35, off
	global_load_dword v35, v[32:33], off
	s_nop 0
	global_load_dword v36, v[30:31], off
	v_lshl_add_u64 v[30:31], v[0:1], 2, s[6:7]
	v_add_u32_e32 v0, s0, v0
	s_waitcnt vmcnt(1)
	v_mul_f32_e32 v35, v35, v34
	s_waitcnt vmcnt(0)
	v_mul_f32_e32 v35, v35, v36
	global_store_dword v[32:33], v35, off
	global_load_dword v35, v[30:31], off
	v_lshl_add_u64 v[32:33], v[0:1], 2, s[6:7]
	v_add_u32_e32 v0, s0, v0
	s_waitcnt vmcnt(0)
	v_mul_f32_e32 v35, v35, v34
	global_store_dword v[30:31], v35, off
	global_load_dword v35, v[32:33], off
	v_lshl_add_u64 v[30:31], v[0:1], 2, s[6:7]
	v_add_u32_e32 v0, s0, v0
	;; [unrolled: 6-line block ×3, first 2 shown]
	s_waitcnt vmcnt(0)
	v_mul_f32_e32 v35, v35, v34
	v_mul_f32_e32 v35, v34, v35
	global_store_dword v[30:31], v35, off
	global_load_dword v35, v[32:33], off
	v_lshl_add_u64 v[30:31], s[4:5], 0, v[28:29]
	v_lshl_add_u64 v[28:29], v[0:1], 2, s[6:7]
	v_add_u32_e32 v0, s0, v0
	s_waitcnt vmcnt(0)
	v_mul_f32_e32 v35, v35, v34
	v_mul_f32_e32 v35, v34, v35
	global_store_dword v[32:33], v35, off
	global_load_dword v33, v[28:29], off
	s_nop 0
	global_load_dword v32, v[30:31], off
	global_load_dword v36, v[4:5], off
	v_lshl_add_u64 v[30:31], v[0:1], 2, s[6:7]
	v_add_u32_e32 v0, s0, v0
	s_waitcnt vmcnt(2)
	v_mul_f32_e32 v33, v33, v34
	s_waitcnt vmcnt(1)
	v_mul_f32_e32 v33, v33, v32
	global_store_dword v[28:29], v33, off
	global_load_dword v33, v[30:31], off
	v_lshl_add_u64 v[28:29], v[0:1], 2, s[6:7]
	v_add_u32_e32 v0, s0, v0
	s_waitcnt vmcnt(0)
	v_mul_f32_e32 v33, v33, v36
	global_store_dword v[30:31], v33, off
	global_load_dword v33, v[28:29], off
	v_lshl_add_u64 v[30:31], v[0:1], 2, s[6:7]
	v_add_u32_e32 v0, s0, v0
	s_waitcnt vmcnt(0)
	v_mul_f32_e32 v33, v33, v36
	global_store_dword v[28:29], v33, off
	global_load_dword v33, v[30:31], off
	s_nop 0
	global_load_dword v37, v[8:9], off
	v_lshl_add_u64 v[28:29], v[0:1], 2, s[6:7]
	v_add_u32_e32 v0, s0, v0
	s_waitcnt vmcnt(1)
	v_mul_f32_e32 v33, v33, v36
	global_store_dword v[30:31], v33, off
	global_load_dword v33, v[28:29], off
	s_nop 0
	;; [unrolled: 8-line block ×3, first 2 shown]
	global_load_dword v39, v[2:3], off
	v_lshl_add_u64 v[28:29], v[0:1], 2, s[6:7]
	v_add_u32_e32 v0, s0, v0
	s_waitcnt vmcnt(1)
	v_mul_f32_e32 v33, v33, v38
	global_store_dword v[30:31], v33, off
	global_load_dword v33, v[28:29], off
	v_lshl_add_u64 v[30:31], v[0:1], 2, s[6:7]
	v_add_u32_e32 v0, s2, v0
	v_lshl_add_u64 v[34:35], v[0:1], 2, s[4:5]
	global_load_dword v34, v[34:35], off
	s_mul_i32 s2, s0, 0x5d
	v_add_u32_e32 v0, s2, v0
	s_waitcnt vmcnt(1)
	v_mul_f32_e32 v33, v33, v39
	global_store_dword v[28:29], v33, off
	global_load_dword v33, v[30:31], off
	v_lshl_add_u64 v[28:29], v[0:1], 2, s[6:7]
	v_add_u32_e32 v0, s0, v0
	s_waitcnt vmcnt(0)
	v_mul_f32_e32 v33, v33, v34
	v_mul_f32_e32 v33, v33, v36
	global_store_dword v[30:31], v33, off
	global_load_dword v33, v[28:29], off
	v_lshl_add_u64 v[30:31], v[0:1], 2, s[6:7]
	v_add_u32_e32 v0, s0, v0
	s_waitcnt vmcnt(0)
	v_mul_f32_e32 v33, v33, v34
	;; [unrolled: 7-line block ×4, first 2 shown]
	global_store_dword v[28:29], v33, off
	global_load_dword v33, v[30:31], off
	v_lshl_add_u64 v[28:29], v[0:1], 2, s[6:7]
	v_add_u32_e32 v0, s0, v0
	s_waitcnt vmcnt(0)
	v_mul_f32_e32 v33, v33, v34
	global_store_dword v[30:31], v33, off
	global_load_dword v33, v[28:29], off
	v_lshl_add_u64 v[30:31], v[0:1], 2, s[6:7]
	v_add_u32_e32 v0, s0, v0
	s_waitcnt vmcnt(0)
	v_mul_f32_e32 v33, v33, v34
	global_store_dword v[28:29], v33, off
	global_load_dword v33, v[30:31], off
	v_lshl_add_u64 v[28:29], v[0:1], 2, s[6:7]
	v_add_u32_e32 v0, s0, v0
	global_load_dword v34, v[26:27], off
	s_waitcnt vmcnt(1)
	v_mul_f32_e32 v33, v33, v32
	v_mul_f32_e32 v33, v33, v36
	global_store_dword v[30:31], v33, off
	global_load_dword v33, v[28:29], off
	v_lshl_add_u64 v[30:31], v[0:1], 2, s[6:7]
	v_add_u32_e32 v0, s0, v0
	s_waitcnt vmcnt(0)
	v_mul_f32_e32 v33, v33, v32
	v_mul_f32_e32 v33, v33, v37
	global_store_dword v[28:29], v33, off
	global_load_dword v33, v[30:31], off
	v_lshl_add_u64 v[28:29], v[0:1], 2, s[6:7]
	v_add_u32_e32 v0, s0, v0
	;; [unrolled: 7-line block ×3, first 2 shown]
	s_waitcnt vmcnt(0)
	v_mul_f32_e32 v33, v33, v32
	global_store_dword v[28:29], v33, off
	global_load_dword v33, v[30:31], off
	v_lshl_add_u64 v[28:29], v[0:1], 2, s[6:7]
	v_add_u32_e32 v0, s0, v0
	v_lshl_add_u64 v[26:27], v[0:1], 2, s[6:7]
	v_add_u32_e32 v0, s1, v0
	s_waitcnt vmcnt(0)
	v_mul_f32_e32 v33, v33, v32
	global_store_dword v[30:31], v33, off
	global_load_dword v30, v[28:29], off
	s_waitcnt vmcnt(0)
	v_mul_f32_e32 v30, v30, v32
	v_mul_f32_e32 v30, v32, v30
	global_store_dword v[28:29], v30, off
	global_load_dword v28, v[26:27], off
	v_lshl_add_u64 v[30:31], v[0:1], 2, s[6:7]
	v_add_u32_e32 v0, s0, v0
	s_waitcnt vmcnt(0)
	v_mul_f32_e32 v28, v28, v34
	global_store_dword v[26:27], v28, off
	global_load_dword v29, v[30:31], off
	s_nop 0
	global_load_dword v28, v[8:9], off
	v_lshl_add_u64 v[26:27], v[0:1], 2, s[6:7]
	v_add_u32_e32 v0, s0, v0
	s_waitcnt vmcnt(1)
	v_mul_f32_e32 v29, v29, v34
	s_waitcnt vmcnt(0)
	v_mul_f32_e32 v29, v29, v28
	global_store_dword v[30:31], v29, off
	global_load_dword v29, v[26:27], off
	v_lshl_add_u64 v[30:31], v[0:1], 2, s[6:7]
	v_add_u32_e32 v0, s0, v0
	v_lshl_add_u64 v[32:33], v[0:1], 2, s[6:7]
	v_add_u32_e32 v0, s0, v0
	s_waitcnt vmcnt(0)
	v_mul_f32_e32 v29, v29, v34
	v_mul_f32_e32 v29, v29, v28
	global_store_dword v[26:27], v29, off
	global_load_dword v26, v[30:31], off
	s_nop 0
	global_load_dword v29, v[6:7], off
	s_waitcnt vmcnt(1)
	v_mul_f32_e32 v26, v26, v34
	s_waitcnt vmcnt(0)
	v_mul_f32_e32 v26, v26, v29
	global_store_dword v[30:31], v26, off
	global_load_dword v30, v[32:33], off
	v_lshl_add_u64 v[26:27], v[0:1], 2, s[6:7]
	v_add_u32_e32 v0, s1, v0
	s_waitcnt vmcnt(0)
	v_mul_f32_e32 v30, v30, v34
	v_mul_f32_e32 v30, v30, v29
	global_store_dword v[32:33], v30, off
	global_load_dword v32, v[26:27], off
	s_nop 0
	global_load_dword v35, v[4:5], off
	v_lshl_add_u64 v[30:31], v[0:1], 2, s[6:7]
	v_add_u32_e32 v0, s0, v0
	s_waitcnt vmcnt(1)
	v_mul_f32_e32 v32, v32, v34
	global_store_dword v[26:27], v32, off
	global_load_dword v32, v[30:31], off
	v_lshl_add_u64 v[26:27], v[0:1], 2, s[6:7]
	v_add_u32_e32 v0, s0, v0
	s_waitcnt vmcnt(0)
	v_mul_f32_e32 v32, v32, v35
	global_store_dword v[30:31], v32, off
	;; [unrolled: 6-line block ×3, first 2 shown]
	global_load_dword v27, v[30:31], off
	s_nop 0
	global_load_dword v26, v[2:3], off
	v_lshl_add_u64 v[32:33], v[0:1], 2, s[6:7]
	v_add_u32_e32 v0, s0, v0
	global_load_dword v34, v[24:25], off
	v_lshl_add_u64 v[24:25], v[0:1], 2, s[6:7]
	v_add_u32_e32 v0, s0, v0
	s_waitcnt vmcnt(2)
	v_mul_f32_e32 v27, v27, v29
	global_store_dword v[30:31], v27, off
	global_load_dword v27, v[32:33], off
	v_lshl_add_u64 v[30:31], v[0:1], 2, s[6:7]
	v_add_u32_e32 v0, s0, v0
	s_waitcnt vmcnt(0)
	v_mul_f32_e32 v27, v27, v26
	global_store_dword v[32:33], v27, off
	global_load_dword v27, v[24:25], off
	s_waitcnt vmcnt(0)
	v_mul_f32_e32 v27, v27, v34
	v_mul_f32_e32 v27, v27, v35
	global_store_dword v[24:25], v27, off
	global_load_dword v27, v[30:31], off
	v_lshl_add_u64 v[24:25], v[0:1], 2, s[6:7]
	v_add_u32_e32 v0, s0, v0
	s_waitcnt vmcnt(0)
	v_mul_f32_e32 v27, v27, v34
	v_mul_f32_e32 v27, v27, v35
	global_store_dword v[30:31], v27, off
	global_load_dword v27, v[24:25], off
	v_lshl_add_u64 v[30:31], v[0:1], 2, s[6:7]
	v_add_u32_e32 v0, s0, v0
	;; [unrolled: 7-line block ×6, first 2 shown]
	s_waitcnt vmcnt(0)
	v_mul_f32_e32 v27, v27, v35
	global_store_dword v[24:25], v27, off
	global_load_dword v27, v[30:31], off
	v_lshl_add_u64 v[24:25], v[0:1], 2, s[6:7]
	v_add_u32_e32 v0, s0, v0
	s_waitcnt vmcnt(0)
	v_mul_f32_e32 v27, v27, v35
	global_store_dword v[30:31], v27, off
	global_load_dword v27, v[24:25], off
	v_lshl_add_u64 v[30:31], v[0:1], 2, s[6:7]
	v_add_u32_e32 v0, s0, v0
	;; [unrolled: 6-line block ×3, first 2 shown]
	s_waitcnt vmcnt(0)
	v_mul_f32_e32 v27, v27, v28
	global_store_dword v[30:31], v27, off
	global_load_dword v29, v[24:25], off
	s_nop 0
	global_load_dword v27, v[6:7], off
	v_lshl_add_u64 v[30:31], v[0:1], 2, s[6:7]
	v_add_u32_e32 v0, s0, v0
	s_waitcnt vmcnt(1)
	v_mul_f32_e32 v28, v29, v28
	global_store_dword v[24:25], v28, off
	global_load_dword v28, v[30:31], off
	v_lshl_add_u64 v[24:25], v[0:1], 2, s[6:7]
	v_add_u32_e32 v0, s0, v0
	s_waitcnt vmcnt(0)
	v_mul_f32_e32 v28, v28, v27
	global_store_dword v[30:31], v28, off
	;; [unrolled: 6-line block ×4, first 2 shown]
	global_load_dword v30, v[24:25], off
	s_nop 0
	global_load_dword v31, v[10:11], off
	v_lshl_add_u64 v[28:29], v[0:1], 2, s[6:7]
	v_add_u32_e32 v0, s0, v0
	s_waitcnt vmcnt(1)
	v_mul_f32_e32 v30, v30, v26
	global_store_dword v[24:25], v30, off
	global_load_dword v30, v[28:29], off
	s_nop 0
	global_load_dword v32, v[18:19], off
	v_lshl_add_u64 v[24:25], v[0:1], 2, s[6:7]
	v_add_u32_e32 v0, s1, v0
	s_waitcnt vmcnt(1)
	v_mul_f32_e32 v30, v30, v31
	global_store_dword v[28:29], v30, off
	;; [unrolled: 8-line block ×3, first 2 shown]
	global_load_dword v24, v[28:29], off
	v_lshl_add_u64 v[30:31], v[0:1], 2, s[6:7]
	v_add_u32_e32 v0, s0, v0
	s_waitcnt vmcnt(0)
	v_mul_f32_e32 v24, v24, v33
	global_store_dword v[28:29], v24, off
	global_load_dword v28, v[30:31], off
	v_lshl_add_u64 v[24:25], v[0:1], 2, s[6:7]
	v_add_u32_e32 v0, s1, v0
	s_waitcnt vmcnt(0)
	v_mul_f32_e32 v28, v28, v33
	global_store_dword v[30:31], v28, off
	global_load_dword v30, v[24:25], off
	s_nop 0
	global_load_dword v31, v[4:5], off
	v_lshl_add_u64 v[28:29], v[0:1], 2, s[6:7]
	v_add_u32_e32 v0, s0, v0
	s_waitcnt vmcnt(1)
	v_mul_f32_e32 v30, v30, v33
	global_store_dword v[24:25], v30, off
	global_load_dword v30, v[28:29], off
	v_lshl_add_u64 v[24:25], v[0:1], 2, s[6:7]
	v_add_u32_e32 v0, s0, v0
	s_waitcnt vmcnt(0)
	v_mul_f32_e32 v30, v30, v31
	global_store_dword v[28:29], v30, off
	global_load_dword v30, v[24:25], off
	v_lshl_add_u64 v[28:29], v[0:1], 2, s[6:7]
	v_add_u32_e32 v0, s0, v0
	s_waitcnt vmcnt(0)
	v_mul_f32_e32 v30, v30, v31
	global_store_dword v[24:25], v30, off
	global_load_dword v30, v[28:29], off
	s_nop 0
	global_load_dword v32, v[8:9], off
	v_lshl_add_u64 v[24:25], v[0:1], 2, s[6:7]
	v_add_u32_e32 v0, s0, v0
	s_waitcnt vmcnt(1)
	v_mul_f32_e32 v30, v30, v31
	global_store_dword v[28:29], v30, off
	;; [unrolled: 20-line block ×3, first 2 shown]
	global_load_dword v24, v[28:29], off
	s_waitcnt vmcnt(0)
	v_mul_f32_e32 v24, v24, v30
	global_load_dword v25, v[20:21], off
	v_lshl_add_u64 v[20:21], v[0:1], 2, s[6:7]
	global_store_dword v[28:29], v24, off
	global_load_dword v24, v[20:21], off
	v_add_u32_e32 v0, s0, v0
	v_lshl_add_u64 v[26:27], v[0:1], 2, s[6:7]
	v_add_u32_e32 v0, s0, v0
	s_waitcnt vmcnt(0)
	v_mul_f32_e32 v24, v24, v25
	global_store_dword v[20:21], v24, off
	global_load_dword v24, v[26:27], off
	v_lshl_add_u64 v[20:21], v[0:1], 2, s[6:7]
	v_add_u32_e32 v0, s0, v0
	s_waitcnt vmcnt(0)
	v_mul_f32_e32 v24, v24, v25
	v_mul_f32_e32 v24, v24, v31
	global_store_dword v[26:27], v24, off
	global_load_dword v24, v[20:21], off
	v_lshl_add_u64 v[26:27], v[0:1], 2, s[6:7]
	v_add_u32_e32 v0, s0, v0
	s_waitcnt vmcnt(0)
	v_mul_f32_e32 v24, v24, v25
	;; [unrolled: 7-line block ×5, first 2 shown]
	v_mul_f32_e32 v24, v24, v32
	global_store_dword v[26:27], v24, off
	global_load_dword v24, v[20:21], off
	s_nop 0
	global_load_dword v28, v[6:7], off
	v_lshl_add_u64 v[26:27], v[0:1], 2, s[6:7]
	v_add_u32_e32 v0, s0, v0
	s_waitcnt vmcnt(1)
	v_mul_f32_e32 v24, v24, v25
	s_waitcnt vmcnt(0)
	v_mul_f32_e32 v24, v24, v28
	global_store_dword v[20:21], v24, off
	global_load_dword v24, v[26:27], off
	v_lshl_add_u64 v[20:21], v[0:1], 2, s[6:7]
	v_add_u32_e32 v0, s0, v0
	s_waitcnt vmcnt(0)
	v_mul_f32_e32 v24, v24, v25
	v_mul_f32_e32 v24, v24, v30
	global_store_dword v[26:27], v24, off
	global_load_dword v28, v[20:21], off
	s_nop 0
	global_load_dword v24, v[10:11], off
	v_lshl_add_u64 v[26:27], v[0:1], 2, s[6:7]
	v_add_u32_e32 v0, s0, v0
	s_waitcnt vmcnt(1)
	v_mul_f32_e32 v28, v28, v25
	s_waitcnt vmcnt(0)
	v_mul_f32_e32 v28, v28, v24
	global_store_dword v[20:21], v28, off
	global_load_dword v28, v[26:27], off
	v_lshl_add_u64 v[20:21], v[0:1], 2, s[6:7]
	v_add_u32_e32 v0, s0, v0
	s_waitcnt vmcnt(0)
	v_mul_f32_e32 v28, v28, v25
	global_store_dword v[26:27], v28, off
	global_load_dword v28, v[20:21], off
	v_lshl_add_u64 v[26:27], v[0:1], 2, s[6:7]
	v_add_u32_e32 v0, s0, v0
	;; [unrolled: 6-line block ×4, first 2 shown]
	s_waitcnt vmcnt(0)
	v_mul_f32_e32 v28, v28, v25
	global_store_dword v[20:21], v28, off
	global_load_dword v28, v[26:27], off
	s_nop 0
	global_load_dword v29, v[22:23], off
	v_lshl_add_u64 v[20:21], v[0:1], 2, s[6:7]
	v_add_u32_e32 v0, s0, v0
	s_waitcnt vmcnt(1)
	v_mul_f32_e32 v28, v28, v25
	s_waitcnt vmcnt(0)
	v_mul_f32_e32 v28, v28, v29
	global_store_dword v[26:27], v28, off
	global_load_dword v28, v[20:21], off
	s_nop 0
	global_load_dword v30, v[4:5], off
	v_lshl_add_u64 v[26:27], v[0:1], 2, s[6:7]
	v_add_u32_e32 v0, s0, v0
	s_waitcnt vmcnt(1)
	v_mul_f32_e32 v25, v28, v25
	v_mul_f32_e32 v25, v25, v29
	global_store_dword v[20:21], v25, off
	global_load_dword v25, v[26:27], off
	v_lshl_add_u64 v[20:21], v[0:1], 2, s[6:7]
	v_add_u32_e32 v0, s0, v0
	s_waitcnt vmcnt(0)
	v_mul_f32_e32 v25, v25, v30
	global_store_dword v[26:27], v25, off
	global_load_dword v25, v[20:21], off
	s_nop 0
	global_load_dword v28, v[8:9], off
	v_lshl_add_u64 v[26:27], v[0:1], 2, s[6:7]
	v_add_u32_e32 v0, s0, v0
	s_waitcnt vmcnt(1)
	v_mul_f32_e32 v25, v25, v30
	global_store_dword v[20:21], v25, off
	global_load_dword v25, v[26:27], off
	v_lshl_add_u64 v[20:21], v[0:1], 2, s[6:7]
	v_add_u32_e32 v0, s0, v0
	s_waitcnt vmcnt(0)
	v_mul_f32_e32 v25, v25, v28
	global_store_dword v[26:27], v25, off
	global_load_dword v25, v[20:21], off
	s_nop 0
	global_load_dword v29, v[2:3], off
	v_lshl_add_u64 v[26:27], v[0:1], 2, s[6:7]
	v_add_u32_e32 v0, s0, v0
	s_waitcnt vmcnt(1)
	v_mul_f32_e32 v25, v25, v28
	global_store_dword v[20:21], v25, off
	global_load_dword v25, v[26:27], off
	v_lshl_add_u64 v[20:21], v[0:1], 2, s[6:7]
	v_add_u32_e32 v0, s0, v0
	s_waitcnt vmcnt(0)
	v_mul_f32_e32 v25, v25, v29
	global_store_dword v[26:27], v25, off
	;; [unrolled: 6-line block ×4, first 2 shown]
	global_load_dword v25, v[20:21], off
	s_nop 0
	global_load_dword v26, v[18:19], off
	v_lshl_add_u64 v[18:19], v[0:1], 2, s[6:7]
	v_add_u32_e32 v0, s1, v0
	s_waitcnt vmcnt(1)
	v_mul_f32_e32 v25, v25, v24
	global_store_dword v[20:21], v25, off
	global_load_dword v20, v[18:19], off
	s_waitcnt vmcnt(0)
	v_mul_f32_e32 v20, v20, v26
	global_load_dword v21, v[16:17], off
	v_lshl_add_u64 v[16:17], v[0:1], 2, s[6:7]
	global_store_dword v[18:19], v20, off
	global_load_dword v20, v[16:17], off
	v_add_u32_e32 v0, s0, v0
	v_lshl_add_u64 v[18:19], v[0:1], 2, s[6:7]
	v_add_u32_e32 v0, s0, v0
	s_waitcnt vmcnt(0)
	v_mul_f32_e32 v20, v20, v21
	v_mul_f32_e32 v20, v20, v30
	global_store_dword v[16:17], v20, off
	global_load_dword v20, v[18:19], off
	v_lshl_add_u64 v[16:17], v[0:1], 2, s[6:7]
	v_add_u32_e32 v0, s0, v0
	s_waitcnt vmcnt(0)
	v_mul_f32_e32 v20, v20, v21
	v_mul_f32_e32 v20, v20, v28
	global_store_dword v[18:19], v20, off
	global_load_dword v20, v[16:17], off
	s_nop 0
	global_load_dword v25, v[6:7], off
	v_lshl_add_u64 v[18:19], v[0:1], 2, s[6:7]
	v_add_u32_e32 v0, s0, v0
	s_waitcnt vmcnt(1)
	v_mul_f32_e32 v20, v20, v21
	s_waitcnt vmcnt(0)
	v_mul_f32_e32 v20, v20, v25
	global_store_dword v[16:17], v20, off
	global_load_dword v20, v[18:19], off
	v_lshl_add_u64 v[16:17], v[0:1], 2, s[6:7]
	v_add_u32_e32 v0, s0, v0
	s_waitcnt vmcnt(0)
	v_mul_f32_e32 v20, v20, v21
	global_store_dword v[18:19], v20, off
	global_load_dword v18, v[16:17], off
	s_nop 0
	global_load_dword v19, v[22:23], off
	global_load_dword v20, v[14:15], off
	s_waitcnt vmcnt(2)
	v_mul_f32_e32 v18, v18, v21
	s_waitcnt vmcnt(1)
	v_mul_f32_e32 v18, v18, v19
	global_store_dword v[16:17], v18, off
	global_load_dword v13, v[12:13], off
	v_lshl_add_u64 v[14:15], v[0:1], 2, s[6:7]
	global_load_dword v18, v[14:15], off
	v_add_u32_e32 v0, s0, v0
	v_lshl_add_u64 v[16:17], v[0:1], 2, s[6:7]
	v_add_u32_e32 v0, s0, v0
	s_waitcnt vmcnt(0)
	v_mul_f32_e32 v18, v18, v20
	v_mul_f32_e32 v18, v18, v30
	global_store_dword v[14:15], v18, off
	global_load_dword v18, v[16:17], off
	v_lshl_add_u64 v[14:15], v[0:1], 2, s[6:7]
	v_add_u32_e32 v0, s0, v0
	s_waitcnt vmcnt(0)
	v_mul_f32_e32 v18, v18, v20
	v_mul_f32_e32 v18, v18, v30
	global_store_dword v[16:17], v18, off
	global_load_dword v18, v[14:15], off
	v_lshl_add_u64 v[16:17], v[0:1], 2, s[6:7]
	v_add_u32_e32 v0, s0, v0
	s_waitcnt vmcnt(0)
	v_mul_f32_e32 v18, v18, v20
	v_mul_f32_e32 v18, v18, v24
	global_store_dword v[14:15], v18, off
	global_load_dword v18, v[16:17], off
	v_lshl_add_u64 v[14:15], v[0:1], 2, s[6:7]
	v_add_u32_e32 v0, s0, v0
	s_waitcnt vmcnt(0)
	v_mul_f32_e32 v18, v18, v20
	v_mul_f32_e32 v18, v18, v24
	global_store_dword v[16:17], v18, off
	global_load_dword v18, v[14:15], off
	v_lshl_add_u64 v[16:17], v[0:1], 2, s[6:7]
	v_add_u32_e32 v0, s0, v0
	s_waitcnt vmcnt(0)
	v_mul_f32_e32 v12, v18, v20
	global_store_dword v[14:15], v12, off
	global_load_dword v12, v[16:17], off
	v_lshl_add_u64 v[14:15], v[0:1], 2, s[6:7]
	v_add_u32_e32 v0, s0, v0
	s_waitcnt vmcnt(0)
	v_mul_f32_e32 v12, v12, v13
	v_mul_f32_e32 v12, v12, v30
	global_store_dword v[16:17], v12, off
	global_load_dword v12, v[14:15], off
	v_lshl_add_u64 v[16:17], v[0:1], 2, s[6:7]
	v_add_u32_e32 v0, s0, v0
	v_lshl_add_u64 v[18:19], v[0:1], 2, s[6:7]
	v_add_u32_e32 v0, s0, v0
	s_waitcnt vmcnt(0)
	v_mul_f32_e32 v12, v12, v13
	v_mul_f32_e32 v12, v12, v30
	global_store_dword v[14:15], v12, off
	global_load_dword v12, v[16:17], off
	s_waitcnt vmcnt(0)
	v_mul_f32_e32 v12, v12, v13
	v_mul_f32_e32 v12, v12, v30
	global_store_dword v[16:17], v12, off
	global_load_dword v12, v[18:19], off
	s_nop 0
	global_load_dword v14, v[8:9], off
	v_lshl_add_u64 v[8:9], v[0:1], 2, s[6:7]
	v_add_u32_e32 v0, s0, v0
	v_lshl_add_u64 v[16:17], v[0:1], 2, s[6:7]
	v_add_u32_e32 v0, s0, v0
	s_waitcnt vmcnt(1)
	v_mul_f32_e32 v12, v12, v13
	s_waitcnt vmcnt(0)
	v_mul_f32_e32 v12, v12, v14
	global_store_dword v[18:19], v12, off
	global_load_dword v12, v[8:9], off
	s_waitcnt vmcnt(0)
	v_mul_f32_e32 v12, v12, v13
	v_mul_f32_e32 v12, v12, v14
	global_store_dword v[8:9], v12, off
	global_load_dword v12, v[16:17], off
	v_lshl_add_u64 v[8:9], v[0:1], 2, s[6:7]
	v_add_u32_e32 v0, s0, v0
	s_waitcnt vmcnt(0)
	v_mul_f32_e32 v12, v12, v13
	v_mul_f32_e32 v12, v12, v14
	global_store_dword v[16:17], v12, off
	global_load_dword v15, v[8:9], off
	s_nop 0
	global_load_dword v12, v[6:7], off
	v_lshl_add_u64 v[16:17], v[0:1], 2, s[6:7]
	v_add_u32_e32 v0, s0, v0
	s_waitcnt vmcnt(1)
	v_mul_f32_e32 v6, v15, v13
	s_waitcnt vmcnt(0)
	v_mul_f32_e32 v6, v6, v12
	global_store_dword v[8:9], v6, off
	global_load_dword v9, v[16:17], off
	s_nop 0
	global_load_dword v8, v[10:11], off
	v_lshl_add_u64 v[6:7], v[0:1], 2, s[6:7]
	v_add_u32_e32 v0, s0, v0
	s_waitcnt vmcnt(1)
	v_mul_f32_e32 v9, v9, v13
	s_waitcnt vmcnt(0)
	v_mul_f32_e32 v9, v9, v8
	global_store_dword v[16:17], v9, off
	global_load_dword v10, v[6:7], off
	s_nop 0
	global_load_dword v9, v[22:23], off
	global_load_dword v15, v[4:5], off
	v_lshl_add_u64 v[4:5], v[0:1], 2, s[6:7]
	v_add_u32_e32 v0, s0, v0
	s_waitcnt vmcnt(2)
	v_mul_f32_e32 v10, v10, v13
	s_waitcnt vmcnt(1)
	v_mul_f32_e32 v10, v10, v9
	global_store_dword v[6:7], v10, off
	global_load_dword v10, v[4:5], off
	v_lshl_add_u64 v[6:7], v[0:1], 2, s[6:7]
	v_add_u32_e32 v0, s0, v0
	s_waitcnt vmcnt(0)
	v_mul_f32_e32 v10, v10, v15
	global_store_dword v[4:5], v10, off
	global_load_dword v4, v[6:7], off
	v_lshl_add_u64 v[10:11], v[0:1], 2, s[6:7]
	v_add_u32_e32 v0, s0, v0
	;; [unrolled: 6-line block ×3, first 2 shown]
	s_waitcnt vmcnt(0)
	v_mul_f32_e32 v6, v6, v14
	global_store_dword v[10:11], v6, off
	global_load_dword v6, v[4:5], off
	s_nop 0
	global_load_dword v7, v[2:3], off
	v_lshl_add_u64 v[2:3], v[0:1], 2, s[6:7]
	v_add_u32_e32 v0, s0, v0
	s_waitcnt vmcnt(1)
	v_mul_f32_e32 v6, v6, v12
	global_store_dword v[4:5], v6, off
	global_load_dword v6, v[2:3], off
	v_lshl_add_u64 v[4:5], v[0:1], 2, s[6:7]
	v_add_u32_e32 v0, s0, v0
	v_lshl_add_u64 v[0:1], v[0:1], 2, s[6:7]
	s_waitcnt vmcnt(0)
	v_mul_f32_e32 v6, v6, v7
	global_store_dword v[2:3], v6, off
	global_load_dword v2, v[4:5], off
	s_waitcnt vmcnt(0)
	v_mul_f32_e32 v2, v2, v8
	global_store_dword v[4:5], v2, off
	global_load_dword v2, v[0:1], off
	s_waitcnt vmcnt(0)
	v_mul_f32_e32 v2, v2, v9
	global_store_dword v[0:1], v2, off
	s_endpgm
	.section	.rodata,"a",@progbits
	.p2align	6, 0x0
	.amdhsa_kernel _Z12ratx2_kernelIfEvPKT_PS0_S3_
		.amdhsa_group_segment_fixed_size 0
		.amdhsa_private_segment_fixed_size 0
		.amdhsa_kernarg_size 280
		.amdhsa_user_sgpr_count 2
		.amdhsa_user_sgpr_dispatch_ptr 0
		.amdhsa_user_sgpr_queue_ptr 0
		.amdhsa_user_sgpr_kernarg_segment_ptr 1
		.amdhsa_user_sgpr_dispatch_id 0
		.amdhsa_user_sgpr_kernarg_preload_length 0
		.amdhsa_user_sgpr_kernarg_preload_offset 0
		.amdhsa_user_sgpr_private_segment_size 0
		.amdhsa_uses_dynamic_stack 0
		.amdhsa_enable_private_segment 0
		.amdhsa_system_sgpr_workgroup_id_x 1
		.amdhsa_system_sgpr_workgroup_id_y 0
		.amdhsa_system_sgpr_workgroup_id_z 0
		.amdhsa_system_sgpr_workgroup_info 0
		.amdhsa_system_vgpr_workitem_id 0
		.amdhsa_next_free_vgpr 51
		.amdhsa_next_free_sgpr 9
		.amdhsa_accum_offset 52
		.amdhsa_reserve_vcc 0
		.amdhsa_float_round_mode_32 0
		.amdhsa_float_round_mode_16_64 0
		.amdhsa_float_denorm_mode_32 3
		.amdhsa_float_denorm_mode_16_64 3
		.amdhsa_dx10_clamp 1
		.amdhsa_ieee_mode 1
		.amdhsa_fp16_overflow 0
		.amdhsa_tg_split 0
		.amdhsa_exception_fp_ieee_invalid_op 0
		.amdhsa_exception_fp_denorm_src 0
		.amdhsa_exception_fp_ieee_div_zero 0
		.amdhsa_exception_fp_ieee_overflow 0
		.amdhsa_exception_fp_ieee_underflow 0
		.amdhsa_exception_fp_ieee_inexact 0
		.amdhsa_exception_int_div_zero 0
	.end_amdhsa_kernel
	.section	.text._Z12ratx2_kernelIfEvPKT_PS0_S3_,"axG",@progbits,_Z12ratx2_kernelIfEvPKT_PS0_S3_,comdat
.Lfunc_end14:
	.size	_Z12ratx2_kernelIfEvPKT_PS0_S3_, .Lfunc_end14-_Z12ratx2_kernelIfEvPKT_PS0_S3_
                                        ; -- End function
	.set _Z12ratx2_kernelIfEvPKT_PS0_S3_.num_vgpr, 51
	.set _Z12ratx2_kernelIfEvPKT_PS0_S3_.num_agpr, 0
	.set _Z12ratx2_kernelIfEvPKT_PS0_S3_.numbered_sgpr, 9
	.set _Z12ratx2_kernelIfEvPKT_PS0_S3_.num_named_barrier, 0
	.set _Z12ratx2_kernelIfEvPKT_PS0_S3_.private_seg_size, 0
	.set _Z12ratx2_kernelIfEvPKT_PS0_S3_.uses_vcc, 0
	.set _Z12ratx2_kernelIfEvPKT_PS0_S3_.uses_flat_scratch, 0
	.set _Z12ratx2_kernelIfEvPKT_PS0_S3_.has_dyn_sized_stack, 0
	.set _Z12ratx2_kernelIfEvPKT_PS0_S3_.has_recursion, 0
	.set _Z12ratx2_kernelIfEvPKT_PS0_S3_.has_indirect_call, 0
	.section	.AMDGPU.csdata,"",@progbits
; Kernel info:
; codeLenInByte = 8620
; TotalNumSgprs: 15
; NumVgprs: 51
; NumAgprs: 0
; TotalNumVgprs: 51
; ScratchSize: 0
; MemoryBound: 0
; FloatMode: 240
; IeeeMode: 1
; LDSByteSize: 0 bytes/workgroup (compile time only)
; SGPRBlocks: 1
; VGPRBlocks: 6
; NumSGPRsForWavesPerEU: 15
; NumVGPRsForWavesPerEU: 51
; AccumOffset: 52
; Occupancy: 8
; WaveLimiterHint : 0
; COMPUTE_PGM_RSRC2:SCRATCH_EN: 0
; COMPUTE_PGM_RSRC2:USER_SGPR: 2
; COMPUTE_PGM_RSRC2:TRAP_HANDLER: 0
; COMPUTE_PGM_RSRC2:TGID_X_EN: 1
; COMPUTE_PGM_RSRC2:TGID_Y_EN: 0
; COMPUTE_PGM_RSRC2:TGID_Z_EN: 0
; COMPUTE_PGM_RSRC2:TIDIG_COMP_CNT: 0
; COMPUTE_PGM_RSRC3_GFX90A:ACCUM_OFFSET: 12
; COMPUTE_PGM_RSRC3_GFX90A:TG_SPLIT: 0
	.section	.text._Z12ratx4_kernelIfEvPKT_PS0_S3_,"axG",@progbits,_Z12ratx4_kernelIfEvPKT_PS0_S3_,comdat
	.protected	_Z12ratx4_kernelIfEvPKT_PS0_S3_ ; -- Begin function _Z12ratx4_kernelIfEvPKT_PS0_S3_
	.globl	_Z12ratx4_kernelIfEvPKT_PS0_S3_
	.p2align	8
	.type	_Z12ratx4_kernelIfEvPKT_PS0_S3_,@function
_Z12ratx4_kernelIfEvPKT_PS0_S3_:        ; @_Z12ratx4_kernelIfEvPKT_PS0_S3_
; %bb.0:
	s_load_dwordx2 s[6:7], s[0:1], 0x0
	s_load_dwordx2 s[4:5], s[0:1], 0x10
	s_load_dword s3, s[0:1], 0x18
	s_load_dword s8, s[0:1], 0x24
	v_mov_b32_e32 v1, 0
	v_mov_b32_e32 v7, v1
	s_waitcnt lgkmcnt(0)
	s_and_b32 s0, s8, 0xffff
	s_mul_i32 s2, s2, s0
	s_mul_i32 s0, s3, s0
	v_add_u32_e32 v0, s2, v0
	s_lshl_b32 s1, s0, 1
	v_add_u32_e32 v6, s1, v0
	v_lshlrev_b64 v[2:3], 2, v[0:1]
	v_lshlrev_b64 v[12:13], 2, v[6:7]
	v_lshl_add_u64 v[4:5], s[4:5], 0, v[2:3]
	v_lshl_add_u64 v[22:23], s[6:7], 0, v[12:13]
	global_load_dword v8, v[4:5], off
	global_load_dword v26, v[22:23], off
	v_add_u32_e32 v6, s1, v6
	v_add_u32_e32 v0, s0, v0
	s_lshl_b32 s8, s0, 2
	s_waitcnt vmcnt(0)
	v_mul_f32_e32 v10, v8, v26
	v_lshl_add_u64 v[8:9], v[6:7], 2, s[6:7]
	global_load_dword v44, v[8:9], off
	s_waitcnt vmcnt(0)
	v_mul_f32_e32 v6, v10, v44
	global_store_dword v[4:5], v6, off
	v_lshlrev_b64 v[4:5], 2, v[0:1]
	v_lshl_add_u64 v[6:7], s[4:5], 0, v[4:5]
	v_lshl_add_u64 v[10:11], s[6:7], 0, v[4:5]
	global_load_dword v14, v[6:7], off
	global_load_dword v45, v[10:11], off
	v_add_u32_e32 v0, s8, v0
	s_waitcnt vmcnt(0)
	v_mul_f32_e32 v4, v14, v45
	v_mul_f32_e32 v4, v44, v4
	global_store_dword v[6:7], v4, off
	v_lshl_add_u64 v[4:5], s[4:5], 0, v[12:13]
	global_load_dword v6, v[4:5], off
	s_waitcnt vmcnt(0)
	v_mul_f32_e32 v12, v45, v6
	v_lshlrev_b64 v[6:7], 2, v[0:1]
	v_lshl_add_u64 v[16:17], s[6:7], 0, v[6:7]
	global_load_dword v46, v[16:17], off
	v_subrev_u32_e32 v0, s1, v0
	v_lshl_add_u64 v[6:7], s[4:5], 0, v[6:7]
	s_waitcnt vmcnt(0)
	v_mul_f32_e32 v12, v12, v46
	global_store_dword v[4:5], v12, off
	v_lshlrev_b64 v[4:5], 2, v[0:1]
	v_lshl_add_u64 v[12:13], s[4:5], 0, v[4:5]
	global_load_dword v14, v[12:13], off
	s_waitcnt vmcnt(0)
	v_mul_f32_e32 v14, v26, v14
	v_mul_f32_e32 v14, v46, v14
	global_store_dword v[12:13], v14, off
	v_lshl_add_u64 v[12:13], s[6:7], 0, v[2:3]
	global_load_dword v14, v[6:7], off
	global_load_dword v47, v[12:13], off
	s_waitcnt vmcnt(0)
	v_mul_f32_e32 v2, v14, v47
	v_mul_f32_e32 v2, v47, v2
	global_store_dword v[6:7], v2, off
	v_mad_u64_u32 v[2:3], s[2:3], s0, 3, v[0:1]
	v_mov_b32_e32 v3, v1
	v_lshlrev_b64 v[6:7], 2, v[2:3]
	v_lshl_add_u64 v[14:15], s[4:5], 0, v[6:7]
	global_load_dword v0, v[14:15], off
	s_waitcnt vmcnt(0)
	v_mul_f32_e32 v0, v47, v0
	v_mul_f32_e32 v0, v46, v0
	global_store_dword v[14:15], v0, off
	v_add_u32_e32 v0, s0, v2
	v_lshlrev_b64 v[14:15], 2, v[0:1]
	v_lshl_add_u64 v[2:3], s[4:5], 0, v[14:15]
	v_add_u32_e32 v0, s8, v0
	global_load_dword v18, v[2:3], off
	v_lshl_add_u64 v[34:35], v[0:1], 2, s[6:7]
	global_load_dword v48, v[34:35], off
	v_add_u32_e32 v0, s0, v0
	v_lshlrev_b64 v[20:21], 2, v[0:1]
	v_lshl_add_u64 v[24:25], s[4:5], 0, v[20:21]
	v_lshl_add_u64 v[14:15], s[6:7], 0, v[14:15]
	v_add_u32_e32 v0, s0, v0
	v_lshlrev_b64 v[42:43], 2, v[0:1]
	v_add_u32_e32 v0, s0, v0
	v_lshlrev_b64 v[32:33], 2, v[0:1]
	global_load_dword v51, v[14:15], off
	s_waitcnt vmcnt(2)
	v_mul_f32_e32 v18, v47, v18
	s_waitcnt vmcnt(1)
	v_mul_f32_e32 v18, v18, v48
	global_store_dword v[2:3], v18, off
	v_lshl_add_u64 v[2:3], s[6:7], 0, v[6:7]
	global_load_dword v18, v[24:25], off
	global_load_dword v49, v[2:3], off
	s_waitcnt vmcnt(0)
	v_mul_f32_e32 v6, v18, v49
	v_lshl_add_u64 v[18:19], s[6:7], 0, v[4:5]
	global_load_dword v50, v[18:19], off
	s_waitcnt vmcnt(0)
	v_mul_f32_e32 v4, v6, v50
	global_store_dword v[24:25], v4, off
	v_lshl_add_u64 v[4:5], s[4:5], 0, v[42:43]
	global_load_dword v6, v[4:5], off
	v_lshl_add_u64 v[42:43], s[6:7], 0, v[42:43]
	s_waitcnt vmcnt(0)
	v_mul_f32_e32 v6, v49, v6
	v_mul_f32_e32 v6, v46, v6
	global_store_dword v[4:5], v6, off
	v_lshl_add_u64 v[4:5], s[4:5], 0, v[32:33]
	global_load_dword v6, v[4:5], off
	v_lshl_add_u64 v[32:33], s[6:7], 0, v[32:33]
	s_waitcnt vmcnt(0)
	v_mul_f32_e32 v24, v49, v6
	v_mad_u64_u32 v[6:7], s[2:3], s0, 7, v[0:1]
	v_mov_b32_e32 v7, v1
	v_lshlrev_b64 v[40:41], 2, v[6:7]
	v_lshl_add_u64 v[30:31], s[6:7], 0, v[40:41]
	global_load_dword v0, v[30:31], off
	s_waitcnt vmcnt(0)
	v_mul_f32_e32 v0, v24, v0
	global_store_dword v[4:5], v0, off
	v_mad_u64_u32 v[4:5], s[2:3], s0, -6, v[6:7]
	v_mov_b32_e32 v5, v1
	v_lshlrev_b64 v[36:37], 2, v[4:5]
	v_lshl_add_u64 v[6:7], s[4:5], 0, v[36:37]
	global_load_dword v0, v[6:7], off
	s_mul_i32 s2, s0, 0xffffffe9
	v_lshl_add_u64 v[36:37], s[6:7], 0, v[36:37]
	s_waitcnt vmcnt(0)
	v_mul_f32_e32 v0, v0, v51
	global_store_dword v[6:7], v0, off
	v_add_u32_e32 v0, s0, v4
	v_lshlrev_b64 v[6:7], 2, v[0:1]
	v_lshl_add_u64 v[4:5], s[4:5], 0, v[6:7]
	global_load_dword v24, v[4:5], off
	v_add_u32_e32 v0, s0, v0
	s_waitcnt vmcnt(0)
	v_mul_f32_e32 v24, v26, v24
	v_mul_f32_e32 v24, v46, v24
	global_store_dword v[4:5], v24, off
	v_lshlrev_b64 v[24:25], 2, v[0:1]
	v_lshl_add_u64 v[4:5], s[4:5], 0, v[24:25]
	global_load_dword v26, v[4:5], off
	v_add_u32_e32 v0, s0, v0
	v_lshlrev_b64 v[38:39], 2, v[0:1]
	v_add_u32_e32 v0, s0, v0
	v_lshl_add_u64 v[24:25], s[6:7], 0, v[24:25]
	s_waitcnt vmcnt(0)
	v_mul_f32_e32 v26, v50, v26
	v_mul_f32_e32 v26, v47, v26
	global_store_dword v[4:5], v26, off
	v_lshl_add_u64 v[4:5], s[4:5], 0, v[38:39]
	global_load_dword v26, v[4:5], off
	v_lshl_add_u64 v[38:39], s[6:7], 0, v[38:39]
	s_waitcnt vmcnt(0)
	v_mul_f32_e32 v26, v44, v26
	v_mul_f32_e32 v26, v44, v26
	global_store_dword v[4:5], v26, off
	v_lshlrev_b64 v[26:27], 2, v[0:1]
	v_lshl_add_u64 v[4:5], s[4:5], 0, v[26:27]
	global_load_dword v28, v[4:5], off
	v_add_u32_e32 v0, s0, v0
	s_waitcnt vmcnt(0)
	v_mul_f32_e32 v28, v44, v28
	v_mul_f32_e32 v28, v50, v28
	global_store_dword v[4:5], v28, off
	v_lshlrev_b64 v[28:29], 2, v[0:1]
	v_lshl_add_u64 v[4:5], s[4:5], 0, v[28:29]
	global_load_dword v52, v[4:5], off
	v_add_u32_e32 v0, s1, v0
	v_lshl_add_u64 v[28:29], s[6:7], 0, v[28:29]
	s_waitcnt vmcnt(0)
	v_mul_f32_e32 v52, v50, v52
	v_mul_f32_e32 v52, v46, v52
	global_store_dword v[4:5], v52, off
	v_lshl_add_u64 v[4:5], s[4:5], 0, v[40:41]
	global_load_dword v40, v[4:5], off
	s_waitcnt vmcnt(0)
	v_mul_f32_e32 v40, v50, v40
	v_mul_f32_e32 v40, v51, v40
	global_store_dword v[4:5], v40, off
	v_lshl_add_u64 v[4:5], v[0:1], 2, s[4:5]
	global_load_dword v40, v[4:5], off
	v_add_u32_e32 v0, s0, v0
	s_waitcnt vmcnt(0)
	v_mul_f32_e32 v40, v50, v40
	v_mul_f32_e32 v40, v51, v40
	global_store_dword v[4:5], v40, off
	v_lshl_add_u64 v[4:5], v[0:1], 2, s[4:5]
	global_load_dword v40, v[4:5], off
	v_add_u32_e32 v0, s0, v0
	;; [unrolled: 7-line block ×7, first 2 shown]
	s_waitcnt vmcnt(0)
	v_mul_f32_e32 v40, v48, v40
	v_mul_f32_e32 v40, v45, v40
	global_store_dword v[4:5], v40, off
	v_lshl_add_u64 v[40:41], v[0:1], 2, s[4:5]
	v_lshl_add_u64 v[4:5], s[6:7], 0, v[20:21]
	global_load_dword v45, v[40:41], off
	global_load_dword v44, v[4:5], off
	v_add_u32_e32 v0, s0, v0
	s_waitcnt vmcnt(0)
	v_mul_f32_e32 v20, v45, v44
	global_store_dword v[40:41], v20, off
	v_lshl_add_u64 v[20:21], v[0:1], 2, s[4:5]
	global_load_dword v40, v[20:21], off
	global_load_dword v46, v[34:35], off
	global_load_dword v45, v[22:23], off
	v_add_u32_e32 v0, s0, v0
	global_load_dword v47, v[8:9], off
	global_load_dword v51, v[10:11], off
	s_waitcnt vmcnt(3)
	v_mul_f32_e32 v40, v40, v46
	s_waitcnt vmcnt(2)
	v_mul_f32_e32 v40, v40, v45
	global_store_dword v[20:21], v40, off
	v_lshl_add_u64 v[20:21], v[0:1], 2, s[4:5]
	global_load_dword v40, v[20:21], off
	v_add_u32_e32 v0, s0, v0
	s_waitcnt vmcnt(0)
	v_mul_f32_e32 v40, v40, v46
	v_mul_f32_e32 v40, v40, v47
	global_store_dword v[20:21], v40, off
	v_lshl_add_u64 v[40:41], v[0:1], 2, s[4:5]
	v_add_u32_e32 v0, s2, v0
	v_lshl_add_u64 v[20:21], v[0:1], 2, s[6:7]
	global_load_dword v48, v[40:41], off
	global_load_dword v50, v[20:21], off
	s_waitcnt vmcnt(0)
	v_mul_f32_e32 v48, v48, v50
	v_mul_f32_e32 v48, v48, v51
	global_store_dword v[40:41], v48, off
	v_mad_u64_u32 v[40:41], s[2:3], s0, 24, v[0:1]
	v_mov_b32_e32 v41, v1
	v_lshl_add_u64 v[48:49], v[40:41], 2, s[4:5]
	global_load_dword v0, v[48:49], off
	s_mul_i32 s2, s0, 0xffffffd9
	s_waitcnt vmcnt(0)
	v_mul_f32_e32 v0, v0, v51
	global_store_dword v[48:49], v0, off
	v_add_u32_e32 v0, s0, v40
	v_lshl_add_u64 v[40:41], v[0:1], 2, s[4:5]
	global_load_dword v48, v[40:41], off
	v_add_u32_e32 v0, s0, v0
	s_waitcnt vmcnt(0)
	v_mul_f32_e32 v48, v48, v51
	global_store_dword v[40:41], v48, off
	v_lshl_add_u64 v[40:41], v[0:1], 2, s[4:5]
	global_load_dword v48, v[40:41], off
	v_add_u32_e32 v0, s0, v0
	s_waitcnt vmcnt(0)
	v_mul_f32_e32 v48, v48, v44
	v_mul_f32_e32 v48, v48, v51
	global_store_dword v[40:41], v48, off
	v_lshl_add_u64 v[40:41], v[0:1], 2, s[4:5]
	global_load_dword v48, v[40:41], off
	v_add_u32_e32 v0, s0, v0
	s_waitcnt vmcnt(0)
	v_mul_f32_e32 v45, v48, v45
	global_store_dword v[40:41], v45, off
	v_lshl_add_u64 v[48:49], v[0:1], 2, s[4:5]
	v_lshl_add_u64 v[40:41], s[6:7], 0, v[6:7]
	global_load_dword v45, v[48:49], off
	global_load_dword v6, v[40:41], off
	v_add_u32_e32 v0, s0, v0
	s_waitcnt vmcnt(0)
	v_mul_f32_e32 v6, v45, v6
	global_store_dword v[48:49], v6, off
	v_lshl_add_u64 v[6:7], v[0:1], 2, s[4:5]
	global_load_dword v45, v[6:7], off
	v_add_u32_e32 v0, s0, v0
	s_waitcnt vmcnt(0)
	v_mul_f32_e32 v45, v45, v50
	global_store_dword v[6:7], v45, off
	v_lshl_add_u64 v[6:7], v[0:1], 2, s[4:5]
	;; [unrolled: 6-line block ×3, first 2 shown]
	global_load_dword v44, v[6:7], off
	global_load_dword v45, v[12:13], off
	v_add_u32_e32 v0, s0, v0
	s_waitcnt vmcnt(1)
	v_mul_f32_e32 v44, v44, v50
	s_waitcnt vmcnt(0)
	v_mul_f32_e32 v44, v44, v45
	global_store_dword v[6:7], v44, off
	v_lshl_add_u64 v[6:7], v[0:1], 2, s[4:5]
	global_load_dword v44, v[6:7], off
	v_add_u32_e32 v0, s0, v0
	global_load_dword v45, v[2:3], off
	s_waitcnt vmcnt(1)
	v_mul_f32_e32 v44, v44, v50
	v_mul_f32_e32 v44, v44, v47
	global_store_dword v[6:7], v44, off
	v_lshl_add_u64 v[6:7], v[0:1], 2, s[4:5]
	global_load_dword v44, v[6:7], off
	v_add_u32_e32 v0, s0, v0
	global_load_dword v47, v[16:17], off
	s_waitcnt vmcnt(1)
	v_mul_f32_e32 v44, v44, v46
	v_mul_f32_e32 v44, v44, v51
	global_store_dword v[6:7], v44, off
	v_lshl_add_u64 v[6:7], v[0:1], 2, s[4:5]
	global_load_dword v44, v[6:7], off
	v_add_u32_e32 v0, s1, v0
	s_waitcnt vmcnt(0)
	v_mul_f32_e32 v44, v44, v50
	v_mul_f32_e32 v44, v44, v47
	global_store_dword v[6:7], v44, off
	v_lshl_add_u64 v[6:7], v[0:1], 2, s[4:5]
	global_load_dword v44, v[6:7], off
	v_add_u32_e32 v0, s0, v0
	s_waitcnt vmcnt(0)
	v_mul_f32_e32 v44, v44, v50
	v_mul_f32_e32 v44, v44, v45
	global_store_dword v[6:7], v44, off
	v_lshl_add_u64 v[44:45], v[0:1], 2, s[4:5]
	v_add_u32_e32 v0, s2, v0
	v_lshl_add_u64 v[6:7], v[0:1], 2, s[6:7]
	global_load_dword v48, v[44:45], off
	global_load_dword v50, v[6:7], off
	s_waitcnt vmcnt(0)
	v_mul_f32_e32 v48, v48, v50
	global_store_dword v[44:45], v48, off
	v_mad_u64_u32 v[44:45], s[2:3], s0, 40, v[0:1]
	v_mov_b32_e32 v45, v1
	v_lshl_add_u64 v[48:49], v[44:45], 2, s[4:5]
	global_load_dword v0, v[48:49], off
	global_load_dword v51, v[10:11], off
	s_mul_i32 s2, s0, 0xffffffbc
	s_waitcnt vmcnt(0)
	v_mul_f32_e32 v0, v0, v51
	v_mul_f32_e32 v0, v0, v50
	global_store_dword v[48:49], v0, off
	v_add_u32_e32 v0, s0, v44
	v_lshl_add_u64 v[44:45], v[0:1], 2, s[4:5]
	global_load_dword v48, v[44:45], off
	v_add_u32_e32 v0, s0, v0
	s_waitcnt vmcnt(0)
	v_mul_f32_e32 v48, v48, v51
	global_store_dword v[44:45], v48, off
	v_lshl_add_u64 v[44:45], v[0:1], 2, s[4:5]
	global_load_dword v48, v[44:45], off
	global_load_dword v49, v[8:9], off
	v_add_u32_e32 v0, s0, v0
	s_waitcnt vmcnt(0)
	v_mul_f32_e32 v48, v48, v49
	global_store_dword v[44:45], v48, off
	v_lshl_add_u64 v[44:45], v[0:1], 2, s[4:5]
	global_load_dword v48, v[44:45], off
	v_add_u32_e32 v0, s0, v0
	s_waitcnt vmcnt(0)
	v_mul_f32_e32 v46, v48, v46
	v_mul_f32_e32 v46, v46, v51
	;; [unrolled: 1-line block ×3, first 2 shown]
	global_store_dword v[44:45], v46, off
	v_lshl_add_u64 v[44:45], v[0:1], 2, s[4:5]
	global_load_dword v46, v[44:45], off
	global_load_dword v48, v[4:5], off
	v_add_u32_e32 v0, s0, v0
	s_waitcnt vmcnt(0)
	v_mul_f32_e32 v46, v46, v48
	v_mul_f32_e32 v46, v46, v51
	global_store_dword v[44:45], v46, off
	v_lshl_add_u64 v[44:45], v[0:1], 2, s[4:5]
	global_load_dword v46, v[44:45], off
	v_add_u32_e32 v0, s0, v0
	s_waitcnt vmcnt(0)
	v_mul_f32_e32 v46, v46, v47
	global_store_dword v[44:45], v46, off
	v_lshl_add_u64 v[44:45], v[0:1], 2, s[4:5]
	global_load_dword v46, v[44:45], off
	v_add_u32_e32 v0, s0, v0
	global_load_dword v47, v[24:25], off
	s_waitcnt vmcnt(1)
	v_mul_f32_e32 v46, v46, v48
	v_mul_f32_e32 v46, v46, v49
	global_store_dword v[44:45], v46, off
	v_lshl_add_u64 v[44:45], v[0:1], 2, s[4:5]
	global_load_dword v46, v[44:45], off
	v_add_u32_e32 v0, s0, v0
	s_waitcnt vmcnt(0)
	v_mul_f32_e32 v46, v46, v47
	global_store_dword v[44:45], v46, off
	v_lshl_add_u64 v[44:45], v[0:1], 2, s[4:5]
	global_load_dword v46, v[44:45], off
	global_load_dword v47, v[42:43], off
	v_add_u32_e32 v0, s0, v0
	s_waitcnt vmcnt(0)
	v_mul_f32_e32 v46, v46, v47
	v_mul_f32_e32 v46, v46, v51
	global_store_dword v[44:45], v46, off
	v_lshl_add_u64 v[44:45], v[0:1], 2, s[4:5]
	global_load_dword v46, v[44:45], off
	v_add_u32_e32 v0, s0, v0
	s_waitcnt vmcnt(0)
	v_mul_f32_e32 v46, v46, v47
	global_load_dword v47, v[12:13], off
	s_waitcnt vmcnt(0)
	v_mul_f32_e32 v46, v46, v47
	global_store_dword v[44:45], v46, off
	v_lshl_add_u64 v[44:45], v[0:1], 2, s[4:5]
	global_load_dword v46, v[44:45], off
	global_load_dword v49, v[30:31], off
	v_add_u32_e32 v0, s0, v0
	s_waitcnt vmcnt(0)
	v_mul_f32_e32 v30, v46, v49
	global_store_dword v[44:45], v30, off
	v_lshl_add_u64 v[30:31], v[0:1], 2, s[4:5]
	global_load_dword v44, v[30:31], off
	v_add_u32_e32 v0, s0, v0
	s_waitcnt vmcnt(0)
	v_mul_f32_e32 v44, v44, v47
	global_store_dword v[30:31], v44, off
	v_lshl_add_u64 v[30:31], v[0:1], 2, s[4:5]
	global_load_dword v44, v[30:31], off
	global_load_dword v45, v[20:21], off
	v_add_u32_e32 v0, s0, v0
	s_waitcnt vmcnt(0)
	v_mul_f32_e32 v44, v44, v45
	v_mul_f32_e32 v44, v44, v47
	global_store_dword v[30:31], v44, off
	v_lshl_add_u64 v[30:31], v[0:1], 2, s[4:5]
	global_load_dword v44, v[30:31], off
	v_add_u32_e32 v0, s0, v0
	s_waitcnt vmcnt(0)
	v_mul_f32_e32 v44, v44, v51
	global_store_dword v[30:31], v44, off
	v_lshl_add_u64 v[30:31], v[0:1], 2, s[4:5]
	global_load_dword v44, v[30:31], off
	v_add_u32_e32 v0, s0, v0
	s_waitcnt vmcnt(0)
	v_mul_f32_e32 v44, v44, v48
	v_mul_f32_e32 v44, v44, v51
	global_store_dword v[30:31], v44, off
	v_lshl_add_u64 v[30:31], v[0:1], 2, s[4:5]
	global_load_dword v44, v[30:31], off
	global_load_dword v46, v[6:7], off
	v_add_u32_e32 v0, s0, v0
	global_load_dword v48, v[16:17], off
	s_waitcnt vmcnt(1)
	v_mul_f32_e32 v44, v44, v46
	v_mul_f32_e32 v44, v44, v51
	global_store_dword v[30:31], v44, off
	v_lshl_add_u64 v[30:31], v[0:1], 2, s[4:5]
	global_load_dword v44, v[30:31], off
	global_load_dword v46, v[8:9], off
	v_add_u32_e32 v0, s0, v0
	s_waitcnt vmcnt(1)
	v_mul_f32_e32 v44, v44, v51
	s_waitcnt vmcnt(0)
	v_mul_f32_e32 v44, v44, v46
	v_mul_f32_e32 v44, v44, v45
	global_store_dword v[30:31], v44, off
	v_lshl_add_u64 v[30:31], v[0:1], 2, s[4:5]
	global_load_dword v44, v[30:31], off
	v_add_u32_e32 v0, s0, v0
	s_waitcnt vmcnt(0)
	v_mul_f32_e32 v44, v44, v45
	v_mul_f32_e32 v44, v44, v48
	global_store_dword v[30:31], v44, off
	v_lshl_add_u64 v[30:31], v[0:1], 2, s[4:5]
	global_load_dword v44, v[30:31], off
	v_add_u32_e32 v0, s0, v0
	s_waitcnt vmcnt(0)
	v_mul_f32_e32 v44, v44, v48
	global_store_dword v[30:31], v44, off
	v_lshl_add_u64 v[30:31], v[0:1], 2, s[4:5]
	global_load_dword v44, v[30:31], off
	v_add_u32_e32 v0, s0, v0
	s_waitcnt vmcnt(0)
	v_mul_f32_e32 v44, v44, v45
	global_store_dword v[30:31], v44, off
	v_lshl_add_u64 v[30:31], v[0:1], 2, s[4:5]
	global_load_dword v44, v[30:31], off
	global_load_dword v49, v[34:35], off
	v_add_u32_e32 v0, s0, v0
	s_waitcnt vmcnt(0)
	v_mul_f32_e32 v44, v44, v49
	global_store_dword v[30:31], v44, off
	v_lshl_add_u64 v[30:31], v[0:1], 2, s[4:5]
	global_load_dword v44, v[30:31], off
	global_load_dword v49, v[4:5], off
	v_add_u32_e32 v0, s1, v0
	s_waitcnt vmcnt(0)
	v_mul_f32_e32 v44, v44, v49
	v_mul_f32_e32 v44, v44, v45
	global_store_dword v[30:31], v44, off
	v_lshl_add_u64 v[30:31], v[0:1], 2, s[4:5]
	global_load_dword v44, v[30:31], off
	v_add_u32_e32 v0, s0, v0
	s_waitcnt vmcnt(0)
	v_mul_f32_e32 v44, v44, v47
	global_store_dword v[30:31], v44, off
	v_lshl_add_u64 v[30:31], v[0:1], 2, s[4:5]
	global_load_dword v44, v[30:31], off
	v_add_u32_e32 v0, s0, v0
	s_waitcnt vmcnt(0)
	;; [unrolled: 6-line block ×3, first 2 shown]
	v_mul_f32_e32 v44, v44, v48
	global_store_dword v[30:31], v44, off
	v_lshl_add_u64 v[30:31], v[0:1], 2, s[4:5]
	global_load_dword v44, v[30:31], off
	global_load_dword v46, v[2:3], off
	v_add_u32_e32 v0, s0, v0
	s_waitcnt vmcnt(0)
	v_mul_f32_e32 v44, v44, v46
	global_store_dword v[30:31], v44, off
	v_lshl_add_u64 v[30:31], v[0:1], 2, s[4:5]
	global_load_dword v44, v[30:31], off
	global_load_dword v45, v[14:15], off
	v_add_u32_e32 v0, s0, v0
	s_waitcnt vmcnt(0)
	v_mul_f32_e32 v44, v44, v45
	global_store_dword v[30:31], v44, off
	v_lshl_add_u64 v[30:31], v[0:1], 2, s[4:5]
	global_load_dword v44, v[30:31], off
	global_load_dword v45, v[24:25], off
	;; [unrolled: 1-line block ×3, first 2 shown]
	v_add_u32_e32 v0, s0, v0
	s_waitcnt vmcnt(1)
	v_mul_f32_e32 v44, v44, v45
	s_waitcnt vmcnt(0)
	v_mul_f32_e32 v44, v44, v47
	global_store_dword v[30:31], v44, off
	v_lshl_add_u64 v[44:45], v[0:1], 2, s[4:5]
	v_add_u32_e32 v0, s2, v0
	v_lshl_add_u64 v[30:31], v[0:1], 2, s[6:7]
	global_load_dword v50, v[44:45], off
	global_load_dword v51, v[30:31], off
	s_mul_i32 s2, s0, 0x45
	v_add_u32_e32 v0, s2, v0
	s_waitcnt vmcnt(0)
	v_mul_f32_e32 v50, v50, v51
	global_store_dword v[44:45], v50, off
	v_lshl_add_u64 v[44:45], v[0:1], 2, s[4:5]
	global_load_dword v50, v[44:45], off
	v_add_u32_e32 v0, s0, v0
	s_waitcnt vmcnt(0)
	v_mul_f32_e32 v50, v50, v49
	v_mul_f32_e32 v50, v50, v47
	global_store_dword v[44:45], v50, off
	v_lshl_add_u64 v[44:45], v[0:1], 2, s[4:5]
	global_load_dword v50, v[44:45], off
	v_add_u32_e32 v0, s0, v0
	s_waitcnt vmcnt(0)
	v_mul_f32_e32 v50, v50, v48
	global_store_dword v[44:45], v50, off
	v_lshl_add_u64 v[44:45], v[0:1], 2, s[4:5]
	global_load_dword v50, v[44:45], off
	v_add_u32_e32 v0, s0, v0
	s_waitcnt vmcnt(0)
	v_mul_f32_e32 v48, v50, v48
	global_store_dword v[44:45], v48, off
	v_lshl_add_u64 v[44:45], v[0:1], 2, s[4:5]
	global_load_dword v48, v[44:45], off
	global_load_dword v50, v[22:23], off
	v_add_u32_e32 v0, s0, v0
	s_waitcnt vmcnt(0)
	v_mul_f32_e32 v48, v48, v50
	global_store_dword v[44:45], v48, off
	v_lshl_add_u64 v[44:45], v[0:1], 2, s[4:5]
	global_load_dword v48, v[44:45], off
	global_load_dword v50, v[8:9], off
	v_add_u32_e32 v0, s0, v0
	s_waitcnt vmcnt(0)
	v_mul_f32_e32 v48, v48, v50
	v_mul_f32_e32 v48, v48, v49
	global_store_dword v[44:45], v48, off
	v_lshl_add_u64 v[44:45], v[0:1], 2, s[4:5]
	global_load_dword v48, v[44:45], off
	global_load_dword v49, v[18:19], off
	v_add_u32_e32 v0, s0, v0
	s_waitcnt vmcnt(1)
	v_mul_f32_e32 v48, v48, v51
	s_waitcnt vmcnt(0)
	v_mul_f32_e32 v48, v48, v49
	global_store_dword v[44:45], v48, off
	v_lshl_add_u64 v[44:45], v[0:1], 2, s[4:5]
	global_load_dword v48, v[44:45], off
	v_add_u32_e32 v0, s0, v0
	s_waitcnt vmcnt(0)
	v_mul_f32_e32 v48, v48, v50
	global_store_dword v[44:45], v48, off
	v_lshl_add_u64 v[44:45], v[0:1], 2, s[4:5]
	global_load_dword v48, v[44:45], off
	v_add_u32_e32 v0, s0, v0
	global_load_dword v50, v[36:37], off
	global_load_dword v49, v[10:11], off
	s_waitcnt vmcnt(2)
	v_mul_f32_e32 v48, v48, v51
	v_mul_f32_e32 v46, v48, v46
	global_store_dword v[44:45], v46, off
	v_lshl_add_u64 v[44:45], v[0:1], 2, s[4:5]
	global_load_dword v46, v[44:45], off
	v_add_u32_e32 v0, s0, v0
	global_load_dword v48, v[38:39], off
	s_waitcnt vmcnt(1)
	v_mul_f32_e32 v46, v46, v47
	global_store_dword v[44:45], v46, off
	v_lshl_add_u64 v[44:45], v[0:1], 2, s[4:5]
	global_load_dword v46, v[44:45], off
	global_load_dword v47, v[20:21], off
	v_add_u32_e32 v0, s0, v0
	s_waitcnt vmcnt(1)
	v_mul_f32_e32 v46, v46, v51
	s_waitcnt vmcnt(0)
	v_mul_f32_e32 v46, v46, v47
	global_store_dword v[44:45], v46, off
	v_lshl_add_u64 v[44:45], v[0:1], 2, s[4:5]
	global_load_dword v46, v[44:45], off
	v_add_u32_e32 v0, s0, v0
	s_waitcnt vmcnt(0)
	v_mul_f32_e32 v46, v46, v48
	global_store_dword v[44:45], v46, off
	v_lshl_add_u64 v[44:45], v[0:1], 2, s[4:5]
	global_load_dword v46, v[44:45], off
	v_add_u32_e32 v0, s0, v0
	global_load_dword v48, v[32:33], off
	s_waitcnt vmcnt(1)
	v_mul_f32_e32 v46, v46, v51
	global_store_dword v[44:45], v46, off
	v_lshl_add_u64 v[44:45], v[0:1], 2, s[4:5]
	global_load_dword v46, v[44:45], off
	v_add_u32_e32 v0, s0, v0
	s_waitcnt vmcnt(0)
	v_mul_f32_e32 v46, v46, v48
	v_mul_f32_e32 v46, v46, v49
	global_store_dword v[44:45], v46, off
	v_lshl_add_u64 v[44:45], v[0:1], 2, s[4:5]
	global_load_dword v46, v[44:45], off
	v_add_u32_e32 v0, s0, v0
	s_waitcnt vmcnt(0)
	v_mul_f32_e32 v46, v46, v48
	;; [unrolled: 7-line block ×3, first 2 shown]
	global_store_dword v[44:45], v46, off
	v_lshl_add_u64 v[44:45], v[0:1], 2, s[4:5]
	global_load_dword v46, v[44:45], off
	v_add_u32_e32 v0, s0, v0
	s_waitcnt vmcnt(0)
	v_mul_f32_e32 v46, v46, v49
	global_store_dword v[44:45], v46, off
	v_lshl_add_u64 v[44:45], v[0:1], 2, s[4:5]
	global_load_dword v46, v[44:45], off
	v_add_u32_e32 v0, s0, v0
	s_waitcnt vmcnt(0)
	v_mul_f32_e32 v46, v46, v48
	v_mul_f32_e32 v46, v46, v47
	global_store_dword v[44:45], v46, off
	v_lshl_add_u64 v[44:45], v[0:1], 2, s[4:5]
	global_load_dword v46, v[44:45], off
	global_load_dword v47, v[4:5], off
	;; [unrolled: 1-line block ×3, first 2 shown]
	v_add_u32_e32 v0, s0, v0
	s_waitcnt vmcnt(1)
	v_mul_f32_e32 v46, v46, v47
	s_waitcnt vmcnt(0)
	v_mul_f32_e32 v46, v46, v48
	global_store_dword v[44:45], v46, off
	v_lshl_add_u64 v[44:45], v[0:1], 2, s[4:5]
	global_load_dword v46, v[44:45], off
	global_load_dword v49, v[6:7], off
	global_load_dword v50, v[8:9], off
	v_add_u32_e32 v0, s0, v0
	s_waitcnt vmcnt(1)
	v_mul_f32_e32 v46, v46, v49
	s_waitcnt vmcnt(0)
	v_mul_f32_e32 v46, v46, v50
	global_store_dword v[44:45], v46, off
	v_lshl_add_u64 v[44:45], v[0:1], 2, s[4:5]
	global_load_dword v46, v[44:45], off
	global_load_dword v51, v[16:17], off
	v_add_u32_e32 v0, s0, v0
	s_waitcnt vmcnt(0)
	v_mul_f32_e32 v46, v46, v51
	global_store_dword v[44:45], v46, off
	v_lshl_add_u64 v[44:45], v[0:1], 2, s[4:5]
	global_load_dword v46, v[44:45], off
	v_add_u32_e32 v0, s0, v0
	s_waitcnt vmcnt(0)
	v_mul_f32_e32 v46, v46, v47
	v_mul_f32_e32 v46, v46, v50
	global_store_dword v[44:45], v46, off
	v_lshl_add_u64 v[44:45], v[0:1], 2, s[4:5]
	global_load_dword v46, v[44:45], off
	v_add_u32_e32 v0, s0, v0
	s_waitcnt vmcnt(0)
	v_mul_f32_e32 v46, v46, v47
	;; [unrolled: 7-line block ×3, first 2 shown]
	global_load_dword v47, v[2:3], off
	s_waitcnt vmcnt(0)
	v_mul_f32_e32 v46, v46, v47
	global_store_dword v[44:45], v46, off
	v_lshl_add_u64 v[44:45], v[0:1], 2, s[4:5]
	global_load_dword v46, v[44:45], off
	v_add_u32_e32 v0, s0, v0
	s_waitcnt vmcnt(0)
	v_mul_f32_e32 v46, v46, v49
	v_mul_f32_e32 v46, v46, v48
	global_store_dword v[44:45], v46, off
	v_lshl_add_u64 v[44:45], v[0:1], 2, s[4:5]
	global_load_dword v46, v[44:45], off
	v_add_u32_e32 v0, s0, v0
	s_waitcnt vmcnt(0)
	v_mul_f32_e32 v46, v46, v49
	;; [unrolled: 7-line block ×3, first 2 shown]
	v_mul_f32_e32 v46, v46, v51
	global_store_dword v[44:45], v46, off
	v_lshl_add_u64 v[44:45], v[0:1], 2, s[4:5]
	global_load_dword v46, v[44:45], off
	global_load_dword v47, v[32:33], off
	v_add_u32_e32 v0, s0, v0
	s_waitcnt vmcnt(0)
	v_mul_f32_e32 v46, v46, v47
	global_load_dword v47, v[10:11], off
	s_waitcnt vmcnt(0)
	v_mul_f32_e32 v46, v46, v47
	global_store_dword v[44:45], v46, off
	v_lshl_add_u64 v[44:45], v[0:1], 2, s[4:5]
	global_load_dword v46, v[44:45], off
	v_add_u32_e32 v0, s0, v0
	s_waitcnt vmcnt(0)
	v_mul_f32_e32 v46, v46, v49
	v_mul_f32_e32 v46, v49, v46
	global_store_dword v[44:45], v46, off
	v_lshl_add_u64 v[44:45], v[0:1], 2, s[4:5]
	global_load_dword v46, v[44:45], off
	v_add_u32_e32 v0, s0, v0
	s_waitcnt vmcnt(0)
	v_mul_f32_e32 v46, v46, v49
	v_mul_f32_e32 v46, v49, v46
	global_store_dword v[44:45], v46, off
	v_lshl_add_u64 v[44:45], v[0:1], 2, s[4:5]
	global_load_dword v46, v[44:45], off
	global_load_dword v48, v[20:21], off
	v_add_u32_e32 v0, s0, v0
	s_waitcnt vmcnt(0)
	v_mul_f32_e32 v46, v46, v48
	global_store_dword v[44:45], v46, off
	v_lshl_add_u64 v[44:45], v[0:1], 2, s[4:5]
	global_load_dword v46, v[44:45], off
	v_add_u32_e32 v0, s0, v0
	s_waitcnt vmcnt(0)
	v_mul_f32_e32 v46, v46, v47
	v_mul_f32_e32 v46, v46, v48
	;; [unrolled: 1-line block ×3, first 2 shown]
	global_store_dword v[44:45], v46, off
	v_lshl_add_u64 v[44:45], v[0:1], 2, s[4:5]
	global_load_dword v46, v[44:45], off
	v_add_u32_e32 v0, s0, v0
	s_waitcnt vmcnt(0)
	v_mul_f32_e32 v46, v46, v50
	v_mul_f32_e32 v46, v46, v48
	;; [unrolled: 1-line block ×3, first 2 shown]
	global_store_dword v[44:45], v46, off
	v_lshl_add_u64 v[44:45], v[0:1], 2, s[4:5]
	global_load_dword v46, v[44:45], off
	global_load_dword v49, v[42:43], off
	v_add_u32_e32 v0, s0, v0
	s_waitcnt vmcnt(0)
	v_mul_f32_e32 v46, v46, v49
	v_mul_f32_e32 v46, v46, v48
	global_store_dword v[44:45], v46, off
	v_lshl_add_u64 v[44:45], v[0:1], 2, s[4:5]
	global_load_dword v46, v[44:45], off
	v_add_u32_e32 v0, s0, v0
	s_waitcnt vmcnt(0)
	v_mul_f32_e32 v46, v46, v48
	global_store_dword v[44:45], v46, off
	v_lshl_add_u64 v[44:45], v[0:1], 2, s[4:5]
	global_load_dword v46, v[44:45], off
	v_add_u32_e32 v0, s1, v0
	s_waitcnt vmcnt(0)
	v_mul_f32_e32 v46, v46, v49
	v_mul_f32_e32 v46, v46, v48
	;; [unrolled: 1-line block ×3, first 2 shown]
	global_store_dword v[44:45], v46, off
	v_lshl_add_u64 v[44:45], v[0:1], 2, s[4:5]
	global_load_dword v46, v[44:45], off
	v_add_u32_e32 v0, s0, v0
	s_waitcnt vmcnt(0)
	v_mul_f32_e32 v46, v46, v49
	v_mul_f32_e32 v46, v46, v47
	global_store_dword v[44:45], v46, off
	v_lshl_add_u64 v[44:45], v[0:1], 2, s[4:5]
	global_load_dword v46, v[44:45], off
	global_load_dword v50, v[40:41], off
	v_add_u32_e32 v0, s0, v0
	s_waitcnt vmcnt(0)
	v_mul_f32_e32 v40, v46, v50
	v_mul_f32_e32 v40, v40, v47
	global_store_dword v[44:45], v40, off
	v_lshl_add_u64 v[40:41], v[0:1], 2, s[4:5]
	global_load_dword v44, v[40:41], off
	v_add_u32_e32 v0, s0, v0
	s_waitcnt vmcnt(0)
	v_mul_f32_e32 v44, v44, v48
	global_store_dword v[40:41], v44, off
	v_lshl_add_u64 v[40:41], v[0:1], 2, s[4:5]
	global_load_dword v44, v[40:41], off
	global_load_dword v45, v[24:25], off
	v_add_u32_e32 v0, s0, v0
	s_waitcnt vmcnt(0)
	v_mul_f32_e32 v44, v44, v45
	v_mul_f32_e32 v44, v44, v47
	global_store_dword v[40:41], v44, off
	v_lshl_add_u64 v[40:41], v[0:1], 2, s[4:5]
	global_load_dword v44, v[40:41], off
	global_load_dword v46, v[6:7], off
	v_add_u32_e32 v0, s0, v0
	s_waitcnt vmcnt(0)
	v_mul_f32_e32 v44, v44, v46
	v_mul_f32_e32 v44, v44, v48
	global_store_dword v[40:41], v44, off
	v_lshl_add_u64 v[40:41], v[0:1], 2, s[4:5]
	global_load_dword v44, v[40:41], off
	v_add_u32_e32 v0, s1, v0
	s_waitcnt vmcnt(0)
	v_mul_f32_e32 v44, v44, v48
	global_store_dword v[40:41], v44, off
	v_lshl_add_u64 v[40:41], v[0:1], 2, s[4:5]
	global_load_dword v44, v[40:41], off
	v_add_u32_e32 v0, s0, v0
	s_waitcnt vmcnt(0)
	v_mul_f32_e32 v44, v44, v49
	v_mul_f32_e32 v44, v44, v47
	global_store_dword v[40:41], v44, off
	v_lshl_add_u64 v[40:41], v[0:1], 2, s[4:5]
	global_load_dword v44, v[40:41], off
	v_add_u32_e32 v0, s0, v0
	s_waitcnt vmcnt(0)
	v_mul_f32_e32 v44, v44, v48
	global_store_dword v[40:41], v44, off
	v_lshl_add_u64 v[40:41], v[0:1], 2, s[4:5]
	global_load_dword v44, v[40:41], off
	v_add_u32_e32 v0, s0, v0
	s_waitcnt vmcnt(0)
	v_mul_f32_e32 v44, v44, v45
	v_mul_f32_e32 v44, v44, v47
	global_store_dword v[40:41], v44, off
	v_lshl_add_u64 v[40:41], v[0:1], 2, s[4:5]
	global_load_dword v44, v[40:41], off
	global_load_dword v45, v[34:35], off
	v_add_u32_e32 v0, s1, v0
	s_waitcnt vmcnt(0)
	v_mul_f32_e32 v34, v44, v45
	global_store_dword v[40:41], v34, off
	v_lshl_add_u64 v[34:35], v[0:1], 2, s[4:5]
	global_load_dword v40, v[34:35], off
	global_load_dword v41, v[12:13], off
	v_add_u32_e32 v0, s0, v0
	s_waitcnt vmcnt(1)
	v_mul_f32_e32 v40, v40, v50
	s_waitcnt vmcnt(0)
	v_mul_f32_e32 v40, v40, v41
	global_store_dword v[34:35], v40, off
	v_lshl_add_u64 v[34:35], v[0:1], 2, s[4:5]
	global_load_dword v40, v[34:35], off
	v_add_u32_e32 v0, s0, v0
	s_waitcnt vmcnt(0)
	v_mul_f32_e32 v40, v40, v46
	v_mul_f32_e32 v40, v40, v48
	global_store_dword v[34:35], v40, off
	v_lshl_add_u64 v[34:35], v[0:1], 2, s[4:5]
	global_load_dword v40, v[34:35], off
	v_add_u32_e32 v0, s0, v0
	global_load_dword v46, v[16:17], off
	s_waitcnt vmcnt(1)
	v_mul_f32_e32 v44, v40, v50
	global_load_dword v40, v[8:9], off
	s_waitcnt vmcnt(0)
	v_mul_f32_e32 v44, v44, v40
	global_store_dword v[34:35], v44, off
	v_lshl_add_u64 v[34:35], v[0:1], 2, s[4:5]
	global_load_dword v44, v[34:35], off
	v_add_u32_e32 v0, s0, v0
	s_waitcnt vmcnt(0)
	v_mul_f32_e32 v44, v44, v45
	global_store_dword v[34:35], v44, off
	v_lshl_add_u64 v[34:35], v[0:1], 2, s[4:5]
	global_load_dword v44, v[34:35], off
	v_add_u32_e32 v0, s0, v0
	s_waitcnt vmcnt(0)
	v_mul_f32_e32 v44, v44, v50
	v_mul_f32_e32 v44, v44, v46
	global_store_dword v[34:35], v44, off
	v_lshl_add_u64 v[34:35], v[0:1], 2, s[4:5]
	global_load_dword v45, v[34:35], off
	global_load_dword v44, v[32:33], off
	v_add_u32_e32 v0, s0, v0
	s_waitcnt vmcnt(0)
	v_mul_f32_e32 v45, v45, v44
	global_store_dword v[34:35], v45, off
	v_lshl_add_u64 v[34:35], v[0:1], 2, s[4:5]
	global_load_dword v47, v[34:35], off
	global_load_dword v45, v[42:43], off
	v_add_u32_e32 v0, s0, v0
	s_waitcnt vmcnt(0)
	v_mul_f32_e32 v42, v47, v45
	v_mul_f32_e32 v42, v42, v41
	global_store_dword v[34:35], v42, off
	v_lshl_add_u64 v[34:35], v[0:1], 2, s[4:5]
	global_load_dword v42, v[34:35], off
	v_add_u32_e32 v0, s0, v0
	s_waitcnt vmcnt(0)
	v_mul_f32_e32 v41, v42, v41
	global_store_dword v[34:35], v41, off
	v_lshl_add_u64 v[34:35], v[0:1], 2, s[4:5]
	global_load_dword v41, v[34:35], off
	global_load_dword v42, v[24:25], off
	v_add_u32_e32 v0, s0, v0
	s_waitcnt vmcnt(0)
	v_mul_f32_e32 v41, v41, v42
	global_load_dword v42, v[10:11], off
	s_waitcnt vmcnt(0)
	v_mul_f32_e32 v41, v41, v42
	global_store_dword v[34:35], v41, off
	v_lshl_add_u64 v[34:35], v[0:1], 2, s[4:5]
	global_load_dword v43, v[34:35], off
	global_load_dword v41, v[6:7], off
	v_add_u32_e32 v0, s0, v0
	s_waitcnt vmcnt(0)
	v_mul_f32_e32 v47, v43, v41
	global_load_dword v43, v[20:21], off
	s_waitcnt vmcnt(0)
	v_mul_f32_e32 v47, v47, v43
	global_store_dword v[34:35], v47, off
	v_lshl_add_u64 v[34:35], v[0:1], 2, s[4:5]
	global_load_dword v47, v[34:35], off
	v_add_u32_e32 v0, s0, v0
	s_waitcnt vmcnt(0)
	v_mul_f32_e32 v47, v47, v45
	v_mul_f32_e32 v46, v47, v46
	global_store_dword v[34:35], v46, off
	v_lshl_add_u64 v[34:35], v[0:1], 2, s[4:5]
	global_load_dword v46, v[34:35], off
	v_add_u32_e32 v0, s0, v0
	s_waitcnt vmcnt(0)
	v_mul_f32_e32 v47, v46, v45
	global_load_dword v46, v[2:3], off
	s_waitcnt vmcnt(0)
	v_mul_f32_e32 v47, v47, v46
	global_store_dword v[34:35], v47, off
	v_lshl_add_u64 v[34:35], v[0:1], 2, s[4:5]
	global_load_dword v47, v[34:35], off
	global_load_dword v48, v[22:23], off
	v_add_u32_e32 v0, s0, v0
	s_waitcnt vmcnt(0)
	v_mul_f32_e32 v22, v47, v48
	global_store_dword v[34:35], v22, off
	v_lshl_add_u64 v[22:23], v[0:1], 2, s[4:5]
	global_load_dword v34, v[22:23], off
	global_load_dword v35, v[4:5], off
	v_add_u32_e32 v0, s0, v0
	s_waitcnt vmcnt(0)
	v_mul_f32_e32 v34, v34, v35
	global_store_dword v[22:23], v34, off
	v_lshl_add_u64 v[22:23], v[0:1], 2, s[4:5]
	global_load_dword v34, v[22:23], off
	v_add_u32_e32 v0, s0, v0
	global_load_dword v35, v[30:31], off
	s_waitcnt vmcnt(1)
	v_mul_f32_e32 v34, v34, v40
	global_store_dword v[22:23], v34, off
	v_lshl_add_u64 v[22:23], v[0:1], 2, s[4:5]
	global_load_dword v34, v[22:23], off
	v_add_u32_e32 v0, s0, v0
	s_waitcnt vmcnt(0)
	v_mul_f32_e32 v34, v34, v44
	v_mul_f32_e32 v34, v34, v46
	global_store_dword v[22:23], v34, off
	v_lshl_add_u64 v[22:23], v[0:1], 2, s[4:5]
	global_load_dword v34, v[22:23], off
	v_add_u32_e32 v0, s0, v0
	s_waitcnt vmcnt(0)
	v_mul_f32_e32 v34, v34, v44
	;; [unrolled: 7-line block ×3, first 2 shown]
	v_mul_f32_e32 v34, v34, v35
	global_store_dword v[22:23], v34, off
	v_lshl_add_u64 v[22:23], v[0:1], 2, s[4:5]
	global_load_dword v34, v[22:23], off
	global_load_dword v35, v[28:29], off
	v_add_u32_e32 v0, s0, v0
	s_waitcnt vmcnt(0)
	v_mul_f32_e32 v34, v34, v35
	global_store_dword v[22:23], v34, off
	v_lshl_add_u64 v[34:35], v[0:1], 2, s[4:5]
	v_lshl_add_u64 v[22:23], s[6:7], 0, v[26:27]
	global_load_dword v44, v[34:35], off
	global_load_dword v26, v[22:23], off
	v_add_u32_e32 v0, s0, v0
	s_waitcnt vmcnt(0)
	v_mul_f32_e32 v26, v44, v26
	v_mul_f32_e32 v26, v26, v42
	global_store_dword v[34:35], v26, off
	v_lshl_add_u64 v[26:27], v[0:1], 2, s[4:5]
	global_load_dword v34, v[26:27], off
	v_add_u32_e32 v0, s0, v0
	s_waitcnt vmcnt(0)
	v_mul_f32_e32 v34, v34, v41
	v_mul_f32_e32 v34, v34, v43
	global_store_dword v[26:27], v34, off
	v_lshl_add_u64 v[26:27], v[0:1], 2, s[4:5]
	global_load_dword v35, v[26:27], off
	global_load_dword v34, v[38:39], off
	v_add_u32_e32 v0, s0, v0
	s_waitcnt vmcnt(0)
	v_mul_f32_e32 v35, v35, v34
	global_store_dword v[26:27], v35, off
	v_lshl_add_u64 v[26:27], v[0:1], 2, s[4:5]
	global_load_dword v35, v[26:27], off
	v_add_u32_e32 v0, s0, v0
	s_waitcnt vmcnt(0)
	v_mul_f32_e32 v35, v35, v41
	global_store_dword v[26:27], v35, off
	v_lshl_add_u64 v[26:27], v[0:1], 2, s[4:5]
	global_load_dword v35, v[26:27], off
	global_load_dword v38, v[24:25], off
	;; [unrolled: 1-line block ×3, first 2 shown]
	v_add_u32_e32 v0, s0, v0
	s_waitcnt vmcnt(1)
	v_mul_f32_e32 v35, v35, v38
	s_waitcnt vmcnt(0)
	v_mul_f32_e32 v35, v35, v39
	global_store_dword v[26:27], v35, off
	v_lshl_add_u64 v[26:27], v[0:1], 2, s[4:5]
	global_load_dword v35, v[26:27], off
	v_add_u32_e32 v0, s0, v0
	s_waitcnt vmcnt(0)
	v_mul_f32_e32 v35, v35, v38
	v_mul_f32_e32 v35, v35, v40
	global_store_dword v[26:27], v35, off
	v_lshl_add_u64 v[26:27], v[0:1], 2, s[4:5]
	global_load_dword v35, v[26:27], off
	global_load_dword v40, v[16:17], off
	v_add_u32_e32 v0, s0, v0
	s_waitcnt vmcnt(1)
	v_mul_f32_e32 v35, v35, v38
	s_waitcnt vmcnt(0)
	v_mul_f32_e32 v35, v35, v40
	global_store_dword v[26:27], v35, off
	v_lshl_add_u64 v[26:27], v[0:1], 2, s[4:5]
	global_load_dword v35, v[26:27], off
	v_add_u32_e32 v0, s0, v0
	s_waitcnt vmcnt(0)
	v_mul_f32_e32 v35, v35, v38
	global_load_dword v38, v[2:3], off
	s_waitcnt vmcnt(0)
	v_mul_f32_e32 v35, v35, v38
	global_store_dword v[26:27], v35, off
	v_lshl_add_u64 v[26:27], v[0:1], 2, s[4:5]
	global_load_dword v35, v[26:27], off
	global_load_dword v42, v[4:5], off
	;; [unrolled: 1-line block ×4, first 2 shown]
	v_add_u32_e32 v0, s0, v0
	s_waitcnt vmcnt(2)
	v_mul_f32_e32 v35, v35, v42
	s_waitcnt vmcnt(1)
	v_mul_f32_e32 v35, v35, v43
	s_waitcnt vmcnt(0)
	v_mul_f32_e32 v35, v35, v44
	global_store_dword v[26:27], v35, off
	v_lshl_add_u64 v[26:27], v[0:1], 2, s[4:5]
	global_load_dword v35, v[26:27], off
	v_add_u32_e32 v0, s1, v0
	s_waitcnt vmcnt(0)
	v_mul_f32_e32 v35, v35, v39
	global_store_dword v[26:27], v35, off
	v_lshl_add_u64 v[26:27], v[0:1], 2, s[4:5]
	global_load_dword v35, v[26:27], off
	v_add_u32_e32 v0, s0, v0
	s_waitcnt vmcnt(0)
	v_mul_f32_e32 v35, v35, v39
	;; [unrolled: 6-line block ×8, first 2 shown]
	v_mul_f32_e32 v35, v35, v44
	global_store_dword v[26:27], v35, off
	v_lshl_add_u64 v[26:27], v[0:1], 2, s[4:5]
	global_load_dword v35, v[26:27], off
	v_add_u32_e32 v0, s0, v0
	s_waitcnt vmcnt(0)
	v_mul_f32_e32 v35, v35, v43
	global_store_dword v[26:27], v35, off
	v_lshl_add_u64 v[26:27], v[0:1], 2, s[4:5]
	global_load_dword v35, v[26:27], off
	global_load_dword v38, v[22:23], off
	;; [unrolled: 1-line block ×3, first 2 shown]
	v_add_u32_e32 v0, s0, v0
	s_waitcnt vmcnt(1)
	v_mul_f32_e32 v35, v35, v38
	s_waitcnt vmcnt(0)
	v_mul_f32_e32 v35, v35, v39
	global_store_dword v[26:27], v35, off
	v_lshl_add_u64 v[26:27], v[0:1], 2, s[4:5]
	global_load_dword v35, v[26:27], off
	global_load_dword v40, v[30:31], off
	v_add_u32_e32 v0, s0, v0
	s_waitcnt vmcnt(0)
	v_mul_f32_e32 v35, v35, v40
	global_store_dword v[26:27], v35, off
	v_lshl_add_u64 v[26:27], v[0:1], 2, s[4:5]
	global_load_dword v35, v[26:27], off
	v_add_u32_e32 v0, s0, v0
	s_waitcnt vmcnt(0)
	v_mul_f32_e32 v35, v35, v38
	v_mul_f32_e32 v35, v35, v39
	global_store_dword v[26:27], v35, off
	v_lshl_add_u64 v[26:27], v[0:1], 2, s[4:5]
	global_load_dword v35, v[26:27], off
	v_add_u32_e32 v0, s1, v0
	s_waitcnt vmcnt(0)
	v_mul_f32_e32 v35, v35, v40
	global_store_dword v[26:27], v35, off
	v_lshl_add_u64 v[26:27], v[0:1], 2, s[4:5]
	global_load_dword v35, v[26:27], off
	global_load_dword v38, v[36:37], off
	v_add_u32_e32 v0, s0, v0
	s_waitcnt vmcnt(0)
	v_mul_f32_e32 v35, v35, v38
	global_store_dword v[26:27], v35, off
	v_lshl_add_u64 v[26:27], v[0:1], 2, s[4:5]
	global_load_dword v35, v[26:27], off
	global_load_dword v36, v[32:33], off
	;; [unrolled: 1-line block ×3, first 2 shown]
	v_add_u32_e32 v0, s0, v0
	s_waitcnt vmcnt(1)
	v_mul_f32_e32 v35, v35, v36
	s_waitcnt vmcnt(0)
	v_mul_f32_e32 v35, v35, v37
	global_store_dword v[26:27], v35, off
	v_lshl_add_u64 v[26:27], v[0:1], 2, s[4:5]
	global_load_dword v35, v[26:27], off
	global_load_dword v40, v[6:7], off
	;; [unrolled: 1-line block ×3, first 2 shown]
	v_add_u32_e32 v0, s0, v0
	global_load_dword v20, v[20:21], off
	s_waitcnt vmcnt(2)
	v_mul_f32_e32 v35, v35, v40
	s_waitcnt vmcnt(1)
	v_mul_f32_e32 v35, v35, v41
	global_store_dword v[26:27], v35, off
	v_lshl_add_u64 v[26:27], v[0:1], 2, s[4:5]
	global_load_dword v35, v[26:27], off
	v_add_u32_e32 v0, s0, v0
	s_waitcnt vmcnt(0)
	v_mul_f32_e32 v34, v35, v34
	v_mul_f32_e32 v34, v34, v39
	global_store_dword v[26:27], v34, off
	v_lshl_add_u64 v[26:27], v[0:1], 2, s[4:5]
	global_load_dword v34, v[26:27], off
	global_load_dword v35, v[2:3], off
	;; [unrolled: 1-line block ×3, first 2 shown]
	v_add_u32_e32 v0, s0, v0
	s_waitcnt vmcnt(2)
	v_mul_f32_e32 v34, v34, v36
	s_waitcnt vmcnt(1)
	v_mul_f32_e32 v34, v34, v35
	global_store_dword v[26:27], v34, off
	v_lshl_add_u64 v[26:27], v[0:1], 2, s[4:5]
	global_load_dword v34, v[26:27], off
	v_add_u32_e32 v0, s0, v0
	s_waitcnt vmcnt(0)
	v_mul_f32_e32 v34, v34, v38
	v_mul_f32_e32 v18, v34, v39
	global_store_dword v[26:27], v18, off
	v_lshl_add_u64 v[18:19], v[0:1], 2, s[4:5]
	global_load_dword v26, v[18:19], off
	global_load_dword v27, v[14:15], off
	v_add_u32_e32 v0, s0, v0
	s_waitcnt vmcnt(1)
	v_mul_f32_e32 v26, v26, v36
	s_waitcnt vmcnt(0)
	v_mul_f32_e32 v26, v26, v27
	global_store_dword v[18:19], v26, off
	v_lshl_add_u64 v[18:19], v[0:1], 2, s[4:5]
	global_load_dword v26, v[18:19], off
	global_load_dword v27, v[8:9], off
	v_add_u32_e32 v0, s0, v0
	s_waitcnt vmcnt(1)
	v_mul_f32_e32 v26, v26, v40
	v_mul_f32_e32 v26, v26, v41
	s_waitcnt vmcnt(0)
	v_mul_f32_e32 v26, v26, v27
	global_store_dword v[18:19], v26, off
	v_lshl_add_u64 v[18:19], v[0:1], 2, s[4:5]
	global_load_dword v26, v[18:19], off
	v_add_u32_e32 v0, s0, v0
	s_waitcnt vmcnt(0)
	v_mul_f32_e32 v26, v26, v38
	v_mul_f32_e32 v26, v26, v35
	global_store_dword v[18:19], v26, off
	v_lshl_add_u64 v[18:19], v[0:1], 2, s[4:5]
	global_load_dword v26, v[18:19], off
	v_add_u32_e32 v0, s0, v0
	s_waitcnt vmcnt(0)
	v_mul_f32_e32 v26, v26, v38
	;; [unrolled: 7-line block ×3, first 2 shown]
	global_store_dword v[18:19], v21, off
	v_lshl_add_u64 v[18:19], v[0:1], 2, s[4:5]
	global_load_dword v21, v[18:19], off
	v_add_u32_e32 v0, s0, v0
	s_waitcnt vmcnt(0)
	v_mul_f32_e32 v21, v21, v27
	global_store_dword v[18:19], v21, off
	v_lshl_add_u64 v[18:19], v[0:1], 2, s[4:5]
	global_load_dword v21, v[18:19], off
	global_load_dword v26, v[16:17], off
	v_add_u32_e32 v0, s0, v0
	s_waitcnt vmcnt(0)
	v_mul_f32_e32 v16, v21, v26
	global_store_dword v[18:19], v16, off
	v_lshl_add_u64 v[16:17], v[0:1], 2, s[4:5]
	global_load_dword v18, v[16:17], off
	v_add_u32_e32 v0, s0, v0
	s_waitcnt vmcnt(0)
	v_mul_f32_e32 v18, v18, v40
	global_store_dword v[16:17], v18, off
	v_lshl_add_u64 v[18:19], v[0:1], 2, s[4:5]
	global_load_dword v17, v[18:19], off
	global_load_dword v16, v[30:31], off
	v_add_u32_e32 v0, s0, v0
	s_waitcnt vmcnt(0)
	v_mul_f32_e32 v17, v17, v16
	global_store_dword v[18:19], v17, off
	v_lshl_add_u64 v[18:19], v[0:1], 2, s[4:5]
	global_load_dword v21, v[18:19], off
	;; [unrolled: 7-line block ×3, first 2 shown]
	v_add_u32_e32 v0, s0, v0
	s_waitcnt vmcnt(0)
	v_mul_f32_e32 v21, v21, v16
	global_store_dword v[18:19], v21, off
	v_lshl_add_u64 v[18:19], v[0:1], 2, s[4:5]
	global_load_dword v21, v[18:19], off
	v_add_u32_e32 v0, s0, v0
	s_waitcnt vmcnt(0)
	v_mul_f32_e32 v21, v21, v17
	v_mul_f32_e32 v21, v21, v39
	global_store_dword v[18:19], v21, off
	v_lshl_add_u64 v[18:19], v[0:1], 2, s[4:5]
	global_load_dword v21, v[18:19], off
	v_add_u32_e32 v0, s0, v0
	s_waitcnt vmcnt(0)
	v_mul_f32_e32 v21, v21, v27
	global_load_dword v27, v[4:5], off
	s_waitcnt vmcnt(0)
	v_mul_f32_e32 v21, v21, v27
	global_store_dword v[18:19], v21, off
	v_lshl_add_u64 v[18:19], v[0:1], 2, s[4:5]
	global_load_dword v21, v[18:19], off
	v_add_u32_e32 v0, s1, v0
	s_waitcnt vmcnt(0)
	v_mul_f32_e32 v21, v21, v17
	v_mul_f32_e32 v20, v21, v20
	global_store_dword v[18:19], v20, off
	v_lshl_add_u64 v[18:19], v[0:1], 2, s[4:5]
	global_load_dword v20, v[18:19], off
	global_load_dword v21, v[32:33], off
	;; [unrolled: 1-line block ×3, first 2 shown]
	v_add_u32_e32 v0, s0, v0
	s_waitcnt vmcnt(1)
	v_mul_f32_e32 v20, v20, v21
	s_waitcnt vmcnt(0)
	v_mul_f32_e32 v20, v20, v28
	global_store_dword v[18:19], v20, off
	v_lshl_add_u64 v[20:21], v[0:1], 2, s[4:5]
	global_load_dword v19, v[20:21], off
	global_load_dword v18, v[22:23], off
	v_add_u32_e32 v0, s0, v0
	global_load_dword v22, v[12:13], off
	s_waitcnt vmcnt(1)
	v_mul_f32_e32 v19, v19, v18
	s_waitcnt vmcnt(0)
	v_mul_f32_e32 v12, v19, v22
	global_store_dword v[20:21], v12, off
	v_lshl_add_u64 v[12:13], v[0:1], 2, s[4:5]
	global_load_dword v19, v[12:13], off
	global_load_dword v20, v[24:25], off
	v_add_u32_e32 v0, s1, v0
	global_load_dword v10, v[10:11], off
	s_waitcnt vmcnt(1)
	v_mul_f32_e32 v19, v19, v20
	v_mul_f32_e32 v19, v19, v28
	s_waitcnt vmcnt(0)
	v_mul_f32_e32 v10, v19, v10
	global_store_dword v[12:13], v10, off
	v_lshl_add_u64 v[12:13], v[0:1], 2, s[4:5]
	global_load_dword v10, v[12:13], off
	v_add_u32_e32 v0, s0, v0
	global_load_dword v2, v[2:3], off
	s_waitcnt vmcnt(1)
	v_mul_f32_e32 v11, v10, v18
	global_load_dword v10, v[8:9], off
	s_nop 0
	global_load_dword v4, v[4:5], off
	s_waitcnt vmcnt(1)
	v_mul_f32_e32 v8, v11, v10
	global_store_dword v[12:13], v8, off
	v_lshl_add_u64 v[8:9], v[0:1], 2, s[4:5]
	global_load_dword v11, v[8:9], off
	v_add_u32_e32 v0, s0, v0
	global_load_dword v12, v[14:15], off
	s_waitcnt vmcnt(1)
	v_mul_f32_e32 v11, v11, v18
	v_mul_f32_e32 v11, v11, v26
	global_store_dword v[8:9], v11, off
	v_lshl_add_u64 v[8:9], v[0:1], 2, s[4:5]
	global_load_dword v11, v[8:9], off
	v_add_u32_e32 v0, s0, v0
	s_waitcnt vmcnt(0)
	v_mul_f32_e32 v11, v11, v18
	v_mul_f32_e32 v11, v11, v12
	global_store_dword v[8:9], v11, off
	v_lshl_add_u64 v[8:9], v[0:1], 2, s[4:5]
	global_load_dword v11, v[8:9], off
	v_add_u32_e32 v0, s0, v0
	;; [unrolled: 7-line block ×3, first 2 shown]
	s_waitcnt vmcnt(0)
	v_mul_f32_e32 v11, v11, v28
	global_store_dword v[8:9], v11, off
	v_lshl_add_u64 v[8:9], v[0:1], 2, s[4:5]
	global_load_dword v11, v[8:9], off
	v_add_u32_e32 v0, s0, v0
	s_waitcnt vmcnt(0)
	v_mul_f32_e32 v11, v11, v17
	v_mul_f32_e32 v11, v11, v22
	global_store_dword v[8:9], v11, off
	v_lshl_add_u64 v[8:9], v[0:1], 2, s[4:5]
	global_load_dword v11, v[8:9], off
	v_add_u32_e32 v0, s0, v0
	s_waitcnt vmcnt(0)
	v_mul_f32_e32 v11, v11, v27
	global_store_dword v[8:9], v11, off
	v_lshl_add_u64 v[8:9], v[0:1], 2, s[4:5]
	global_load_dword v11, v[8:9], off
	v_add_u32_e32 v0, s0, v0
	s_waitcnt vmcnt(0)
	v_mul_f32_e32 v11, v11, v17
	v_mul_f32_e32 v11, v11, v26
	global_store_dword v[8:9], v11, off
	v_lshl_add_u64 v[8:9], v[0:1], 2, s[4:5]
	global_load_dword v11, v[8:9], off
	v_add_u32_e32 v0, s0, v0
	s_waitcnt vmcnt(0)
	v_mul_f32_e32 v11, v11, v17
	;; [unrolled: 7-line block ×3, first 2 shown]
	v_mul_f32_e32 v4, v8, v4
	global_store_dword v[2:3], v4, off
	v_lshl_add_u64 v[2:3], v[0:1], 2, s[4:5]
	global_load_dword v4, v[2:3], off
	v_add_u32_e32 v0, s0, v0
	v_lshl_add_u64 v[0:1], v[0:1], 2, s[4:5]
	s_waitcnt vmcnt(0)
	v_mul_f32_e32 v4, v4, v16
	v_mul_f32_e32 v4, v4, v17
	global_store_dword v[2:3], v4, off
	global_load_dword v2, v[0:1], off
	s_waitcnt vmcnt(0)
	v_mul_f32_e32 v2, v2, v18
	global_load_dword v3, v[6:7], off
	s_waitcnt vmcnt(0)
	v_mul_f32_e32 v2, v2, v3
	global_store_dword v[0:1], v2, off
	s_endpgm
	.section	.rodata,"a",@progbits
	.p2align	6, 0x0
	.amdhsa_kernel _Z12ratx4_kernelIfEvPKT_PS0_S3_
		.amdhsa_group_segment_fixed_size 0
		.amdhsa_private_segment_fixed_size 0
		.amdhsa_kernarg_size 280
		.amdhsa_user_sgpr_count 2
		.amdhsa_user_sgpr_dispatch_ptr 0
		.amdhsa_user_sgpr_queue_ptr 0
		.amdhsa_user_sgpr_kernarg_segment_ptr 1
		.amdhsa_user_sgpr_dispatch_id 0
		.amdhsa_user_sgpr_kernarg_preload_length 0
		.amdhsa_user_sgpr_kernarg_preload_offset 0
		.amdhsa_user_sgpr_private_segment_size 0
		.amdhsa_uses_dynamic_stack 0
		.amdhsa_enable_private_segment 0
		.amdhsa_system_sgpr_workgroup_id_x 1
		.amdhsa_system_sgpr_workgroup_id_y 0
		.amdhsa_system_sgpr_workgroup_id_z 0
		.amdhsa_system_sgpr_workgroup_info 0
		.amdhsa_system_vgpr_workitem_id 0
		.amdhsa_next_free_vgpr 53
		.amdhsa_next_free_sgpr 9
		.amdhsa_accum_offset 56
		.amdhsa_reserve_vcc 0
		.amdhsa_float_round_mode_32 0
		.amdhsa_float_round_mode_16_64 0
		.amdhsa_float_denorm_mode_32 3
		.amdhsa_float_denorm_mode_16_64 3
		.amdhsa_dx10_clamp 1
		.amdhsa_ieee_mode 1
		.amdhsa_fp16_overflow 0
		.amdhsa_tg_split 0
		.amdhsa_exception_fp_ieee_invalid_op 0
		.amdhsa_exception_fp_denorm_src 0
		.amdhsa_exception_fp_ieee_div_zero 0
		.amdhsa_exception_fp_ieee_overflow 0
		.amdhsa_exception_fp_ieee_underflow 0
		.amdhsa_exception_fp_ieee_inexact 0
		.amdhsa_exception_int_div_zero 0
	.end_amdhsa_kernel
	.section	.text._Z12ratx4_kernelIfEvPKT_PS0_S3_,"axG",@progbits,_Z12ratx4_kernelIfEvPKT_PS0_S3_,comdat
.Lfunc_end15:
	.size	_Z12ratx4_kernelIfEvPKT_PS0_S3_, .Lfunc_end15-_Z12ratx4_kernelIfEvPKT_PS0_S3_
                                        ; -- End function
	.set _Z12ratx4_kernelIfEvPKT_PS0_S3_.num_vgpr, 53
	.set _Z12ratx4_kernelIfEvPKT_PS0_S3_.num_agpr, 0
	.set _Z12ratx4_kernelIfEvPKT_PS0_S3_.numbered_sgpr, 9
	.set _Z12ratx4_kernelIfEvPKT_PS0_S3_.num_named_barrier, 0
	.set _Z12ratx4_kernelIfEvPKT_PS0_S3_.private_seg_size, 0
	.set _Z12ratx4_kernelIfEvPKT_PS0_S3_.uses_vcc, 0
	.set _Z12ratx4_kernelIfEvPKT_PS0_S3_.uses_flat_scratch, 0
	.set _Z12ratx4_kernelIfEvPKT_PS0_S3_.has_dyn_sized_stack, 0
	.set _Z12ratx4_kernelIfEvPKT_PS0_S3_.has_recursion, 0
	.set _Z12ratx4_kernelIfEvPKT_PS0_S3_.has_indirect_call, 0
	.section	.AMDGPU.csdata,"",@progbits
; Kernel info:
; codeLenInByte = 8920
; TotalNumSgprs: 15
; NumVgprs: 53
; NumAgprs: 0
; TotalNumVgprs: 53
; ScratchSize: 0
; MemoryBound: 0
; FloatMode: 240
; IeeeMode: 1
; LDSByteSize: 0 bytes/workgroup (compile time only)
; SGPRBlocks: 1
; VGPRBlocks: 6
; NumSGPRsForWavesPerEU: 15
; NumVGPRsForWavesPerEU: 53
; AccumOffset: 56
; Occupancy: 8
; WaveLimiterHint : 0
; COMPUTE_PGM_RSRC2:SCRATCH_EN: 0
; COMPUTE_PGM_RSRC2:USER_SGPR: 2
; COMPUTE_PGM_RSRC2:TRAP_HANDLER: 0
; COMPUTE_PGM_RSRC2:TGID_X_EN: 1
; COMPUTE_PGM_RSRC2:TGID_Y_EN: 0
; COMPUTE_PGM_RSRC2:TGID_Z_EN: 0
; COMPUTE_PGM_RSRC2:TIDIG_COMP_CNT: 0
; COMPUTE_PGM_RSRC3_GFX90A:ACCUM_OFFSET: 13
; COMPUTE_PGM_RSRC3_GFX90A:TG_SPLIT: 0
	.section	.text._Z11qssa_kernelIfEvPT_S1_S1_,"axG",@progbits,_Z11qssa_kernelIfEvPT_S1_S1_,comdat
	.protected	_Z11qssa_kernelIfEvPT_S1_S1_ ; -- Begin function _Z11qssa_kernelIfEvPT_S1_S1_
	.globl	_Z11qssa_kernelIfEvPT_S1_S1_
	.p2align	8
	.type	_Z11qssa_kernelIfEvPT_S1_S1_,@function
_Z11qssa_kernelIfEvPT_S1_S1_:           ; @_Z11qssa_kernelIfEvPT_S1_S1_
; %bb.0:
	s_load_dword s3, s[0:1], 0x24
	s_load_dword s10, s[0:1], 0x18
	s_load_dwordx4 s[4:7], s[0:1], 0x0
	s_load_dwordx2 s[8:9], s[0:1], 0x10
	v_mov_b32_e32 v1, 0
	s_waitcnt lgkmcnt(0)
	s_and_b32 s1, s3, 0xffff
	s_mul_i32 s0, s10, s1
	s_mul_i32 s3, s0, 56
	s_mul_i32 s2, s2, s1
	s_add_i32 s3, s3, s2
	v_add_u32_e32 v0, s3, v0
	v_lshlrev_b64 v[30:31], 2, v[0:1]
	v_add_u32_e32 v0, s0, v0
	s_mul_i32 s1, s0, 0x55
	v_lshl_add_u64 v[2:3], s[4:5], 0, v[30:31]
	v_lshlrev_b64 v[6:7], 2, v[0:1]
	v_add_u32_e32 v0, s1, v0
	global_store_dword v[2:3], v1, off
	v_lshl_add_u64 v[2:3], s[4:5], 0, v[6:7]
	v_lshlrev_b64 v[12:13], 2, v[0:1]
	global_store_dword v[2:3], v1, off
	v_lshl_add_u64 v[2:3], s[4:5], 0, v[12:13]
	global_store_dword v[2:3], v1, off
	v_mad_u64_u32 v[2:3], s[2:3], s0, 36, v[0:1]
	s_mul_i32 s2, s0, 15
	s_nop 0
	v_add_u32_e32 v0, s2, v2
	v_mov_b32_e32 v3, v1
	v_lshlrev_b64 v[8:9], 2, v[0:1]
	v_lshlrev_b64 v[10:11], 2, v[2:3]
	v_lshl_add_u64 v[2:3], s[6:7], 0, v[8:9]
	global_store_dword v[2:3], v1, off
	v_mad_u64_u32 v[2:3], s[10:11], s0, 12, v[0:1]
	s_mul_i32 s1, s0, 0xffffff54
	v_add_u32_e32 v0, s1, v2
	v_lshlrev_b64 v[24:25], 2, v[0:1]
	v_add_u32_e32 v0, s0, v0
	v_lshlrev_b64 v[26:27], 2, v[0:1]
	v_add_u32_e32 v0, s0, v0
	v_lshl_add_u64 v[4:5], s[4:5], 0, v[10:11]
	v_mov_b32_e32 v3, v1
	v_lshlrev_b64 v[40:41], 2, v[0:1]
	v_add_u32_e32 v0, s0, v0
	global_store_dword v[4:5], v1, off
	v_lshlrev_b64 v[4:5], 2, v[2:3]
	v_lshlrev_b64 v[28:29], 2, v[0:1]
	v_add_u32_e32 v0, s0, v0
	v_lshl_add_u64 v[14:15], s[4:5], 0, v[4:5]
	v_lshlrev_b64 v[22:23], 2, v[0:1]
	v_add_u32_e32 v0, s0, v0
	global_store_dword v[14:15], v1, off
	v_lshl_add_u64 v[2:3], s[4:5], 0, v[24:25]
	v_lshlrev_b64 v[18:19], 2, v[0:1]
	v_lshl_add_u64 v[36:37], s[4:5], 0, v[26:27]
	v_lshl_add_u64 v[14:15], s[4:5], 0, v[40:41]
	;; [unrolled: 1-line block ×5, first 2 shown]
	global_load_dword v55, v[2:3], off
	global_load_dword v56, v[36:37], off
	global_load_dword v60, v[14:15], off
	global_load_dword v57, v[16:17], off
	global_load_dword v58, v[38:39], off
	global_load_dword v54, v[20:21], off
	v_add_u32_e32 v0, s0, v0
	s_mul_i32 s10, s0, 37
	v_lshlrev_b64 v[32:33], 2, v[0:1]
	v_add_u32_e32 v0, s10, v0
	s_mul_i32 s14, s0, 10
	v_lshlrev_b64 v[2:3], 2, v[0:1]
	v_add_u32_e32 v0, s14, v0
	v_mad_u64_u32 v[46:47], s[12:13], s0, 18, v[0:1]
	v_mov_b32_e32 v47, v1
	s_mul_i32 s3, s0, 6
	v_lshl_add_u64 v[14:15], s[4:5], 0, v[32:33]
	v_lshl_add_u64 v[34:35], s[4:5], 0, v[2:3]
	v_lshlrev_b64 v[16:17], 2, v[0:1]
	v_lshlrev_b64 v[48:49], 2, v[46:47]
	v_add_u32_e32 v0, s3, v46
	s_mul_i32 s1, s0, 0xffffffc7
	v_lshl_add_u64 v[50:51], s[4:5], 0, v[48:49]
	global_load_dword v44, v[14:15], off
	global_load_dword v43, v[34:35], off
	;; [unrolled: 1-line block ×3, first 2 shown]
	v_lshlrev_b64 v[34:35], 2, v[0:1]
	v_add_u32_e32 v0, s1, v0
	v_lshlrev_b64 v[64:65], 2, v[0:1]
	v_lshl_add_u64 v[46:47], s[6:7], 0, v[64:65]
	v_lshl_add_u64 v[50:51], s[6:7], 0, v[24:25]
	global_load_dword v61, v[46:47], off
	v_lshl_add_u64 v[52:53], s[6:7], 0, v[28:29]
	global_load_dword v45, v[50:51], off
	global_load_dword v46, v[52:53], off
	v_lshl_add_u64 v[50:51], s[6:7], 0, v[18:19]
	v_lshl_add_u64 v[30:31], s[6:7], 0, v[30:31]
	global_load_dword v47, v[50:51], off
	global_load_dword v62, v[30:31], off
	v_lshl_add_u64 v[30:31], s[4:5], 0, v[34:35]
	;; [unrolled: 4-line block ×4, first 2 shown]
	v_add_u32_e32 v0, s3, v0
	global_load_dword v48, v[30:31], off
	v_lshl_add_u64 v[30:31], s[4:5], 0, v[64:65]
	v_lshlrev_b64 v[34:35], 2, v[0:1]
	global_load_dword v49, v[30:31], off
	global_load_dword v79, v[38:39], off
	;; [unrolled: 1-line block ×3, first 2 shown]
	v_lshl_add_u64 v[36:37], s[6:7], 0, v[2:3]
	v_lshl_add_u64 v[30:31], s[6:7], 0, v[34:35]
	global_load_dword v38, v[36:37], off
	global_load_dword v39, v[30:31], off
	v_lshl_add_u64 v[34:35], s[4:5], 0, v[34:35]
	global_load_dword v63, v[34:35], off
	v_lshl_add_u64 v[34:35], s[6:7], 0, v[26:27]
	v_lshl_add_u64 v[32:33], s[6:7], 0, v[32:33]
	s_mul_i32 s11, s0, 0xffffffcf
	v_add_u32_e32 v0, s11, v0
	s_lshl_b32 s11, s0, 1
	s_mul_i32 s16, s0, 30
	s_mul_i32 s15, s0, 11
	v_lshl_add_u64 v[24:25], s[8:9], 0, v[24:25]
	v_lshl_add_u64 v[18:19], s[8:9], 0, v[18:19]
	;; [unrolled: 1-line block ×7, first 2 shown]
	s_waitcnt vmcnt(23)
	v_add_f32_e32 v36, v55, v56
	s_waitcnt vmcnt(22)
	v_add_f32_e32 v36, v36, v60
	;; [unrolled: 2-line block ×5, first 2 shown]
	v_lshl_add_u64 v[36:37], s[6:7], 0, v[22:23]
	global_load_dword v78, v[20:21], off
	global_load_dword v84, v[14:15], off
	;; [unrolled: 1-line block ×5, first 2 shown]
	v_lshl_add_u64 v[14:15], s[6:7], 0, v[16:17]
	global_load_dword v21, v[14:15], off
	global_load_dword v71, v[30:31], off
	v_lshl_add_u64 v[22:23], s[8:9], 0, v[22:23]
	s_waitcnt vmcnt(25)
	v_add_f32_e32 v20, v40, v44
	s_waitcnt vmcnt(24)
	v_add_f32_e32 v16, v20, v43
	;; [unrolled: 2-line block ×6, first 2 shown]
	v_add_f32_e32 v16, v16, v42
	v_add_f32_e32 v16, v16, v52
	;; [unrolled: 1-line block ×3, first 2 shown]
	s_waitcnt vmcnt(9)
	v_add_f32_e32 v17, v17, v38
	s_waitcnt vmcnt(8)
	v_add_f32_e32 v16, v16, v39
	v_div_scale_f32 v20, s[12:13], v16, v16, 1.0
	v_rcp_f32_e32 v30, v20
	v_add_f32_e32 v17, v17, v50
	v_add_f32_e32 v17, v17, v51
	s_mul_i32 s13, s0, 3
	v_fma_f32 v31, -v20, v30, 1.0
	v_fmac_f32_e32 v30, v31, v30
	v_div_scale_f32 v31, vcc, 1.0, v16, 1.0
	v_mul_f32_e32 v38, v31, v30
	v_fma_f32 v39, -v20, v38, v31
	v_fmac_f32_e32 v38, v39, v30
	v_fma_f32 v20, -v20, v38, v31
	v_div_fmas_f32 v20, v20, v30, v38
	v_div_fixup_f32 v20, v20, v16, 1.0
	v_mul_f32_e32 v30, v20, v17
	v_lshl_add_u64 v[16:17], v[0:1], 2, s[8:9]
	global_store_dword v[16:17], v30, off
	v_add_f32_e32 v16, v48, v49
	v_add_u32_e32 v0, s11, v0
	v_mul_f32_e32 v30, v20, v16
	v_lshl_add_u64 v[16:17], v[0:1], 2, s[8:9]
	v_add_u32_e32 v0, s0, v0
	global_store_dword v[16:17], v30, off
	s_waitcnt vmcnt(9)
	v_mul_f32_e32 v30, v20, v63
	v_lshl_add_u64 v[16:17], v[0:1], 2, s[8:9]
	global_store_dword v[16:17], v30, off
	global_load_dword v82, v[14:15], off
	global_load_dword v68, v[32:33], off
	;; [unrolled: 1-line block ×4, first 2 shown]
	v_add_u32_e32 v0, s0, v0
	s_mul_i32 s12, s0, 0xffffff96
	s_waitcnt vmcnt(10)
	v_add_f32_e32 v14, v41, v54
	s_waitcnt vmcnt(9)
	v_add_f32_e32 v14, v14, v55
	v_mul_f32_e32 v16, v20, v14
	v_lshl_add_u64 v[14:15], v[0:1], 2, s[8:9]
	v_add_u32_e32 v0, s13, v0
	global_store_dword v[14:15], v16, off
	v_lshl_add_u64 v[14:15], v[0:1], 2, s[8:9]
	v_add_u32_e32 v0, s16, v0
	v_lshlrev_b64 v[44:45], 2, v[0:1]
	v_add_u32_e32 v0, s0, v0
	v_lshlrev_b64 v[46:47], 2, v[0:1]
	v_add_u32_e32 v0, s0, v0
	s_waitcnt vmcnt(9)
	v_mul_f32_e32 v16, v20, v21
	v_lshlrev_b64 v[20:21], 2, v[0:1]
	v_add_u32_e32 v0, s0, v0
	v_lshlrev_b64 v[42:43], 2, v[0:1]
	v_add_u32_e32 v0, s0, v0
	global_store_dword v[14:15], v16, off
	v_lshl_add_u64 v[14:15], s[4:5], 0, v[44:45]
	v_lshlrev_b64 v[40:41], 2, v[0:1]
	v_lshl_add_u64 v[16:17], s[4:5], 0, v[46:47]
	v_lshl_add_u64 v[34:35], s[4:5], 0, v[40:41]
	global_load_dword v36, v[14:15], off
	global_load_dword v37, v[16:17], off
	;; [unrolled: 1-line block ×3, first 2 shown]
	v_add_u32_e32 v0, s0, v0
	v_lshlrev_b64 v[38:39], 2, v[0:1]
	v_lshl_add_u64 v[14:15], s[4:5], 0, v[38:39]
	v_lshl_add_u64 v[30:31], s[4:5], 0, v[20:21]
	;; [unrolled: 1-line block ×3, first 2 shown]
	global_load_dword v16, v[14:15], off
	global_load_dword v17, v[32:33], off
	;; [unrolled: 1-line block ×4, first 2 shown]
                                        ; kill: killed $vgpr14_vgpr15
                                        ; kill: killed $vgpr32_vgpr33
	global_load_dword v91, v[30:31], off
	v_add_u32_e32 v0, s11, v0
	v_lshl_add_u64 v[44:45], s[6:7], 0, v[44:45]
	v_lshl_add_u64 v[20:21], s[6:7], 0, v[20:21]
	s_waitcnt vmcnt(6)
	v_add_f32_e32 v14, v36, v37
	v_lshlrev_b64 v[36:37], 2, v[0:1]
	v_add_u32_e32 v0, s0, v0
	v_lshlrev_b64 v[52:53], 2, v[0:1]
	s_waitcnt vmcnt(1)
	v_add_f32_e32 v14, v14, v34
	v_add_f32_e32 v14, v14, v17
	v_add_f32_e32 v14, v14, v50
	v_add_f32_e32 v14, v14, v16
	v_add_f32_e32 v34, v49, v14
	v_lshl_add_u64 v[14:15], s[4:5], 0, v[36:37]
	global_load_dword v35, v[14:15], off
	v_lshl_add_u64 v[14:15], s[4:5], 0, v[52:53]
	global_load_dword v49, v[14:15], off
	v_mad_u64_u32 v[14:15], s[18:19], s0, 35, v[0:1]
	v_mov_b32_e32 v15, v1
	v_lshlrev_b64 v[16:17], 2, v[14:15]
	v_add_u32_e32 v0, s2, v14
	v_lshl_add_u64 v[14:15], s[4:5], 0, v[16:17]
	global_load_dword v50, v[14:15], off
	v_lshlrev_b64 v[14:15], 2, v[0:1]
	v_add_u32_e32 v0, s3, v0
	v_mad_u64_u32 v[32:33], s[18:19], s0, 53, v[0:1]
	v_mov_b32_e32 v33, v1
	v_lshl_add_u64 v[30:31], s[4:5], 0, v[14:15]
	v_lshlrev_b64 v[56:57], 2, v[32:33]
	global_load_dword v51, v[30:31], off
	v_lshlrev_b64 v[30:31], 2, v[0:1]
	v_add_u32_e32 v0, s12, v32
	v_lshl_add_u64 v[32:33], s[4:5], 0, v[56:57]
	global_load_dword v54, v[32:33], off
	v_lshl_add_u64 v[32:33], s[4:5], 0, v[30:31]
	global_load_dword v55, v[32:33], off
	global_load_dword v83, v[32:33], off
	s_lshl_b32 s12, s0, 3
	s_waitcnt vmcnt(6)
	v_add_f32_e32 v32, v35, v34
	s_waitcnt vmcnt(5)
	v_add_f32_e32 v32, v49, v32
	;; [unrolled: 2-line block ×5, first 2 shown]
	v_add_f32_e32 v32, v54, v32
	v_add_f32_e32 v58, v48, v32
	v_lshlrev_b64 v[48:49], 2, v[0:1]
	v_add_u32_e32 v0, s12, v0
	v_lshlrev_b64 v[50:51], 2, v[0:1]
	v_add_u32_e32 v0, s0, v0
	;; [unrolled: 2-line block ×3, first 2 shown]
	v_lshlrev_b64 v[32:33], 2, v[0:1]
	v_lshl_add_u64 v[54:55], s[6:7], 0, v[32:33]
	global_load_dword v59, v[54:55], off
	global_load_dword v72, v[54:55], off
	v_lshl_add_u64 v[54:55], s[6:7], 0, v[34:35]
	global_load_dword v64, v[54:55], off
	global_load_dword v73, v[54:55], off
	;; [unrolled: 3-line block ×4, first 2 shown]
	v_add_u32_e32 v0, s15, v0
	s_waitcnt vmcnt(1)
	v_add_f32_e32 v54, v66, v58
	v_add_f32_e32 v54, v65, v54
	;; [unrolled: 1-line block ×3, first 2 shown]
	v_lshlrev_b64 v[64:65], 2, v[0:1]
	v_add_u32_e32 v0, s10, v0
	v_add_f32_e32 v81, v59, v54
	v_lshl_add_u64 v[54:55], s[6:7], 0, v[64:65]
	v_lshlrev_b64 v[66:67], 2, v[0:1]
	global_load_dword v85, v[54:55], off
	v_lshl_add_u64 v[54:55], s[6:7], 0, v[66:67]
	v_add_u32_e32 v0, s3, v0
	global_load_dword v94, v[54:55], off
	v_lshlrev_b64 v[54:55], 2, v[0:1]
	v_add_u32_e32 v0, s11, v0
	v_mad_u64_u32 v[76:77], s[18:19], s0, 5, v[0:1]
	v_mov_b32_e32 v77, v1
	v_lshlrev_b64 v[58:59], 2, v[0:1]
	v_add_u32_e32 v0, s16, v76
	v_lshlrev_b64 v[76:77], 2, v[76:77]
	v_lshl_add_u64 v[86:87], s[6:7], 0, v[76:77]
	v_lshlrev_b64 v[88:89], 2, v[0:1]
	global_load_dword v95, v[86:87], off
	v_lshl_add_u64 v[86:87], s[6:7], 0, v[88:89]
	global_load_dword v96, v[86:87], off
	v_lshl_add_u64 v[86:87], s[6:7], 0, v[58:59]
	v_lshl_add_u64 v[92:93], s[6:7], 0, v[54:55]
	global_load_dword v97, v[86:87], off
	s_nop 0
	global_load_dword v86, v[86:87], off
	s_nop 0
	global_load_dword v98, v[92:93], off
	global_load_dword v87, v[92:93], off
	s_waitcnt vmcnt(7)
	v_add_f32_e32 v81, v85, v81
	s_waitcnt vmcnt(6)
	v_add_f32_e32 v81, v94, v81
	;; [unrolled: 2-line block ×3, first 2 shown]
	v_add_f32_e32 v81, v97, v81
	v_add_f32_e32 v81, v95, v81
	;; [unrolled: 1-line block ×3, first 2 shown]
	v_div_scale_f32 v85, s[16:17], v81, v81, 1.0
	v_rcp_f32_e32 v92, v85
	s_mul_i32 s16, s0, 0xffffff76
	v_add_u32_e32 v0, s16, v0
	s_lshl_b32 s16, s0, 2
	v_fma_f32 v93, -v85, v92, 1.0
	v_fmac_f32_e32 v92, v93, v92
	v_div_scale_f32 v93, vcc, 1.0, v81, 1.0
	v_mul_f32_e32 v94, v93, v92
	v_fma_f32 v95, -v85, v94, v93
	v_fmac_f32_e32 v94, v95, v92
	v_fma_f32 v85, -v85, v94, v93
	v_div_fmas_f32 v85, v85, v92, v94
	global_load_dword v92, v[44:45], off
	v_lshl_add_u64 v[44:45], s[6:7], 0, v[46:47]
	global_load_dword v46, v[44:45], off
	v_lshl_add_u64 v[44:45], s[6:7], 0, v[40:41]
	;; [unrolled: 2-line block ×13, first 2 shown]
	global_load_dword v44, v[44:45], off
	s_mul_i32 s17, s0, 0xffffff9a
	v_lshl_add_u64 v[6:7], s[8:9], 0, v[6:7]
	s_waitcnt vmcnt(12)
	v_add_f32_e32 v45, v92, v46
	v_div_fixup_f32 v46, v85, v81, 1.0
	s_waitcnt vmcnt(11)
	v_add_f32_e32 v45, v45, v47
	s_waitcnt vmcnt(10)
	v_add_f32_e32 v45, v45, v93
	;; [unrolled: 2-line block ×4, first 2 shown]
	v_add_f32_e32 v45, v62, v45
	s_waitcnt vmcnt(7)
	v_add_f32_e32 v45, v53, v45
	v_add_f32_e32 v45, v53, v45
	s_waitcnt vmcnt(6)
	v_add_f32_e32 v45, v64, v45
	s_waitcnt vmcnt(5)
	;; [unrolled: 2-line block ×7, first 2 shown]
	v_add_f32_e32 v44, v44, v45
	v_mul_f32_e32 v47, v46, v44
	v_lshl_add_u64 v[44:45], v[0:1], 2, s[8:9]
	global_store_dword v[44:45], v47, off
	v_add_f32_e32 v44, v60, v61
	v_add_u32_e32 v0, s0, v0
	v_mul_f32_e32 v47, v44, v46
	v_lshl_add_u64 v[44:45], v[0:1], 2, s[8:9]
	global_store_dword v[44:45], v47, off
	v_lshl_add_u64 v[44:45], s[4:5], 0, v[48:49]
	global_load_dword v47, v[44:45], off
	v_lshl_add_u64 v[44:45], s[4:5], 0, v[50:51]
	global_load_dword v50, v[44:45], off
	;; [unrolled: 2-line block ×4, first 2 shown]
	v_add_u32_e32 v0, s11, v0
	s_waitcnt vmcnt(2)
	v_add_f32_e32 v44, v47, v50
	s_waitcnt vmcnt(1)
	v_add_f32_e32 v44, v44, v51
	;; [unrolled: 2-line block ×3, first 2 shown]
	v_mul_f32_e32 v48, v46, v44
	v_lshl_add_u64 v[44:45], v[0:1], 2, s[8:9]
	global_store_dword v[44:45], v48, off
	v_lshl_add_u64 v[44:45], s[6:7], 0, v[42:43]
	global_load_dword v48, v[44:45], off
	global_load_dword v96, v[44:45], off
	s_nop 0
	global_load_dword v44, v[20:21], off
	global_load_dword v100, v[20:21], off
	v_add_u32_e32 v0, s0, v0
	s_waitcnt vmcnt(1)
	v_add_f32_e32 v20, v44, v48
	v_mul_f32_e32 v44, v46, v20
	v_lshl_add_u64 v[20:21], v[0:1], 2, s[8:9]
	global_store_dword v[20:21], v44, off
	v_lshl_add_u64 v[20:21], s[4:5], 0, v[58:59]
	global_load_dword v44, v[20:21], off
	global_load_dword v93, v[20:21], off
	v_lshl_add_u64 v[20:21], s[4:5], 0, v[54:55]
	global_load_dword v45, v[20:21], off
	global_load_dword v94, v[20:21], off
	v_add_u32_e32 v0, s11, v0
	s_waitcnt vmcnt(1)
	v_add_f32_e32 v20, v45, v44
	v_mul_f32_e32 v44, v46, v20
	v_lshl_add_u64 v[20:21], v[0:1], 2, s[8:9]
	global_store_dword v[20:21], v44, off
	v_lshl_add_u64 v[20:21], s[6:7], 0, v[30:31]
	global_load_dword v30, v[20:21], off
	global_load_dword v88, v[20:21], off
	v_add_u32_e32 v0, s0, v0
	v_lshl_add_u64 v[20:21], v[0:1], 2, s[8:9]
	v_lshl_add_u32 v0, s0, 5, v0
	v_lshlrev_b64 v[58:59], 2, v[0:1]
	v_add_u32_e32 v0, s0, v0
	v_lshlrev_b64 v[48:49], 2, v[0:1]
	v_add_u32_e32 v0, s0, v0
	s_waitcnt vmcnt(1)
	v_mul_f32_e32 v30, v46, v30
	global_store_dword v[20:21], v30, off
	v_add_f32_e32 v30, v63, v47
	v_lshl_add_u64 v[20:21], s[4:5], 0, v[58:59]
	v_lshlrev_b64 v[62:63], 2, v[0:1]
	v_add_u32_e32 v0, s0, v0
	global_load_dword v31, v[20:21], off
	v_lshl_add_u64 v[20:21], s[4:5], 0, v[62:63]
	v_lshlrev_b64 v[64:65], 2, v[0:1]
	v_add_u32_e32 v0, s0, v0
	global_load_dword v44, v[20:21], off
	;; [unrolled: 4-line block ×4, first 2 shown]
	v_lshl_add_u64 v[20:21], s[4:5], 0, v[46:47]
	v_lshlrev_b64 v[54:55], 2, v[0:1]
	global_load_dword v56, v[20:21], off
	v_lshl_add_u64 v[20:21], s[4:5], 0, v[54:55]
	global_load_dword v57, v[20:21], off
	v_lshl_add_u64 v[20:21], s[4:5], 0, v[48:49]
	global_load_dword v60, v[20:21], off
	global_load_dword v97, v[20:21], off
	v_lshl_add_u64 v[58:59], s[6:7], 0, v[58:59]
	v_lshl_add_u64 v[54:55], s[6:7], 0, v[54:55]
	;; [unrolled: 1-line block ×3, first 2 shown]
	s_waitcnt vmcnt(7)
	v_add_f32_e32 v20, v30, v31
	s_waitcnt vmcnt(1)
	v_add_f32_e32 v20, v20, v60
	v_add_f32_e32 v20, v20, v44
	;; [unrolled: 1-line block ×9, first 2 shown]
	v_mad_u64_u32 v[20:21], s[18:19], s0, 22, v[0:1]
	v_mov_b32_e32 v21, v1
	v_add_u32_e32 v0, s2, v20
	v_lshlrev_b64 v[20:21], 2, v[20:21]
	v_lshl_add_u64 v[30:31], s[4:5], 0, v[20:21]
	v_lshlrev_b64 v[56:57], 2, v[0:1]
	global_load_dword v77, v[30:31], off
	v_lshl_add_u64 v[30:31], s[4:5], 0, v[56:57]
	global_load_dword v85, v[30:31], off
	v_mad_u64_u32 v[30:31], s[18:19], s0, 59, v[0:1]
	v_add_u32_e32 v0, s0, v30
	v_lshlrev_b64 v[60:61], 2, v[0:1]
	v_lshl_add_u32 v0, s0, 4, v0
	v_mov_b32_e32 v31, v1
	v_lshl_add_u64 v[44:45], s[4:5], 0, v[60:61]
	v_lshlrev_b64 v[50:51], 2, v[0:1]
	v_lshlrev_b64 v[52:53], 2, v[30:31]
	global_load_dword v89, v[44:45], off
	v_lshl_add_u64 v[44:45], s[4:5], 0, v[50:51]
	v_lshl_add_u64 v[30:31], s[4:5], 0, v[52:53]
	global_load_dword v95, v[44:45], off
	global_load_dword v81, v[44:45], off
	s_nop 0
	global_load_dword v44, v[30:31], off
	global_load_dword v92, v[30:31], off
	v_add_u32_e32 v0, s17, v0
	s_mul_i32 s17, s0, 17
	s_waitcnt vmcnt(6)
	v_add_f32_e32 v30, v76, v77
	s_waitcnt vmcnt(5)
	v_add_f32_e32 v30, v30, v85
	;; [unrolled: 2-line block ×3, first 2 shown]
	v_add_f32_e32 v30, v30, v89
	v_lshlrev_b64 v[44:45], 2, v[0:1]
	v_add_f32_e32 v76, v30, v95
	v_lshl_add_u64 v[30:31], s[6:7], 0, v[44:45]
	v_add_u32_e32 v0, s17, v0
	global_load_dword v77, v[30:31], off
	global_load_dword v89, v[58:59], off
	v_lshlrev_b64 v[30:31], 2, v[0:1]
	v_add_u32_e32 v0, s14, v0
	v_lshlrev_b64 v[102:103], 2, v[0:1]
	v_lshl_add_u64 v[98:99], s[6:7], 0, v[102:103]
	v_lshl_add_u64 v[58:59], s[6:7], 0, v[62:63]
	global_load_dword v85, v[98:99], off
	global_load_dword v62, v[58:59], off
	v_lshl_add_u64 v[58:59], s[6:7], 0, v[64:65]
	global_load_dword v63, v[58:59], off
	v_lshl_add_u64 v[58:59], s[6:7], 0, v[66:67]
	;; [unrolled: 2-line block ×3, first 2 shown]
	global_load_dword v65, v[58:59], off
	global_load_dword v98, v[58:59], off
	s_waitcnt vmcnt(7)
	v_add_f32_e32 v58, v76, v77
	s_waitcnt vmcnt(1)
	v_add_f32_e32 v58, v58, v65
	v_add_f32_e32 v65, v58, v85
	v_div_scale_f32 v58, s[18:19], v65, v65, 1.0
	v_rcp_f32_e32 v59, v58
	s_mul_i32 s18, s0, 0xffffffb5
	v_add_u32_e32 v0, s18, v0
	v_fma_f32 v66, -v58, v59, 1.0
	v_fmac_f32_e32 v59, v66, v59
	v_div_scale_f32 v66, vcc, 1.0, v65, 1.0
	v_mul_f32_e32 v67, v66, v59
	v_fma_f32 v76, -v58, v67, v66
	v_fmac_f32_e32 v67, v76, v59
	v_fma_f32 v58, -v58, v67, v66
	v_div_fmas_f32 v66, v58, v59, v67
	v_lshl_add_u64 v[58:59], s[6:7], 0, v[46:47]
	global_load_dword v59, v[58:59], off
	s_nop 0
	global_load_dword v67, v[54:55], off
	global_load_dword v58, v[48:49], off
	v_lshl_add_u64 v[54:55], s[4:5], 0, v[44:45]
	global_load_dword v76, v[54:55], off
	v_lshl_add_u64 v[54:55], s[6:7], 0, v[20:21]
	;; [unrolled: 2-line block ×5, first 2 shown]
	global_load_dword v54, v[54:55], off
	v_add_f32_e32 v48, v89, v62
	v_add_f32_e32 v48, v48, v63
	;; [unrolled: 1-line block ×3, first 2 shown]
	s_waitcnt vmcnt(7)
	v_add_f32_e32 v48, v48, v59
	s_waitcnt vmcnt(6)
	v_add_f32_e32 v48, v48, v67
	;; [unrolled: 2-line block ×7, first 2 shown]
	v_div_fixup_f32 v54, v66, v65, 1.0
	v_mul_f32_e32 v55, v54, v48
	v_lshl_add_u64 v[48:49], v[0:1], 2, s[8:9]
	global_store_dword v[48:49], v55, off
	v_mul_f32_e32 v48, v54, v71
	global_store_dword v[24:25], v48, off
	v_add_f32_e32 v24, v75, v74
	v_add_f32_e32 v24, v24, v73
	;; [unrolled: 1-line block ×3, first 2 shown]
	v_mul_f32_e32 v48, v54, v24
	v_lshl_add_u64 v[24:25], s[8:9], 0, v[26:27]
	global_store_dword v[24:25], v48, off
	v_lshl_add_u64 v[24:25], s[8:9], 0, v[28:29]
	v_mul_f32_e32 v26, v54, v58
	global_store_dword v[24:25], v26, off
	v_lshl_add_u64 v[24:25], s[4:5], 0, v[30:31]
	global_load_dword v26, v[24:25], off
	global_load_dword v101, v[24:25], off
	v_add_u32_e32 v0, s12, v0
	v_lshlrev_b64 v[56:57], 2, v[0:1]
	v_add_u32_e32 v0, s0, v0
	v_lshlrev_b64 v[74:75], 2, v[0:1]
	;; [unrolled: 2-line block ×3, first 2 shown]
	v_add_u32_e32 v0, s0, v0
	s_waitcnt vmcnt(1)
	v_mul_f32_e32 v24, v54, v26
	global_store_dword v[22:23], v24, off
	v_lshl_add_u64 v[22:23], s[6:7], 0, v[52:53]
	v_lshl_add_u64 v[24:25], s[6:7], 0, v[50:51]
	global_load_dword v26, v[22:23], off
	global_load_dword v89, v[24:25], off
	;; [unrolled: 1-line block ×3, first 2 shown]
	s_waitcnt vmcnt(2)
	v_mul_f32_e32 v22, v54, v26
	global_store_dword v[18:19], v22, off
	global_load_dword v18, v[24:25], off
	v_lshlrev_b64 v[24:25], 2, v[0:1]
	v_add_u32_e32 v0, s0, v0
	v_lshlrev_b64 v[26:27], 2, v[0:1]
	v_add_u32_e32 v0, s0, v0
	v_lshlrev_b64 v[28:29], 2, v[0:1]
	v_add_u32_e32 v0, s0, v0
	v_lshlrev_b64 v[48:49], 2, v[0:1]
	s_waitcnt vmcnt(0)
	v_mul_f32_e32 v22, v54, v18
	v_lshl_add_u64 v[18:19], s[8:9], 0, v[56:57]
	global_store_dword v[18:19], v22, off
	v_lshl_add_u64 v[18:19], s[4:5], 0, v[56:57]
	global_load_dword v50, v[18:19], off
	v_lshl_add_u64 v[18:19], s[4:5], 0, v[74:75]
	global_load_dword v51, v[18:19], off
	;; [unrolled: 2-line block ×7, first 2 shown]
	v_mad_u64_u32 v[18:19], s[18:19], s0, 41, v[0:1]
	v_mov_b32_e32 v19, v1
	v_add_u32_e32 v0, s0, v18
	v_lshlrev_b64 v[18:19], 2, v[18:19]
	v_lshl_add_u64 v[22:23], s[4:5], 0, v[18:19]
	global_load_dword v22, v[22:23], off
	v_lshlrev_b64 v[60:61], 2, v[0:1]
	s_mul_i32 s18, s0, 31
	v_add_u32_e32 v0, s18, v0
	s_mul_i32 s19, s0, 0xffffff8b
	v_lshl_add_u64 v[56:57], s[6:7], 0, v[56:57]
	s_waitcnt vmcnt(6)
	v_add_f32_e32 v23, v50, v51
	s_waitcnt vmcnt(5)
	v_add_f32_e32 v23, v23, v52
	;; [unrolled: 2-line block ×3, first 2 shown]
	v_lshlrev_b64 v[52:53], 2, v[0:1]
	s_waitcnt vmcnt(3)
	v_add_f32_e32 v23, v23, v54
	s_waitcnt vmcnt(2)
	v_add_f32_e32 v23, v23, v55
	;; [unrolled: 2-line block ×4, first 2 shown]
	v_lshl_add_u64 v[22:23], s[4:5], 0, v[60:61]
	global_load_dword v62, v[22:23], off
	v_mad_u64_u32 v[22:23], s[20:21], s0, 44, v[0:1]
	v_mov_b32_e32 v23, v1
	v_mad_u64_u32 v[50:51], s[20:21], s0, 25, v[22:23]
	v_mov_b32_e32 v51, v1
	v_lshlrev_b64 v[54:55], 2, v[50:51]
	v_add_u32_e32 v0, s19, v50
	v_lshl_add_u64 v[50:51], s[4:5], 0, v[54:55]
	global_load_dword v63, v[50:51], off
	v_lshlrev_b64 v[50:51], 2, v[22:23]
	v_lshl_add_u64 v[22:23], s[4:5], 0, v[50:51]
	global_load_dword v64, v[22:23], off
	global_load_dword v85, v[22:23], off
	v_lshl_add_u64 v[22:23], s[4:5], 0, v[52:53]
	global_load_dword v65, v[22:23], off
	global_load_dword v95, v[22:23], off
	v_lshl_add_u64 v[60:61], s[6:7], 0, v[60:61]
	s_waitcnt vmcnt(5)
	v_add_f32_e32 v22, v59, v62
	s_waitcnt vmcnt(1)
	v_add_f32_e32 v22, v22, v65
	v_add_f32_e32 v22, v22, v64
	;; [unrolled: 1-line block ×8, first 2 shown]
	v_lshlrev_b64 v[64:65], 2, v[0:1]
	v_add_f32_e32 v100, v22, v58
	v_lshl_add_u64 v[22:23], s[6:7], 0, v[64:65]
	v_add_u32_e32 v0, s0, v0
	global_load_dword v104, v[22:23], off
	v_lshlrev_b64 v[22:23], 2, v[0:1]
	v_add_u32_e32 v0, s0, v0
	v_lshl_add_u64 v[58:59], s[6:7], 0, v[22:23]
	v_lshlrev_b64 v[66:67], 2, v[0:1]
	v_add_u32_e32 v0, s0, v0
	global_load_dword v105, v[58:59], off
	v_lshl_add_u64 v[58:59], s[6:7], 0, v[66:67]
	v_lshlrev_b64 v[68:69], 2, v[0:1]
	v_add_u32_e32 v0, s0, v0
	global_load_dword v106, v[58:59], off
	v_lshl_add_u64 v[58:59], s[6:7], 0, v[68:69]
	v_lshlrev_b64 v[72:73], 2, v[0:1]
	global_load_dword v107, v[58:59], off
	v_lshl_add_u64 v[58:59], s[6:7], 0, v[72:73]
	global_load_dword v108, v[58:59], off
	v_mad_u64_u32 v[58:59], s[20:21], s0, 14, v[0:1]
	v_mov_b32_e32 v59, v1
	v_lshlrev_b64 v[70:71], 2, v[58:59]
	v_lshl_add_u64 v[62:63], s[6:7], 0, v[70:71]
	global_load_dword v0, v[62:63], off
	v_mad_u64_u32 v[62:63], s[20:21], s0, 50, v[58:59]
	v_mov_b32_e32 v63, v1
	v_lshlrev_b64 v[58:59], 2, v[62:63]
	v_lshl_add_u64 v[102:103], s[6:7], 0, v[58:59]
	global_load_dword v63, v[102:103], off
	global_load_dword v96, v[102:103], off
	v_lshl_add_u64 v[64:65], s[4:5], 0, v[64:65]
	s_waitcnt vmcnt(7)
	v_add_f32_e32 v100, v100, v104
	s_waitcnt vmcnt(6)
	v_add_f32_e32 v100, v100, v105
	;; [unrolled: 2-line block ×6, first 2 shown]
	s_waitcnt vmcnt(1)
	v_mad_u64_u32 v[102:103], s[20:21], s0, 9, v[62:63]
	v_add_f32_e32 v100, v0, v63
	v_add_u32_e32 v0, s14, v102
	v_lshlrev_b64 v[62:63], 2, v[0:1]
	v_lshl_add_u64 v[104:105], s[6:7], 0, v[62:63]
	global_load_dword v104, v[104:105], off
	v_mov_b32_e32 v103, v1
	global_load_dword v105, v[56:57], off
	v_lshl_add_u64 v[56:57], s[6:7], 0, v[74:75]
	global_load_dword v106, v[56:57], off
	v_lshl_add_u64 v[56:57], s[6:7], 0, v[76:77]
	;; [unrolled: 2-line block ×4, first 2 shown]
	global_load_dword v108, v[56:57], off
	v_lshlrev_b64 v[56:57], 2, v[102:103]
	v_lshl_add_u64 v[74:75], s[6:7], 0, v[56:57]
	global_load_dword v76, v[74:75], off
	s_nop 0
	global_load_dword v74, v[74:75], off
	s_mul_i32 s14, s0, 0xffffffc1
	v_add_u32_e32 v0, s14, v0
	s_mul_i32 s14, s0, 0xffffffe2
	s_waitcnt vmcnt(1)
	v_add_f32_e32 v75, v100, v76
	v_add_f32_e32 v75, v75, v104
	v_div_scale_f32 v76, s[20:21], v75, v75, 1.0
	v_rcp_f32_e32 v100, v76
	s_nop 0
	v_fma_f32 v102, -v76, v100, 1.0
	v_fmac_f32_e32 v100, v102, v100
	v_div_scale_f32 v102, vcc, 1.0, v75, 1.0
	v_mul_f32_e32 v103, v102, v100
	v_fma_f32 v104, -v76, v103, v102
	v_fmac_f32_e32 v103, v104, v100
	v_fma_f32 v76, -v76, v103, v102
	v_div_fmas_f32 v76, v76, v100, v103
	v_lshl_add_u64 v[102:103], s[6:7], 0, v[28:29]
	global_load_dword v100, v[102:103], off
	v_lshl_add_u64 v[102:103], s[6:7], 0, v[48:49]
	global_load_dword v102, v[102:103], off
	s_nop 0
	global_load_dword v103, v[64:65], off
	v_lshl_add_u64 v[64:65], s[4:5], 0, v[22:23]
	global_load_dword v104, v[64:65], off
	v_lshl_add_u64 v[64:65], s[4:5], 0, v[66:67]
	;; [unrolled: 2-line block ×5, first 2 shown]
	global_load_dword v64, v[64:65], off
	s_nop 0
	global_load_dword v65, v[60:61], off
	v_lshl_add_u64 v[60:61], s[4:5], 0, v[70:71]
	global_load_dword v60, v[60:61], off
	v_add_f32_e32 v61, v105, v106
	v_add_f32_e32 v61, v61, v77
	;; [unrolled: 1-line block ×4, first 2 shown]
	s_waitcnt vmcnt(9)
	v_add_f32_e32 v61, v61, v100
	s_waitcnt vmcnt(8)
	v_add_f32_e32 v61, v61, v102
	;; [unrolled: 2-line block ×10, first 2 shown]
	v_lshl_add_u64 v[60:61], s[4:5], 0, v[62:63]
	global_load_dword v60, v[60:61], off
	s_nop 0
	global_load_dword v61, v[12:13], off
	global_load_dword v62, v[12:13], off
	s_waitcnt vmcnt(1)
	v_add_f32_e32 v12, v64, v61
	v_add_f32_e32 v60, v12, v60
	v_lshl_add_u64 v[12:13], s[6:7], 0, v[54:55]
	global_load_dword v12, v[12:13], off
	s_nop 0
	global_load_dword v13, v[10:11], off
	global_load_dword v61, v[10:11], off
	v_div_fixup_f32 v54, v76, v75, 1.0
	s_waitcnt vmcnt(1)
	v_add_f32_e32 v10, v60, v13
	global_load_dword v11, v[8:9], off
	global_load_dword v60, v[8:9], off
	v_add_f32_e32 v10, v10, v12
	v_lshlrev_b64 v[12:13], 2, v[0:1]
	v_add_u32_e32 v0, s0, v0
	s_waitcnt vmcnt(1)
	v_add_f32_e32 v8, v10, v11
	v_mul_f32_e32 v10, v54, v8
	v_lshl_add_u64 v[8:9], s[8:9], 0, v[24:25]
	global_store_dword v[8:9], v10, off
	v_add_f32_e32 v8, v80, v79
	v_add_f32_e32 v8, v8, v84
	v_mul_f32_e32 v10, v54, v8
	v_lshl_add_u64 v[8:9], s[8:9], 0, v[26:27]
	global_store_dword v[8:9], v10, off
	v_add_f32_e32 v8, v91, v90
	v_mul_f32_e32 v10, v54, v8
	v_lshl_add_u64 v[8:9], s[8:9], 0, v[28:29]
	global_store_dword v[8:9], v10, off
	v_mul_f32_e32 v10, v54, v97
	v_lshl_add_u64 v[8:9], s[8:9], 0, v[48:49]
	global_store_dword v[8:9], v10, off
	v_lshl_add_u64 v[8:9], s[4:5], 0, v[58:59]
	global_load_dword v10, v[8:9], off
	global_load_dword v64, v[8:9], off
	v_lshl_add_u64 v[8:9], s[6:7], 0, v[52:53]
	global_load_dword v11, v[8:9], off
	global_load_dword v63, v[8:9], off
	s_waitcnt vmcnt(1)
	v_add_f32_e32 v8, v11, v10
	v_mul_f32_e32 v10, v54, v8
	v_lshl_add_u64 v[8:9], s[8:9], 0, v[42:43]
	global_store_dword v[8:9], v10, off
	v_lshl_add_u64 v[8:9], s[6:7], 0, v[50:51]
	global_load_dword v10, v[8:9], off
	global_load_dword v58, v[8:9], off
	v_lshl_add_u64 v[8:9], s[8:9], 0, v[40:41]
	s_waitcnt vmcnt(1)
	v_mul_f32_e32 v10, v54, v10
	global_store_dword v[8:9], v10, off
	v_lshlrev_b64 v[10:11], 2, v[0:1]
	v_lshl_add_u64 v[8:9], s[4:5], 0, v[10:11]
	v_add_u32_e32 v0, s11, v0
	global_load_dword v48, v[8:9], off
	v_lshlrev_b64 v[8:9], 2, v[0:1]
	v_lshl_add_u64 v[24:25], s[4:5], 0, v[8:9]
	v_add_u32_e32 v0, s0, v0
	global_load_dword v49, v[24:25], off
	;; [unrolled: 4-line block ×3, first 2 shown]
	v_lshlrev_b64 v[26:27], 2, v[0:1]
	v_lshl_add_u64 v[28:29], s[4:5], 0, v[26:27]
	global_load_dword v51, v[28:29], off
	v_lshl_add_u64 v[28:29], s[4:5], 0, v[56:57]
	global_load_dword v40, v[28:29], off
	global_load_dword v56, v[28:29], off
	v_lshl_add_u64 v[28:29], s[8:9], 0, v[38:39]
	v_add_u32_e32 v0, s14, v0
	v_lshl_add_u64 v[10:11], s[6:7], 0, v[10:11]
	s_mul_i32 s14, s0, 20
	s_waitcnt vmcnt(1)
	v_mul_f32_e32 v40, v54, v40
	global_store_dword v[28:29], v40, off
	v_lshl_add_u64 v[28:29], s[4:5], 0, v[12:13]
	global_load_dword v52, v[28:29], off
	v_lshlrev_b64 v[28:29], 2, v[0:1]
	v_lshl_add_u64 v[38:39], s[6:7], 0, v[28:29]
	v_add_u32_e32 v0, s15, v0
	global_load_dword v53, v[38:39], off
	v_lshlrev_b64 v[38:39], 2, v[0:1]
	v_lshl_add_u64 v[40:41], s[6:7], 0, v[38:39]
	v_add_u32_e32 v0, s13, v0
	global_load_dword v54, v[40:41], off
	v_lshlrev_b64 v[40:41], 2, v[0:1]
	v_lshl_add_u64 v[42:43], s[6:7], 0, v[40:41]
	global_load_dword v42, v[42:43], off
	v_lshl_add_u64 v[28:29], s[4:5], 0, v[28:29]
	v_lshl_add_u64 v[12:13], s[6:7], 0, v[12:13]
	global_load_dword v12, v[12:13], off
	v_add_u32_e32 v0, s10, v0
	global_load_dword v13, v[10:11], off
	v_lshl_add_u64 v[10:11], s[6:7], 0, v[8:9]
	s_mul_i32 s10, s0, 21
	s_waitcnt vmcnt(5)
	v_add_f32_e32 v43, v52, v48
	v_add_f32_e32 v43, v43, v101
	;; [unrolled: 1-line block ×5, first 2 shown]
	s_waitcnt vmcnt(4)
	v_add_f32_e32 v43, v43, v53
	s_waitcnt vmcnt(3)
	v_add_f32_e32 v43, v43, v54
	;; [unrolled: 2-line block ×3, first 2 shown]
	v_div_scale_f32 v43, s[20:21], v42, v42, 1.0
	v_rcp_f32_e32 v48, v43
	s_nop 0
	v_fma_f32 v49, -v43, v48, 1.0
	v_fmac_f32_e32 v48, v49, v48
	v_div_scale_f32 v49, vcc, 1.0, v42, 1.0
	v_mul_f32_e32 v50, v49, v48
	v_fma_f32 v51, -v43, v50, v49
	v_fmac_f32_e32 v50, v51, v48
	v_fma_f32 v43, -v43, v50, v49
	v_div_fmas_f32 v43, v43, v48, v50
	global_load_dword v48, v[28:29], off
	v_lshl_add_u64 v[28:29], s[4:5], 0, v[38:39]
	global_load_dword v38, v[28:29], off
	v_lshl_add_u64 v[28:29], s[4:5], 0, v[40:41]
	global_load_dword v28, v[28:29], off
	s_nop 0
	global_load_dword v29, v[10:11], off
	v_lshl_add_u64 v[10:11], s[6:7], 0, v[24:25]
	global_load_dword v24, v[10:11], off
	v_lshl_add_u64 v[10:11], s[6:7], 0, v[26:27]
	global_load_dword v10, v[10:11], off
	v_div_fixup_f32 v26, v43, v42, 1.0
	s_waitcnt vmcnt(4)
	v_add_f32_e32 v11, v48, v38
	s_waitcnt vmcnt(3)
	v_add_f32_e32 v11, v11, v28
	v_add_f32_e32 v11, v11, v12
	;; [unrolled: 1-line block ×3, first 2 shown]
	s_waitcnt vmcnt(2)
	v_add_f32_e32 v11, v11, v29
	s_waitcnt vmcnt(1)
	v_add_f32_e32 v11, v11, v24
	s_waitcnt vmcnt(0)
	v_add_f32_e32 v10, v11, v10
	v_mul_f32_e32 v12, v26, v10
	v_lshl_add_u64 v[10:11], s[8:9], 0, v[36:37]
	global_store_dword v[10:11], v12, off
	v_lshlrev_b64 v[10:11], 2, v[0:1]
	v_lshl_add_u64 v[12:13], s[4:5], 0, v[10:11]
	v_add_u32_e32 v0, s11, v0
	global_load_dword v27, v[12:13], off
	v_lshlrev_b64 v[12:13], 2, v[0:1]
	v_lshl_add_u64 v[24:25], s[4:5], 0, v[12:13]
	global_load_dword v24, v[24:25], off
	v_mul_f32_e32 v25, v26, v98
	global_store_dword v[6:7], v25, off
	v_lshl_add_u64 v[10:11], s[6:7], 0, v[10:11]
	s_waitcnt vmcnt(2)
	v_add_f32_e32 v6, v27, v94
	s_waitcnt vmcnt(1)
	v_add_f32_e32 v6, v6, v24
	v_add_f32_e32 v38, v6, v93
	v_mad_u64_u32 v[6:7], s[20:21], s0, -10, v[0:1]
	v_mov_b32_e32 v7, v1
	v_lshlrev_b64 v[24:25], 2, v[6:7]
	v_add_u32_e32 v0, s14, v6
	v_lshl_add_u64 v[26:27], s[6:7], 0, v[24:25]
	v_lshlrev_b64 v[6:7], 2, v[0:1]
	v_add_u32_e32 v0, s10, v0
	global_load_dword v39, v[26:27], off
	v_lshlrev_b64 v[26:27], 2, v[0:1]
	v_lshl_add_u64 v[28:29], s[6:7], 0, v[26:27]
	v_add_u32_e32 v0, s18, v0
	global_load_dword v40, v[28:29], off
	v_lshlrev_b64 v[28:29], 2, v[0:1]
	v_lshl_add_u64 v[36:37], s[6:7], 0, v[28:29]
	global_load_dword v41, v[36:37], off
	v_lshl_add_u64 v[36:37], s[6:7], 0, v[6:7]
	global_load_dword v42, v[36:37], off
	global_load_dword v65, v[36:37], off
	v_lshl_add_u64 v[24:25], s[4:5], 0, v[24:25]
	v_lshl_add_u64 v[6:7], s[4:5], 0, v[6:7]
	s_waitcnt vmcnt(4)
	v_add_f32_e32 v36, v38, v39
	s_waitcnt vmcnt(1)
	v_add_f32_e32 v36, v36, v42
	v_add_f32_e32 v36, v36, v40
	;; [unrolled: 1-line block ×4, first 2 shown]
	v_div_scale_f32 v36, s[18:19], v38, v38, 1.0
	v_rcp_f32_e32 v37, v36
	s_mul_i32 s18, s0, 0xffffffb9
	v_add_u32_e32 v0, s18, v0
	v_fma_f32 v39, -v36, v37, 1.0
	v_fmac_f32_e32 v37, v39, v37
	v_div_scale_f32 v39, vcc, 1.0, v38, 1.0
	v_mul_f32_e32 v40, v39, v37
	v_fma_f32 v41, -v36, v40, v39
	v_fmac_f32_e32 v40, v41, v37
	v_fma_f32 v36, -v36, v40, v39
	v_div_fmas_f32 v39, v36, v37, v40
	global_load_dword v40, v[24:25], off
	global_load_dword v41, v[10:11], off
	v_lshl_add_u64 v[10:11], s[6:7], 0, v[12:13]
	global_load_dword v42, v[10:11], off
	v_lshl_add_u64 v[10:11], s[4:5], 0, v[26:27]
	v_lshl_add_u64 v[12:13], s[4:5], 0, v[28:29]
	global_load_dword v43, v[10:11], off
	global_load_dword v48, v[12:13], off
	;; [unrolled: 1-line block ×3, first 2 shown]
	v_lshlrev_b64 v[12:13], 2, v[0:1]
	v_add_u32_e32 v0, s17, v0
	v_lshl_add_u64 v[6:7], s[4:5], 0, v[12:13]
	v_lshlrev_b64 v[24:25], 2, v[0:1]
	v_add_u32_e32 v0, s0, v0
	global_load_dword v10, v[6:7], off
	v_lshl_add_u64 v[6:7], s[4:5], 0, v[24:25]
	v_lshlrev_b64 v[26:27], 2, v[0:1]
	global_load_dword v11, v[6:7], off
	v_lshl_add_u64 v[6:7], s[4:5], 0, v[26:27]
	v_add_u32_e32 v0, s11, v0
	global_load_dword v50, v[6:7], off
	v_lshlrev_b64 v[28:29], 2, v[0:1]
	v_add_u32_e32 v0, s0, v0
	v_lshl_add_u64 v[6:7], s[4:5], 0, v[28:29]
	v_lshlrev_b64 v[36:37], 2, v[0:1]
	global_load_dword v51, v[6:7], off
	v_lshl_add_u64 v[6:7], s[4:5], 0, v[36:37]
	global_load_dword v52, v[6:7], off
	v_div_fixup_f32 v38, v39, v38, 1.0
	v_add_u32_e32 v0, s0, v0
	v_lshl_add_u64 v[12:13], s[6:7], 0, v[12:13]
	s_waitcnt vmcnt(9)
	v_add_f32_e32 v6, v40, v41
	s_waitcnt vmcnt(8)
	v_add_f32_e32 v6, v6, v42
	;; [unrolled: 2-line block ×4, first 2 shown]
	v_mul_f32_e32 v39, v38, v6
	v_lshl_add_u64 v[6:7], s[8:9], 0, v[46:47]
	global_store_dword v[6:7], v39, off
	v_add_f32_e32 v6, v87, v86
	v_mul_f32_e32 v39, v38, v6
	v_lshl_add_u64 v[6:7], s[8:9], 0, v[34:35]
	global_store_dword v[6:7], v39, off
	v_mul_f32_e32 v34, v38, v92
	v_lshl_add_u64 v[6:7], s[8:9], 0, v[32:33]
	global_store_dword v[6:7], v34, off
	s_waitcnt vmcnt(8)
	v_mul_f32_e32 v32, v38, v49
	v_lshl_add_u64 v[6:7], s[8:9], 0, v[22:23]
	global_store_dword v[6:7], v32, off
	s_waitcnt vmcnt(7)
	v_add_f32_e32 v6, v10, v11
	s_waitcnt vmcnt(6)
	v_add_f32_e32 v6, v6, v50
	v_add_f32_e32 v6, v6, v49
	v_lshlrev_b64 v[42:43], 2, v[0:1]
	s_waitcnt vmcnt(5)
	v_add_f32_e32 v6, v6, v51
	v_add_u32_e32 v0, s0, v0
	s_waitcnt vmcnt(4)
	v_add_f32_e32 v68, v6, v52
	v_lshl_add_u64 v[6:7], s[4:5], 0, v[42:43]
	v_lshlrev_b64 v[46:47], 2, v[0:1]
	v_add_u32_e32 v0, s0, v0
	v_lshl_add_u64 v[10:11], s[4:5], 0, v[46:47]
	global_load_dword v69, v[6:7], off
	global_load_dword v70, v[10:11], off
	v_lshlrev_b64 v[6:7], 2, v[0:1]
	v_add_u32_e32 v0, s11, v0
	v_lshlrev_b64 v[10:11], 2, v[0:1]
	v_add_u32_e32 v0, s0, v0
	;; [unrolled: 2-line block ×3, first 2 shown]
	v_lshl_add_u64 v[22:23], s[4:5], 0, v[48:49]
	v_lshlrev_b64 v[52:53], 2, v[0:1]
	v_add_u32_e32 v0, s0, v0
	global_load_dword v71, v[22:23], off
	v_lshl_add_u64 v[22:23], s[4:5], 0, v[52:53]
	v_lshlrev_b64 v[54:55], 2, v[0:1]
	v_add_u32_e32 v0, s0, v0
	global_load_dword v72, v[22:23], off
	v_lshl_add_u64 v[22:23], s[4:5], 0, v[54:55]
	v_lshlrev_b64 v[50:51], 2, v[0:1]
	global_load_dword v73, v[22:23], off
	v_lshl_add_u64 v[22:23], s[4:5], 0, v[50:51]
	v_add_u32_e32 v0, s15, v0
	global_load_dword v75, v[22:23], off
	v_lshlrev_b64 v[22:23], 2, v[0:1]
	v_lshl_add_u64 v[32:33], s[6:7], 0, v[22:23]
	v_add_u32_e32 v0, s0, v0
	global_load_dword v76, v[32:33], off
	v_lshlrev_b64 v[32:33], 2, v[0:1]
	;; [unrolled: 4-line block ×5, first 2 shown]
	v_lshl_add_u64 v[66:67], s[6:7], 0, v[40:41]
	global_load_dword v84, v[66:67], off
	v_lshl_add_u64 v[66:67], s[4:5], 0, v[10:11]
	global_load_dword v86, v[66:67], off
	global_load_dword v57, v[66:67], off
	v_lshl_add_u64 v[66:67], s[4:5], 0, v[6:7]
	global_load_dword v87, v[66:67], off
	global_load_dword v59, v[66:67], off
	v_add_u32_e32 v0, s14, v0
	v_lshl_add_u64 v[6:7], s[6:7], 0, v[6:7]
	v_lshl_add_u64 v[10:11], s[6:7], 0, v[10:11]
	s_mul_i32 s3, s0, 0xffffff92
	s_waitcnt vmcnt(14)
	v_add_f32_e32 v66, v68, v69
	s_waitcnt vmcnt(13)
	v_add_f32_e32 v66, v66, v70
	;; [unrolled: 2-line block ×3, first 2 shown]
	v_add_f32_e32 v64, v66, v64
	v_lshlrev_b64 v[66:67], 2, v[0:1]
	v_lshl_add_u64 v[68:69], s[6:7], 0, v[66:67]
	global_load_dword v68, v[68:69], off
	v_add_f32_e32 v64, v64, v86
	global_load_dword v69, v[12:13], off
	v_lshl_add_u64 v[12:13], s[6:7], 0, v[24:25]
	global_load_dword v24, v[12:13], off
	v_lshl_add_u64 v[12:13], s[6:7], 0, v[26:27]
	;; [unrolled: 2-line block ×16, first 2 shown]
	global_load_dword v12, v[12:13], off
	v_add_f32_e32 v64, v64, v71
	global_load_dword v35, v[4:5], off
	global_load_dword v40, v[6:7], off
	;; [unrolled: 1-line block ×6, first 2 shown]
	v_add_f32_e32 v64, v64, v72
	v_add_f32_e32 v64, v64, v73
	;; [unrolled: 1-line block ×11, first 2 shown]
	v_add_u32_e32 v0, s3, v0
	s_mul_i32 s3, s0, 0x54
	s_waitcnt vmcnt(23)
	v_add_f32_e32 v13, v13, v68
	s_waitcnt vmcnt(21)
	v_add_f32_e32 v24, v69, v24
	;; [unrolled: 2-line block ×8, first 2 shown]
	v_add_f32_e32 v24, v24, v62
	s_waitcnt vmcnt(14)
	v_add_f32_e32 v24, v24, v37
	s_waitcnt vmcnt(13)
	;; [unrolled: 2-line block ×9, first 2 shown]
	v_add_f32_e32 v12, v22, v12
	v_div_scale_f32 v22, s[14:15], v13, v13, 1.0
	v_rcp_f32_e32 v23, v22
	s_waitcnt vmcnt(5)
	v_add_f32_e32 v4, v12, v35
	v_fma_f32 v5, -v22, v23, 1.0
	v_fmac_f32_e32 v23, v5, v23
	v_div_scale_f32 v5, vcc, 1.0, v13, 1.0
	v_mul_f32_e32 v6, v5, v23
	v_fma_f32 v7, -v22, v6, v5
	v_fmac_f32_e32 v6, v7, v23
	v_fma_f32 v5, -v22, v6, v5
	v_div_fmas_f32 v5, v5, v23, v6
	v_div_fixup_f32 v42, v5, v13, 1.0
	v_mul_f32_e32 v4, v42, v4
	global_store_dword v[2:3], v4, off
	v_mul_f32_e32 v4, v42, v78
	v_lshl_add_u64 v[2:3], v[0:1], 2, s[8:9]
	v_add_u32_e32 v0, s0, v0
	global_store_dword v[2:3], v4, off
	v_mul_f32_e32 v4, v42, v83
	v_lshl_add_u64 v[2:3], v[0:1], 2, s[8:9]
	global_store_dword v[2:3], v4, off
	v_add_f32_e32 v2, v95, v96
	v_mul_f32_e32 v4, v42, v2
	v_lshl_add_u64 v[2:3], s[8:9], 0, v[44:45]
	v_add_u32_e32 v0, s16, v0
	global_store_dword v[2:3], v4, off
	v_mul_f32_e32 v4, v42, v65
	v_lshl_add_u64 v[2:3], v[0:1], 2, s[8:9]
	v_add_u32_e32 v0, s13, v0
	global_store_dword v[2:3], v4, off
	v_lshl_add_u64 v[2:3], v[0:1], 2, s[8:9]
	v_add_u32_e32 v0, s3, v0
	v_lshlrev_b64 v[10:11], 2, v[0:1]
	v_add_u32_e32 v0, s0, v0
	v_lshlrev_b64 v[12:13], 2, v[0:1]
	;; [unrolled: 2-line block ×4, first 2 shown]
	v_lshl_add_u64 v[22:23], s[4:5], 0, v[10:11]
	v_lshl_add_u64 v[28:29], s[4:5], 0, v[4:5]
	v_add_u32_e32 v0, s0, v0
	v_lshl_add_u64 v[24:25], s[4:5], 0, v[12:13]
	v_lshl_add_u64 v[26:27], s[4:5], 0, v[6:7]
	global_load_dword v48, v[22:23], off
	global_load_dword v50, v[24:25], off
	;; [unrolled: 1-line block ×4, first 2 shown]
	v_lshlrev_b64 v[28:29], 2, v[0:1]
	v_add_u32_e32 v0, s0, v0
	v_lshlrev_b64 v[24:25], 2, v[0:1]
	v_add_u32_e32 v0, s0, v0
	;; [unrolled: 2-line block ×3, first 2 shown]
	v_lshl_add_u64 v[32:33], s[4:5], 0, v[28:29]
	v_lshlrev_b64 v[22:23], 2, v[0:1]
	v_add_u32_e32 v0, s0, v0
	v_lshl_add_u64 v[34:35], s[4:5], 0, v[24:25]
	v_lshl_add_u64 v[36:37], s[4:5], 0, v[26:27]
	;; [unrolled: 1-line block ×3, first 2 shown]
	global_load_dword v53, v[32:33], off
	global_load_dword v54, v[34:35], off
	;; [unrolled: 1-line block ×4, first 2 shown]
	v_lshlrev_b64 v[32:33], 2, v[0:1]
	v_lshl_add_u64 v[34:35], s[4:5], 0, v[32:33]
	s_mul_i32 s3, s0, 0xffffffac
	global_load_dword v36, v[34:35], off
	s_waitcnt vmcnt(17)
	v_add_f32_e32 v34, v40, v41
	v_add_u32_e32 v0, s3, v0
	v_mul_f32_e32 v34, v42, v34
	v_lshlrev_b64 v[42:43], 2, v[0:1]
	global_store_dword v[2:3], v34, off
	v_lshl_add_u64 v[2:3], s[6:7], 0, v[42:43]
	global_load_dword v64, v[2:3], off
	v_mad_u64_u32 v[2:3], s[14:15], s0, 62, v[0:1]
	v_mov_b32_e32 v3, v1
	v_lshlrev_b64 v[44:45], 2, v[2:3]
	v_lshl_add_u64 v[34:35], s[6:7], 0, v[44:45]
	global_load_dword v65, v[34:35], off
	v_mad_u64_u32 v[2:3], s[14:15], s0, 24, v[2:3]
	v_mov_b32_e32 v3, v1
	v_lshlrev_b64 v[34:35], 2, v[2:3]
	v_lshl_add_u64 v[42:43], s[4:5], 0, v[42:43]
	v_lshl_add_u64 v[10:11], s[6:7], 0, v[10:11]
	;; [unrolled: 1-line block ×4, first 2 shown]
	s_waitcnt vmcnt(10)
	v_add_f32_e32 v0, v48, v50
	s_waitcnt vmcnt(9)
	v_add_f32_e32 v0, v0, v51
	;; [unrolled: 2-line block ×8, first 2 shown]
	v_add_u32_e32 v0, s0, v2
	v_lshl_add_u64 v[36:37], s[6:7], 0, v[34:35]
	v_lshlrev_b64 v[38:39], 2, v[0:1]
	v_add_u32_e32 v0, s0, v0
	v_lshl_add_u64 v[2:3], s[6:7], 0, v[38:39]
	global_load_dword v50, v[36:37], off
	global_load_dword v51, v[2:3], off
	v_lshlrev_b64 v[36:37], 2, v[0:1]
	v_add_u32_e32 v0, s11, v0
	v_lshl_add_u64 v[2:3], s[6:7], 0, v[36:37]
	v_lshlrev_b64 v[40:41], 2, v[0:1]
	global_load_dword v52, v[2:3], off
	v_lshl_add_u64 v[2:3], s[6:7], 0, v[40:41]
	v_add_u32_e32 v0, s2, v0
	global_load_dword v53, v[2:3], off
	v_lshlrev_b64 v[2:3], 2, v[0:1]
	s_waitcnt vmcnt(5)
	v_add_f32_e32 v55, v55, v64
	v_lshl_add_u64 v[62:63], s[6:7], 0, v[2:3]
	s_waitcnt vmcnt(4)
	v_add_f32_e32 v55, v55, v65
	global_load_dword v54, v[62:63], off
	global_load_dword v48, v[62:63], off
	v_add_f32_e32 v55, v55, v58
	global_load_dword v58, v[42:43], off
	v_lshl_add_u64 v[42:43], s[4:5], 0, v[44:45]
	global_load_dword v42, v[42:43], off
	v_add_u32_e32 v0, s11, v0
	global_load_dword v43, v[10:11], off
	global_load_dword v45, v[6:7], off
	v_lshl_add_u64 v[10:11], s[6:7], 0, v[12:13]
	v_lshl_add_u64 v[6:7], s[6:7], 0, v[28:29]
	global_load_dword v44, v[10:11], off
	global_load_dword v28, v[4:5], off
	;; [unrolled: 1-line block ×3, first 2 shown]
	v_lshl_add_u64 v[6:7], s[6:7], 0, v[24:25]
	v_lshl_add_u64 v[10:11], s[6:7], 0, v[26:27]
	global_load_dword v26, v[6:7], off
	global_load_dword v27, v[10:11], off
	v_lshl_add_u64 v[6:7], s[6:7], 0, v[22:23]
	v_lshlrev_b64 v[4:5], 2, v[0:1]
	v_add_u32_e32 v0, s13, v0
	global_load_dword v62, v[6:7], off
	v_lshl_add_u64 v[6:7], s[6:7], 0, v[32:33]
	v_lshl_add_u64 v[12:13], s[4:5], 0, v[34:35]
	global_load_dword v32, v[6:7], off
	v_lshlrev_b64 v[6:7], 2, v[0:1]
	v_lshl_add_u64 v[22:23], s[4:5], 0, v[38:39]
	global_load_dword v33, v[12:13], off
	global_load_dword v34, v[22:23], off
	v_lshl_add_u64 v[12:13], s[4:5], 0, v[36:37]
	v_lshl_add_u64 v[10:11], s[6:7], 0, v[4:5]
	;; [unrolled: 1-line block ×4, first 2 shown]
	global_load_dword v35, v[12:13], off
	global_load_dword v36, v[24:25], off
	;; [unrolled: 1-line block ×4, first 2 shown]
	v_lshl_add_u64 v[4:5], s[4:5], 0, v[4:5]
	v_add_u32_e32 v0, s1, v0
	s_mul_i32 s1, s0, 0xffffffe4
	s_waitcnt vmcnt(22)
	v_add_f32_e32 v12, v55, v50
	s_waitcnt vmcnt(21)
	v_add_f32_e32 v12, v12, v51
	;; [unrolled: 2-line block ×3, first 2 shown]
	v_add_f32_e32 v12, v12, v89
	s_waitcnt vmcnt(19)
	v_add_f32_e32 v12, v12, v53
	s_waitcnt vmcnt(18)
	v_add_f32_e32 v24, v12, v54
	global_load_dword v12, v[22:23], off
	global_load_dword v13, v[10:11], off
	s_waitcnt vmcnt(3)
	v_add_f32_e32 v10, v24, v37
	s_waitcnt vmcnt(2)
	v_add_f32_e32 v22, v10, v38
	v_add_f32_e32 v10, v58, v42
	v_add_f32_e32 v10, v10, v43
	v_add_f32_e32 v10, v10, v44
	v_add_f32_e32 v10, v10, v45
	v_add_f32_e32 v10, v10, v28
	v_add_f32_e32 v10, v10, v29
	v_add_f32_e32 v10, v10, v26
	v_add_f32_e32 v10, v10, v27
	v_add_f32_e32 v10, v10, v62
	v_add_f32_e32 v10, v10, v32
	v_add_f32_e32 v23, v10, v61
	v_lshl_add_u64 v[10:11], s[4:5], 0, v[2:3]
	v_lshl_add_u64 v[2:3], s[4:5], 0, v[6:7]
	global_load_dword v44, v[10:11], off
	global_load_dword v45, v[4:5], off
	;; [unrolled: 1-line block ×4, first 2 shown]
	v_div_scale_f32 v5, s[2:3], v22, v22, 1.0
	v_rcp_f32_e32 v6, v5
	v_add_f32_e32 v4, v23, v33
	v_add_f32_e32 v4, v4, v34
	;; [unrolled: 1-line block ×3, first 2 shown]
	v_fma_f32 v7, -v5, v6, 1.0
	v_fmac_f32_e32 v6, v7, v6
	v_div_scale_f32 v7, vcc, 1.0, v22, 1.0
	v_mul_f32_e32 v10, v7, v6
	v_fma_f32 v11, -v5, v10, v7
	v_fmac_f32_e32 v10, v11, v6
	v_add_f32_e32 v4, v4, v36
	v_fma_f32 v5, -v5, v10, v7
	v_add_f32_e32 v4, v4, v60
	v_div_fmas_f32 v5, v5, v6, v10
	v_add_f32_e32 v4, v4, v49
	v_div_fixup_f32 v49, v5, v22, 1.0
	v_mul_f32_e32 v6, v49, v4
	v_lshl_add_u64 v[4:5], s[8:9], 0, v[18:19]
	global_store_dword v[4:5], v6, off
	v_lshlrev_b64 v[4:5], 2, v[0:1]
	v_add_u32_e32 v0, s0, v0
	v_lshlrev_b64 v[10:11], 2, v[0:1]
	v_add_u32_e32 v0, s11, v0
	;; [unrolled: 2-line block ×6, first 2 shown]
	v_lshl_add_u64 v[6:7], s[4:5], 0, v[4:5]
	v_lshl_add_u64 v[28:29], s[4:5], 0, v[26:27]
	v_lshlrev_b64 v[40:41], 2, v[0:1]
	v_add_u32_e32 v0, s1, v0
	v_lshl_add_u64 v[18:19], s[4:5], 0, v[10:11]
	v_lshl_add_u64 v[24:25], s[4:5], 0, v[22:23]
	;; [unrolled: 1-line block ×5, first 2 shown]
	global_load_dword v52, v[6:7], off
	global_load_dword v53, v[18:19], off
	;; [unrolled: 1-line block ×6, first 2 shown]
                                        ; kill: killed $vgpr34_vgpr35
                                        ; kill: killed $vgpr28_vgpr29
                                        ; kill: killed $vgpr24_vgpr25
                                        ; kill: killed $vgpr18_vgpr19
                                        ; kill: killed $vgpr6_vgpr7
                                        ; kill: killed $vgpr38_vgpr39
	s_nop 0
	global_load_dword v28, v[42:43], off
	v_lshlrev_b64 v[6:7], 2, v[0:1]
	v_lshl_add_u64 v[18:19], s[6:7], 0, v[6:7]
	global_load_dword v29, v[18:19], off
	v_lshl_add_u64 v[6:7], s[4:5], 0, v[6:7]
	global_load_dword v34, v[6:7], off
	v_lshl_add_u64 v[4:5], s[6:7], 0, v[4:5]
	v_lshl_add_u64 v[6:7], s[6:7], 0, v[10:11]
	;; [unrolled: 1-line block ×7, first 2 shown]
	global_load_dword v32, v[4:5], off
	global_load_dword v33, v[6:7], off
	global_load_dword v35, v[10:11], off
	global_load_dword v36, v[18:19], off
	global_load_dword v37, v[22:23], off
	global_load_dword v38, v[24:25], off
	global_load_dword v39, v[26:27], off
	s_mul_i32 s1, s0, 0xffffffe9
	v_add_u32_e32 v0, s1, v0
	s_mul_i32 s1, s0, 0x61
	v_lshl_add_u64 v[4:5], v[0:1], 2, s[8:9]
	v_add_u32_e32 v0, s1, v0
	v_lshlrev_b64 v[6:7], 2, v[0:1]
	v_add_u32_e32 v0, s11, v0
	v_lshlrev_b64 v[18:19], 2, v[0:1]
	v_add_u32_e32 v0, s0, v0
	v_lshl_add_u64 v[10:11], s[4:5], 0, v[6:7]
	v_lshlrev_b64 v[24:25], 2, v[0:1]
	v_add_u32_e32 v0, s11, v0
	v_lshl_add_u64 v[22:23], s[4:5], 0, v[18:19]
	v_lshl_add_u64 v[26:27], s[4:5], 0, v[24:25]
	global_load_dword v40, v[10:11], off
	global_load_dword v41, v[22:23], off
	;; [unrolled: 1-line block ×4, first 2 shown]
	v_lshlrev_b64 v[2:3], 2, v[0:1]
	s_mul_i32 s1, s0, 0xffffffdc
	v_lshl_add_u64 v[10:11], s[4:5], 0, v[2:3]
	v_add_u32_e32 v0, s1, v0
	global_load_dword v61, v[10:11], off
	v_lshlrev_b64 v[10:11], 2, v[0:1]
	v_lshl_add_u64 v[22:23], s[6:7], 0, v[10:11]
	v_add_u32_e32 v0, s10, v0
	global_load_dword v62, v[22:23], off
	v_lshlrev_b64 v[22:23], 2, v[0:1]
	v_lshl_add_u64 v[26:27], s[6:7], 0, v[22:23]
	global_load_dword v26, v[26:27], off
	v_lshl_add_u64 v[10:11], s[4:5], 0, v[10:11]
	global_load_dword v27, v[10:11], off
	;; [unrolled: 2-line block ×7, first 2 shown]
	v_mul_f32_e32 v19, v49, v81
	v_lshl_add_u64 v[2:3], s[8:9], 0, v[16:17]
	global_store_dword v[2:3], v19, off
	v_mul_f32_e32 v16, v49, v85
	v_lshl_add_u64 v[2:3], s[8:9], 0, v[20:21]
	global_store_dword v[2:3], v16, off
	s_waitcnt vmcnt(34)
	v_add_f32_e32 v2, v44, v45
	s_waitcnt vmcnt(33)
	v_add_f32_e32 v2, v2, v50
	v_mul_f32_e32 v16, v49, v2
	v_lshl_add_u64 v[2:3], s[8:9], 0, v[30:31]
	global_store_dword v[2:3], v16, off
	s_mulk_i32 s0, 0xffb0
	v_add_u32_e32 v0, s0, v0
	s_waitcnt vmcnt(30)
	v_add_f32_e32 v2, v52, v53
	v_add_f32_e32 v2, v2, v56
	s_waitcnt vmcnt(29)
	v_add_f32_e32 v2, v2, v54
	s_waitcnt vmcnt(28)
	;; [unrolled: 2-line block ×6, first 2 shown]
	v_add_f32_e32 v2, v2, v29
	v_add_f32_e32 v2, v2, v47
	;; [unrolled: 1-line block ×3, first 2 shown]
	v_div_scale_f32 v16, s[2:3], v2, v2, 1.0
	v_rcp_f32_e32 v17, v16
	s_waitcnt vmcnt(22)
	v_add_f32_e32 v3, v34, v32
	s_waitcnt vmcnt(21)
	v_add_f32_e32 v3, v3, v33
	;; [unrolled: 2-line block ×3, first 2 shown]
	v_fma_f32 v19, -v16, v17, 1.0
	v_fmac_f32_e32 v17, v19, v17
	v_div_scale_f32 v19, vcc, 1.0, v2, 1.0
	v_mul_f32_e32 v20, v19, v17
	v_fma_f32 v21, -v16, v20, v19
	s_waitcnt vmcnt(19)
	v_add_f32_e32 v3, v3, v36
	v_fmac_f32_e32 v20, v21, v17
	s_waitcnt vmcnt(18)
	v_add_f32_e32 v3, v3, v37
	v_fma_f32 v16, -v16, v20, v19
	s_waitcnt vmcnt(17)
	v_add_f32_e32 v3, v3, v38
	v_div_fmas_f32 v16, v16, v17, v20
	s_waitcnt vmcnt(16)
	v_add_f32_e32 v3, v3, v39
	v_div_fixup_f32 v16, v16, v2, 1.0
	v_mul_f32_e32 v17, v16, v3
	v_lshl_add_u64 v[2:3], s[8:9], 0, v[8:9]
	global_store_dword v[2:3], v17, off
	v_mul_f32_e32 v2, v16, v74
	global_store_dword v[4:5], v2, off
	v_add_f32_e32 v2, v59, v57
	v_mul_f32_e32 v4, v16, v2
	v_lshl_add_u64 v[2:3], s[8:9], 0, v[14:15]
	global_store_dword v[2:3], v4, off
	s_waitcnt vmcnt(18)
	v_add_f32_e32 v2, v44, v40
	v_add_f32_e32 v2, v2, v51
	s_waitcnt vmcnt(17)
	v_add_f32_e32 v2, v2, v41
	s_waitcnt vmcnt(16)
	;; [unrolled: 2-line block ×6, first 2 shown]
	v_add_f32_e32 v2, v2, v26
	v_div_scale_f32 v4, s[2:3], v2, v2, 1.0
	v_rcp_f32_e32 v5, v4
	s_waitcnt vmcnt(10)
	v_add_f32_e32 v3, v27, v10
	s_waitcnt vmcnt(9)
	v_add_f32_e32 v3, v3, v11
	;; [unrolled: 2-line block ×4, first 2 shown]
	v_fma_f32 v6, -v4, v5, 1.0
	v_fmac_f32_e32 v5, v6, v5
	v_div_scale_f32 v6, vcc, 1.0, v2, 1.0
	s_waitcnt vmcnt(6)
	v_add_f32_e32 v3, v3, v7
	v_mul_f32_e32 v7, v6, v5
	v_fma_f32 v8, -v4, v7, v6
	v_fmac_f32_e32 v7, v8, v5
	v_fma_f32 v4, -v4, v7, v6
	v_div_fmas_f32 v4, v4, v5, v7
	v_div_fixup_f32 v4, v4, v2, 1.0
	v_mul_f32_e32 v5, v4, v3
	v_lshl_add_u64 v[2:3], v[0:1], 2, s[8:9]
	global_store_dword v[2:3], v5, off
	v_add_f32_e32 v2, v48, v13
	v_add_f32_e32 v2, v2, v12
	v_add_u32_e32 v0, s12, v0
	v_mul_f32_e32 v2, v4, v2
	v_lshl_add_u64 v[0:1], v[0:1], 2, s[8:9]
	global_store_dword v[0:1], v2, off
	s_endpgm
	.section	.rodata,"a",@progbits
	.p2align	6, 0x0
	.amdhsa_kernel _Z11qssa_kernelIfEvPT_S1_S1_
		.amdhsa_group_segment_fixed_size 0
		.amdhsa_private_segment_fixed_size 0
		.amdhsa_kernarg_size 280
		.amdhsa_user_sgpr_count 2
		.amdhsa_user_sgpr_dispatch_ptr 0
		.amdhsa_user_sgpr_queue_ptr 0
		.amdhsa_user_sgpr_kernarg_segment_ptr 1
		.amdhsa_user_sgpr_dispatch_id 0
		.amdhsa_user_sgpr_kernarg_preload_length 0
		.amdhsa_user_sgpr_kernarg_preload_offset 0
		.amdhsa_user_sgpr_private_segment_size 0
		.amdhsa_uses_dynamic_stack 0
		.amdhsa_enable_private_segment 0
		.amdhsa_system_sgpr_workgroup_id_x 1
		.amdhsa_system_sgpr_workgroup_id_y 0
		.amdhsa_system_sgpr_workgroup_id_z 0
		.amdhsa_system_sgpr_workgroup_info 0
		.amdhsa_system_vgpr_workitem_id 0
		.amdhsa_next_free_vgpr 109
		.amdhsa_next_free_sgpr 22
		.amdhsa_accum_offset 112
		.amdhsa_reserve_vcc 1
		.amdhsa_float_round_mode_32 0
		.amdhsa_float_round_mode_16_64 0
		.amdhsa_float_denorm_mode_32 3
		.amdhsa_float_denorm_mode_16_64 3
		.amdhsa_dx10_clamp 1
		.amdhsa_ieee_mode 1
		.amdhsa_fp16_overflow 0
		.amdhsa_tg_split 0
		.amdhsa_exception_fp_ieee_invalid_op 0
		.amdhsa_exception_fp_denorm_src 0
		.amdhsa_exception_fp_ieee_div_zero 0
		.amdhsa_exception_fp_ieee_overflow 0
		.amdhsa_exception_fp_ieee_underflow 0
		.amdhsa_exception_fp_ieee_inexact 0
		.amdhsa_exception_int_div_zero 0
	.end_amdhsa_kernel
	.section	.text._Z11qssa_kernelIfEvPT_S1_S1_,"axG",@progbits,_Z11qssa_kernelIfEvPT_S1_S1_,comdat
.Lfunc_end16:
	.size	_Z11qssa_kernelIfEvPT_S1_S1_, .Lfunc_end16-_Z11qssa_kernelIfEvPT_S1_S1_
                                        ; -- End function
	.set _Z11qssa_kernelIfEvPT_S1_S1_.num_vgpr, 109
	.set _Z11qssa_kernelIfEvPT_S1_S1_.num_agpr, 0
	.set _Z11qssa_kernelIfEvPT_S1_S1_.numbered_sgpr, 22
	.set _Z11qssa_kernelIfEvPT_S1_S1_.num_named_barrier, 0
	.set _Z11qssa_kernelIfEvPT_S1_S1_.private_seg_size, 0
	.set _Z11qssa_kernelIfEvPT_S1_S1_.uses_vcc, 1
	.set _Z11qssa_kernelIfEvPT_S1_S1_.uses_flat_scratch, 0
	.set _Z11qssa_kernelIfEvPT_S1_S1_.has_dyn_sized_stack, 0
	.set _Z11qssa_kernelIfEvPT_S1_S1_.has_recursion, 0
	.set _Z11qssa_kernelIfEvPT_S1_S1_.has_indirect_call, 0
	.section	.AMDGPU.csdata,"",@progbits
; Kernel info:
; codeLenInByte = 10760
; TotalNumSgprs: 28
; NumVgprs: 109
; NumAgprs: 0
; TotalNumVgprs: 109
; ScratchSize: 0
; MemoryBound: 0
; FloatMode: 240
; IeeeMode: 1
; LDSByteSize: 0 bytes/workgroup (compile time only)
; SGPRBlocks: 3
; VGPRBlocks: 13
; NumSGPRsForWavesPerEU: 28
; NumVGPRsForWavesPerEU: 109
; AccumOffset: 112
; Occupancy: 4
; WaveLimiterHint : 0
; COMPUTE_PGM_RSRC2:SCRATCH_EN: 0
; COMPUTE_PGM_RSRC2:USER_SGPR: 2
; COMPUTE_PGM_RSRC2:TRAP_HANDLER: 0
; COMPUTE_PGM_RSRC2:TGID_X_EN: 1
; COMPUTE_PGM_RSRC2:TGID_Y_EN: 0
; COMPUTE_PGM_RSRC2:TGID_Z_EN: 0
; COMPUTE_PGM_RSRC2:TIDIG_COMP_CNT: 0
; COMPUTE_PGM_RSRC3_GFX90A:ACCUM_OFFSET: 27
; COMPUTE_PGM_RSRC3_GFX90A:TG_SPLIT: 0
	.section	.text._Z12qssab_kernelIfEvPT_S1_S1_,"axG",@progbits,_Z12qssab_kernelIfEvPT_S1_S1_,comdat
	.protected	_Z12qssab_kernelIfEvPT_S1_S1_ ; -- Begin function _Z12qssab_kernelIfEvPT_S1_S1_
	.globl	_Z12qssab_kernelIfEvPT_S1_S1_
	.p2align	8
	.type	_Z12qssab_kernelIfEvPT_S1_S1_,@function
_Z12qssab_kernelIfEvPT_S1_S1_:          ; @_Z12qssab_kernelIfEvPT_S1_S1_
; %bb.0:
	s_load_dword s3, s[0:1], 0x24
	s_load_dword s6, s[0:1], 0x18
	s_load_dwordx2 s[4:5], s[0:1], 0x10
	v_mov_b32_e32 v17, 0
	s_waitcnt lgkmcnt(0)
	s_and_b32 s1, s3, 0xffff
	s_mul_i32 s0, s6, s1
	s_mul_i32 s3, s0, 0x57
	;; [unrolled: 1-line block ×3, first 2 shown]
	s_add_i32 s3, s3, s2
	v_add_u32_e32 v16, s3, v0
	v_mad_u64_u32 v[0:1], s[2:3], s0, 10, v[16:17]
	v_mov_b32_e32 v1, v17
	v_lshl_add_u64 v[2:3], v[0:1], 2, s[4:5]
	v_mad_u64_u32 v[0:1], s[2:3], s0, 12, v[0:1]
	v_lshl_add_u64 v[28:29], v[16:17], 2, s[4:5]
	v_mov_b32_e32 v1, v17
	v_lshl_add_u64 v[4:5], v[0:1], 2, s[4:5]
	global_load_dword v6, v[28:29], off
	global_load_dword v7, v[2:3], off
	;; [unrolled: 1-line block ×3, first 2 shown]
	v_lshl_add_u32 v16, s0, 3, v0
	v_lshl_add_u64 v[0:1], v[16:17], 2, s[4:5]
	s_mul_i32 s1, s0, 0xffffffe6
	v_add_u32_e32 v16, s1, v16
	v_lshl_add_u64 v[30:31], v[16:17], 2, s[4:5]
	v_subrev_u32_e32 v16, s0, v16
	v_lshl_add_u64 v[32:33], v[16:17], 2, s[4:5]
	s_mul_i32 s8, s0, 5
	s_mul_i32 s1, s0, 3
	;; [unrolled: 1-line block ×4, first 2 shown]
	s_waitcnt vmcnt(0)
	v_fmac_f32_e32 v6, v7, v8
	global_store_dword v[28:29], v6, off
	global_load_dword v4, v[2:3], off
	global_load_dword v5, v[0:1], off
	s_waitcnt vmcnt(0)
	v_fma_f32 v0, -v4, v5, 1.0
	v_div_scale_f32 v1, s[2:3], v0, v0, 1.0
	v_rcp_f32_e32 v2, v1
	v_div_scale_f32 v3, vcc, 1.0, v0, 1.0
	s_mul_i32 s3, s0, 0xffffffc6
	v_fma_f32 v4, -v1, v2, 1.0
	v_fmac_f32_e32 v2, v4, v2
	v_mul_f32_e32 v4, v3, v2
	v_fma_f32 v5, -v1, v4, v3
	v_fmac_f32_e32 v4, v5, v2
	v_fma_f32 v1, -v1, v4, v3
	v_div_fmas_f32 v1, v1, v2, v4
	v_div_fixup_f32 v8, v1, v0, 1.0
	v_mul_f32_e32 v0, v6, v8
	global_store_dword v[28:29], v0, off
	global_load_dword v0, v[30:31], off
	v_add_u32_e32 v16, s3, v16
	s_mul_i32 s2, s0, 0xffffffeb
	s_waitcnt vmcnt(0)
	v_mul_f32_e32 v0, v0, v8
	global_store_dword v[30:31], v0, off
	global_load_dword v9, v[32:33], off
	v_lshl_add_u64 v[0:1], v[16:17], 2, s[4:5]
	v_add_u32_e32 v16, s8, v16
	v_mad_u64_u32 v[4:5], s[6:7], s0, 17, v[16:17]
	v_mov_b32_e32 v5, v17
	v_lshl_add_u64 v[6:7], v[4:5], 2, s[4:5]
	v_lshl_add_u64 v[2:3], v[16:17], 2, s[4:5]
	v_add_u32_e32 v16, s1, v4
	s_waitcnt vmcnt(0)
	v_mul_f32_e32 v5, v8, v9
	global_store_dword v[32:33], v5, off
	global_load_dword v8, v[0:1], off
	global_load_dword v9, v[2:3], off
	;; [unrolled: 1-line block ×3, first 2 shown]
	v_lshl_add_u64 v[4:5], v[16:17], 2, s[4:5]
	v_add_u32_e32 v16, s2, v16
	s_lshl_b32 s2, s0, 1
	s_waitcnt vmcnt(0)
	v_fmac_f32_e32 v8, v9, v10
	global_store_dword v[0:1], v8, off
	global_load_dword v6, v[2:3], off
	global_load_dword v7, v[4:5], off
	v_lshl_add_u64 v[2:3], v[16:17], 2, s[4:5]
	v_subrev_u32_e32 v16, s2, v16
	s_waitcnt vmcnt(0)
	v_fma_f32 v4, -v6, v7, 1.0
	v_div_scale_f32 v5, s[6:7], v4, v4, 1.0
	v_rcp_f32_e32 v6, v5
	v_div_scale_f32 v7, vcc, 1.0, v4, 1.0
	v_fma_f32 v9, -v5, v6, 1.0
	v_fmac_f32_e32 v6, v9, v6
	v_mul_f32_e32 v9, v7, v6
	v_fma_f32 v10, -v5, v9, v7
	v_fmac_f32_e32 v9, v10, v6
	v_fma_f32 v5, -v5, v9, v7
	v_div_fmas_f32 v5, v5, v6, v9
	v_div_fixup_f32 v12, v5, v4, 1.0
	v_mul_f32_e32 v4, v8, v12
	global_store_dword v[0:1], v4, off
	global_load_dword v4, v[2:3], off
	v_lshl_add_u64 v[10:11], v[16:17], 2, s[4:5]
	v_subrev_u32_e32 v16, s0, v16
	v_lshl_add_u64 v[26:27], v[16:17], 2, s[4:5]
	v_add_u32_e32 v16, s9, v16
	v_lshl_add_u64 v[40:41], v[16:17], 2, s[4:5]
	v_subrev_u32_e32 v16, s2, v16
	v_lshl_add_u64 v[24:25], v[16:17], 2, s[4:5]
	v_add_u32_e32 v16, s8, v16
	s_waitcnt vmcnt(0)
	v_mul_f32_e32 v4, v4, v12
	global_store_dword v[2:3], v4, off
	global_load_dword v4, v[10:11], off
	s_waitcnt vmcnt(0)
	v_mul_f32_e32 v4, v12, v4
	global_store_dword v[10:11], v4, off
	global_load_dword v4, v[26:27], off
	;; [unrolled: 4-line block ×4, first 2 shown]
	v_lshl_add_u64 v[4:5], v[16:17], 2, s[4:5]
	v_add_u32_e32 v16, s12, v16
	v_mad_u64_u32 v[8:9], s[6:7], s0, 46, v[16:17]
	v_mov_b32_e32 v9, v17
	v_lshl_add_u64 v[14:15], v[8:9], 2, s[4:5]
	v_lshl_add_u64 v[6:7], v[16:17], 2, s[4:5]
	s_mul_i32 s6, s0, 0xffffffd0
	v_add_u32_e32 v16, s6, v8
	s_waitcnt vmcnt(0)
	v_mul_f32_e32 v9, v12, v13
	global_store_dword v[24:25], v9, off
	global_load_dword v20, v[4:5], off
	global_load_dword v21, v[6:7], off
	;; [unrolled: 1-line block ×3, first 2 shown]
	v_mad_u64_u32 v[12:13], s[6:7], s0, 55, v[16:17]
	v_lshl_add_u64 v[8:9], v[16:17], 2, s[4:5]
	v_mov_b32_e32 v13, v17
	v_lshl_add_u64 v[18:19], v[12:13], 2, s[4:5]
	s_mul_i32 s7, s0, -3
	v_add_u32_e32 v16, s7, v12
	s_mul_i32 s6, s0, 0xffffffc8
	s_waitcnt vmcnt(0)
	v_fmac_f32_e32 v20, v21, v22
	global_store_dword v[4:5], v20, off
	global_load_dword v13, v[8:9], off
	global_load_dword v22, v[18:19], off
	;; [unrolled: 1-line block ×3, first 2 shown]
	v_lshl_add_u64 v[20:21], v[16:17], 2, s[4:5]
	v_add_u32_e32 v16, s6, v16
	s_mul_i32 s6, s0, -5
	s_waitcnt vmcnt(0)
	v_fmac_f32_e32 v13, v23, v22
	global_store_dword v[8:9], v13, off
	global_load_dword v12, v[6:7], off
	s_nop 0
	global_load_dword v13, v[20:21], off
	global_load_dword v22, v[4:5], off
	v_lshl_add_u64 v[6:7], v[16:17], 2, s[4:5]
	v_subrev_u32_e32 v16, s0, v16
	s_waitcnt vmcnt(1)
	v_fma_f32 v12, -v12, v13, 1.0
	v_div_scale_f32 v13, s[10:11], v12, v12, 1.0
	v_rcp_f32_e32 v23, v13
	v_div_scale_f32 v34, vcc, 1.0, v12, 1.0
	v_fma_f32 v35, -v13, v23, 1.0
	v_fmac_f32_e32 v23, v35, v23
	v_mul_f32_e32 v35, v34, v23
	v_fma_f32 v36, -v13, v35, v34
	v_fmac_f32_e32 v35, v36, v23
	v_fma_f32 v13, -v13, v35, v34
	v_div_fmas_f32 v13, v13, v23, v35
	v_div_fixup_f32 v36, v13, v12, 1.0
	s_waitcnt vmcnt(0)
	v_mul_f32_e32 v12, v22, v36
	global_store_dword v[4:5], v12, off
	global_load_dword v12, v[6:7], off
	v_lshl_add_u64 v[22:23], v[16:17], 2, s[4:5]
	v_subrev_u32_e32 v16, s0, v16
	v_lshl_add_u64 v[44:45], v[16:17], 2, s[4:5]
	v_add_u32_e32 v16, s9, v16
	v_lshl_add_u64 v[48:49], v[16:17], 2, s[4:5]
	s_waitcnt vmcnt(0)
	v_mul_f32_e32 v12, v12, v36
	global_store_dword v[6:7], v12, off
	global_load_dword v12, v[8:9], off
	s_waitcnt vmcnt(0)
	v_mul_f32_e32 v12, v36, v12
	global_store_dword v[8:9], v12, off
	global_load_dword v12, v[22:23], off
	;; [unrolled: 4-line block ×4, first 2 shown]
	v_mad_u64_u32 v[12:13], s[10:11], s0, 25, v[16:17]
	v_mov_b32_e32 v13, v17
	v_add_u32_e32 v16, s12, v12
	v_lshl_add_u64 v[12:13], v[12:13], 2, s[4:5]
	v_lshl_add_u64 v[34:35], v[16:17], 2, s[4:5]
	v_add_u32_e32 v16, s6, v16
	s_waitcnt vmcnt(0)
	v_mul_f32_e32 v36, v36, v37
	global_store_dword v[48:49], v36, off
	global_load_dword v36, v[12:13], off
	s_nop 0
	global_load_dword v37, v[34:35], off
	global_load_dword v38, v[14:15], off
	v_lshl_add_u64 v[14:15], v[16:17], 2, s[4:5]
	v_subrev_u32_e32 v16, s2, v16
	s_waitcnt vmcnt(0)
	v_fmac_f32_e32 v36, v37, v38
	global_store_dword v[12:13], v36, off
	global_load_dword v36, v[14:15], off
	s_nop 0
	global_load_dword v37, v[34:35], off
	global_load_dword v38, v[20:21], off
	s_waitcnt vmcnt(0)
	v_fmac_f32_e32 v36, v37, v38
	global_store_dword v[14:15], v36, off
	global_load_dword v20, v[34:35], off
	global_load_dword v21, v[18:19], off
	s_nop 0
	global_load_dword v36, v[12:13], off
	s_waitcnt vmcnt(1)
	v_fma_f32 v18, -v20, v21, 1.0
	v_div_scale_f32 v19, s[10:11], v18, v18, 1.0
	v_rcp_f32_e32 v20, v19
	v_div_scale_f32 v21, vcc, 1.0, v18, 1.0
	v_fma_f32 v34, -v19, v20, 1.0
	v_fmac_f32_e32 v20, v34, v20
	v_mul_f32_e32 v34, v21, v20
	v_fma_f32 v35, -v19, v34, v21
	v_fmac_f32_e32 v34, v35, v20
	v_fma_f32 v19, -v19, v34, v21
	v_div_fmas_f32 v19, v19, v20, v34
	v_div_fixup_f32 v18, v19, v18, 1.0
	s_waitcnt vmcnt(0)
	v_mul_f32_e32 v19, v36, v18
	global_store_dword v[12:13], v19, off
	global_load_dword v19, v[14:15], off
	v_lshl_add_u64 v[20:21], v[16:17], 2, s[4:5]
	v_subrev_u32_e32 v16, s0, v16
	v_lshl_add_u64 v[42:43], v[16:17], 2, s[4:5]
	v_add_u32_e32 v16, s8, v16
	v_lshl_add_u64 v[34:35], v[16:17], 2, s[4:5]
	s_mul_i32 s8, s0, 0xffffffef
	v_add_u32_e32 v16, s8, v16
	v_lshl_add_u64 v[36:37], v[16:17], 2, s[4:5]
	v_add_u32_e32 v16, s9, v16
	v_lshl_add_u64 v[46:47], v[16:17], 2, s[4:5]
	s_mul_i32 s8, s0, 0xffffffdf
	v_add_u32_e32 v16, s8, v16
	s_waitcnt vmcnt(0)
	v_mul_f32_e32 v19, v19, v18
	global_store_dword v[14:15], v19, off
	global_load_dword v19, v[20:21], off
	s_waitcnt vmcnt(0)
	v_mul_f32_e32 v19, v18, v19
	global_store_dword v[20:21], v19, off
	global_load_dword v19, v[42:43], off
	;; [unrolled: 4-line block ×4, first 2 shown]
	s_nop 0
	global_load_dword v19, v[24:25], off
	global_load_dword v38, v[36:37], off
	s_waitcnt vmcnt(0)
	v_fmac_f32_e32 v18, v19, v38
	global_store_dword v[0:1], v18, off
	global_load_dword v52, v[24:25], off
	global_load_dword v53, v[46:47], off
	v_lshl_add_u64 v[18:19], v[16:17], 2, s[4:5]
	v_mad_u64_u32 v[38:39], s[8:9], s0, 28, v[16:17]
	v_mov_b32_e32 v39, v17
	v_lshl_add_u64 v[50:51], v[38:39], 2, s[4:5]
	s_waitcnt vmcnt(0)
	v_mul_f32_e32 v16, v52, v53
	global_store_dword v[18:19], v16, off
	global_load_dword v52, v[10:11], off
	global_load_dword v53, v[24:25], off
	;; [unrolled: 1-line block ×3, first 2 shown]
	v_add_u32_e32 v16, s0, v38
	v_lshl_add_u64 v[38:39], v[16:17], 2, s[4:5]
	s_waitcnt vmcnt(0)
	v_fmac_f32_e32 v52, v53, v54
	global_store_dword v[10:11], v52, off
	global_load_dword v52, v[24:25], off
	s_nop 0
	global_load_dword v53, v[38:39], off
	global_load_dword v54, v[0:1], off
	s_waitcnt vmcnt(1)
	v_fma_f32 v24, -v52, v53, 1.0
	v_div_scale_f32 v25, s[8:9], v24, v24, 1.0
	v_rcp_f32_e32 v52, v25
	v_div_scale_f32 v53, vcc, 1.0, v24, 1.0
	v_fma_f32 v55, -v25, v52, 1.0
	v_fmac_f32_e32 v52, v55, v52
	v_mul_f32_e32 v55, v53, v52
	v_fma_f32 v56, -v25, v55, v53
	v_fmac_f32_e32 v55, v56, v52
	v_fma_f32 v25, -v25, v55, v53
	v_div_fmas_f32 v25, v25, v52, v55
	v_div_fixup_f32 v24, v25, v24, 1.0
	s_waitcnt vmcnt(0)
	v_mul_f32_e32 v25, v54, v24
	global_store_dword v[0:1], v25, off
	global_load_dword v25, v[2:3], off
	s_waitcnt vmcnt(0)
	v_mul_f32_e32 v25, v25, v24
	global_store_dword v[2:3], v25, off
	global_load_dword v25, v[18:19], off
	;; [unrolled: 4-line block ×6, first 2 shown]
	s_nop 0
	global_load_dword v25, v[34:35], off
	global_load_dword v52, v[36:37], off
	s_waitcnt vmcnt(0)
	v_fmac_f32_e32 v24, v25, v52
	global_store_dword v[12:13], v24, off
	global_load_dword v54, v[34:35], off
	global_load_dword v55, v[38:39], off
	v_mad_u64_u32 v[52:53], s[8:9], s0, 11, v[16:17]
	v_mov_b32_e32 v53, v17
	v_lshl_add_u64 v[24:25], v[52:53], 2, s[4:5]
	s_waitcnt vmcnt(0)
	v_mul_f32_e32 v16, v54, v55
	global_store_dword v[24:25], v16, off
	global_load_dword v16, v[20:21], off
	s_nop 0
	global_load_dword v53, v[34:35], off
	global_load_dword v54, v[50:51], off
	s_waitcnt vmcnt(0)
	v_fmac_f32_e32 v16, v53, v54
	global_store_dword v[20:21], v16, off
	global_load_dword v16, v[34:35], off
	s_nop 0
	global_load_dword v53, v[46:47], off
	global_load_dword v54, v[12:13], off
	s_waitcnt vmcnt(1)
	v_fma_f32 v16, -v16, v53, 1.0
	v_div_scale_f32 v34, s[8:9], v16, v16, 1.0
	v_rcp_f32_e32 v35, v34
	v_div_scale_f32 v53, vcc, 1.0, v16, 1.0
	v_fma_f32 v55, -v34, v35, 1.0
	v_fmac_f32_e32 v35, v55, v35
	v_mul_f32_e32 v55, v53, v35
	v_fma_f32 v56, -v34, v55, v53
	v_fmac_f32_e32 v55, v56, v35
	v_fma_f32 v34, -v34, v55, v53
	v_div_fmas_f32 v34, v34, v35, v55
	v_div_fixup_f32 v56, v34, v16, 1.0
	s_waitcnt vmcnt(0)
	v_mul_f32_e32 v16, v54, v56
	global_store_dword v[12:13], v16, off
	global_load_dword v16, v[14:15], off
	s_waitcnt vmcnt(0)
	v_mul_f32_e32 v16, v16, v56
	global_store_dword v[14:15], v16, off
	global_load_dword v16, v[24:25], off
	;; [unrolled: 4-line block ×4, first 2 shown]
	v_add_u32_e32 v16, s3, v52
	v_lshl_add_u64 v[34:35], v[16:17], 2, s[4:5]
	v_mad_u64_u32 v[52:53], s[8:9], s0, 6, v[16:17]
	v_mov_b32_e32 v53, v17
	v_lshl_add_u64 v[54:55], v[52:53], 2, s[4:5]
	s_lshl_b32 s3, s0, 2
	s_waitcnt vmcnt(0)
	v_mul_f32_e32 v16, v56, v57
	global_store_dword v[42:43], v16, off
	global_load_dword v53, v[34:35], off
	global_load_dword v56, v[54:55], off
	;; [unrolled: 1-line block ×3, first 2 shown]
	v_add_u32_e32 v16, s7, v52
	v_lshl_add_u64 v[36:37], v[16:17], 2, s[4:5]
	v_add_u32_e32 v16, s3, v16
	s_waitcnt vmcnt(0)
	v_fmac_f32_e32 v53, v56, v57
	global_store_dword v[34:35], v53, off
	global_load_dword v52, v[36:37], off
	s_nop 0
	global_load_dword v53, v[54:55], off
	global_load_dword v56, v[38:39], off
	v_lshl_add_u64 v[38:39], v[16:17], 2, s[4:5]
	v_add_u32_e32 v16, s7, v16
	s_waitcnt vmcnt(0)
	v_fmac_f32_e32 v52, v53, v56
	global_store_dword v[36:37], v52, off
	global_load_dword v52, v[38:39], off
	s_nop 0
	global_load_dword v53, v[54:55], off
	global_load_dword v56, v[46:47], off
	s_waitcnt vmcnt(0)
	v_fmac_f32_e32 v52, v53, v56
	global_store_dword v[38:39], v52, off
	global_load_dword v46, v[54:55], off
	global_load_dword v47, v[50:51], off
	s_nop 0
	global_load_dword v52, v[34:35], off
	s_waitcnt vmcnt(1)
	v_fma_f32 v50, -v46, v47, 1.0
	v_div_scale_f32 v51, s[8:9], v50, v50, 1.0
	v_rcp_f32_e32 v53, v51
	v_div_scale_f32 v54, vcc, 1.0, v50, 1.0
	v_lshl_add_u64 v[46:47], v[16:17], 2, s[4:5]
	v_fma_f32 v55, -v51, v53, 1.0
	v_fmac_f32_e32 v53, v55, v53
	v_mul_f32_e32 v55, v54, v53
	v_fma_f32 v56, -v51, v55, v54
	v_fmac_f32_e32 v55, v56, v53
	v_fma_f32 v51, -v51, v55, v54
	v_div_fmas_f32 v51, v51, v53, v55
	v_div_fixup_f32 v53, v51, v50, 1.0
	s_waitcnt vmcnt(0)
	v_mul_f32_e32 v50, v52, v53
	global_store_dword v[34:35], v50, off
	global_load_dword v50, v[46:47], off
	v_add_u32_e32 v16, s7, v16
	s_waitcnt vmcnt(0)
	v_mul_f32_e32 v50, v50, v53
	global_store_dword v[46:47], v50, off
	global_load_dword v50, v[36:37], off
	s_waitcnt vmcnt(0)
	v_mul_f32_e32 v50, v53, v50
	global_store_dword v[36:37], v50, off
	global_load_dword v52, v[38:39], off
	v_lshl_add_u64 v[50:51], v[16:17], 2, s[4:5]
	s_waitcnt vmcnt(0)
	v_mul_f32_e32 v52, v53, v52
	global_store_dword v[38:39], v52, off
	global_load_dword v52, v[50:51], off
	s_waitcnt vmcnt(0)
	v_mul_f32_e32 v52, v53, v52
	global_store_dword v[50:51], v52, off
	global_load_dword v52, v[4:5], off
	s_nop 0
	global_load_dword v53, v[48:49], off
	global_load_dword v54, v[28:29], off
	s_waitcnt vmcnt(0)
	v_fmac_f32_e32 v52, v53, v54
	global_store_dword v[4:5], v52, off
	global_load_dword v52, v[6:7], off
	s_nop 0
	global_load_dword v53, v[48:49], off
	global_load_dword v54, v[32:33], off
	s_waitcnt vmcnt(0)
	v_fmac_f32_e32 v52, v53, v54
	global_store_dword v[6:7], v52, off
	global_load_dword v52, v[48:49], off
	s_nop 0
	global_load_dword v53, v[30:31], off
	global_load_dword v54, v[4:5], off
	s_waitcnt vmcnt(1)
	v_fma_f32 v48, -v52, v53, 1.0
	v_div_scale_f32 v49, s[8:9], v48, v48, 1.0
	v_rcp_f32_e32 v52, v49
	v_div_scale_f32 v53, vcc, 1.0, v48, 1.0
	v_fma_f32 v55, -v49, v52, 1.0
	v_fmac_f32_e32 v52, v55, v52
	v_mul_f32_e32 v55, v53, v52
	v_fma_f32 v56, -v49, v55, v53
	v_fmac_f32_e32 v55, v56, v52
	v_fma_f32 v49, -v49, v55, v53
	v_div_fmas_f32 v49, v49, v52, v55
	v_div_fixup_f32 v48, v49, v48, 1.0
	s_waitcnt vmcnt(0)
	v_mul_f32_e32 v49, v54, v48
	global_store_dword v[4:5], v49, off
	global_load_dword v49, v[6:7], off
	s_waitcnt vmcnt(0)
	v_mul_f32_e32 v49, v49, v48
	global_store_dword v[6:7], v49, off
	global_load_dword v49, v[8:9], off
	;; [unrolled: 4-line block ×5, first 2 shown]
	s_nop 0
	global_load_dword v49, v[40:41], off
	global_load_dword v52, v[28:29], off
	s_waitcnt vmcnt(0)
	v_fmac_f32_e32 v48, v49, v52
	global_store_dword v[0:1], v48, off
	global_load_dword v28, v[2:3], off
	global_load_dword v29, v[40:41], off
	s_nop 0
	global_load_dword v48, v[30:31], off
	s_waitcnt vmcnt(0)
	v_fmac_f32_e32 v28, v29, v48
	global_store_dword v[2:3], v28, off
	global_load_dword v28, v[40:41], off
	s_nop 0
	global_load_dword v29, v[32:33], off
	global_load_dword v30, v[0:1], off
	s_waitcnt vmcnt(1)
	v_fma_f32 v28, -v28, v29, 1.0
	v_div_scale_f32 v29, s[8:9], v28, v28, 1.0
	v_rcp_f32_e32 v31, v29
	v_div_scale_f32 v32, vcc, 1.0, v28, 1.0
	v_fma_f32 v33, -v29, v31, 1.0
	v_fmac_f32_e32 v31, v33, v31
	v_mul_f32_e32 v33, v32, v31
	v_fma_f32 v40, -v29, v33, v32
	v_fmac_f32_e32 v33, v40, v31
	v_fma_f32 v29, -v29, v33, v32
	v_div_fmas_f32 v29, v29, v31, v33
	v_div_fixup_f32 v32, v29, v28, 1.0
	s_waitcnt vmcnt(0)
	v_mul_f32_e32 v28, v30, v32
	global_store_dword v[0:1], v28, off
	global_load_dword v28, v[2:3], off
	v_mad_u64_u32 v[30:31], s[8:9], s0, -12, v[16:17]
	v_mov_b32_e32 v31, v17
	s_waitcnt vmcnt(0)
	v_mul_f32_e32 v28, v28, v32
	global_store_dword v[2:3], v28, off
	global_load_dword v28, v[18:19], off
	s_waitcnt vmcnt(0)
	v_mul_f32_e32 v28, v32, v28
	global_store_dword v[18:19], v28, off
	global_load_dword v28, v[10:11], off
	;; [unrolled: 4-line block ×3, first 2 shown]
	v_lshl_add_u64 v[28:29], v[30:31], 2, s[4:5]
	s_waitcnt vmcnt(0)
	v_mul_f32_e32 v16, v32, v33
	global_store_dword v[26:27], v16, off
	global_load_dword v32, v[4:5], off
	global_load_dword v33, v[44:45], off
	;; [unrolled: 1-line block ×3, first 2 shown]
	v_add_u32_e32 v16, s1, v30
	v_lshl_add_u64 v[30:31], v[16:17], 2, s[4:5]
	v_add_u32_e32 v16, s3, v16
	s_waitcnt vmcnt(0)
	v_fmac_f32_e32 v32, v33, v40
	global_store_dword v[4:5], v32, off
	global_load_dword v40, v[6:7], off
	global_load_dword v41, v[44:45], off
	global_load_dword v48, v[30:31], off
	v_lshl_add_u64 v[32:33], v[16:17], 2, s[4:5]
	v_add_u32_e32 v16, s6, v16
	s_waitcnt vmcnt(0)
	v_fmac_f32_e32 v40, v41, v48
	global_store_dword v[6:7], v40, off
	global_load_dword v48, v[8:9], off
	global_load_dword v49, v[44:45], off
	;; [unrolled: 1-line block ×3, first 2 shown]
	v_lshl_add_u64 v[40:41], v[16:17], 2, s[4:5]
	v_add_u32_e32 v16, s2, v16
	v_lshl_add_u64 v[16:17], v[16:17], 2, s[4:5]
	s_waitcnt vmcnt(0)
	v_fmac_f32_e32 v48, v49, v52
	global_store_dword v[8:9], v48, off
	global_load_dword v48, v[22:23], off
	s_nop 0
	global_load_dword v49, v[44:45], off
	global_load_dword v52, v[40:41], off
	s_waitcnt vmcnt(0)
	v_fmac_f32_e32 v48, v49, v52
	global_store_dword v[22:23], v48, off
	global_load_dword v48, v[44:45], off
	s_nop 0
	global_load_dword v49, v[16:17], off
	global_load_dword v52, v[4:5], off
	s_waitcnt vmcnt(1)
	v_fma_f32 v44, -v48, v49, 1.0
	v_div_scale_f32 v45, s[0:1], v44, v44, 1.0
	v_rcp_f32_e32 v48, v45
	v_div_scale_f32 v49, vcc, 1.0, v44, 1.0
	v_fma_f32 v53, -v45, v48, 1.0
	v_fmac_f32_e32 v48, v53, v48
	v_mul_f32_e32 v53, v49, v48
	v_fma_f32 v54, -v45, v53, v49
	v_fmac_f32_e32 v53, v54, v48
	v_fma_f32 v45, -v45, v53, v49
	v_div_fmas_f32 v45, v45, v48, v53
	v_div_fixup_f32 v44, v45, v44, 1.0
	s_waitcnt vmcnt(0)
	v_mul_f32_e32 v45, v52, v44
	global_store_dword v[4:5], v45, off
	global_load_dword v45, v[6:7], off
	s_waitcnt vmcnt(0)
	v_mul_f32_e32 v45, v45, v44
	global_store_dword v[6:7], v45, off
	global_load_dword v45, v[8:9], off
	;; [unrolled: 4-line block ×4, first 2 shown]
	s_nop 0
	global_load_dword v45, v[26:27], off
	global_load_dword v48, v[28:29], off
	s_waitcnt vmcnt(0)
	v_fmac_f32_e32 v44, v45, v48
	global_store_dword v[0:1], v44, off
	global_load_dword v44, v[2:3], off
	s_nop 0
	global_load_dword v45, v[26:27], off
	global_load_dword v48, v[16:17], off
	s_waitcnt vmcnt(0)
	v_fmac_f32_e32 v44, v45, v48
	global_store_dword v[2:3], v44, off
	global_load_dword v44, v[18:19], off
	;; [unrolled: 7-line block ×4, first 2 shown]
	s_nop 0
	global_load_dword v45, v[30:31], off
	global_load_dword v48, v[0:1], off
	s_waitcnt vmcnt(1)
	v_fma_f32 v26, -v44, v45, 1.0
	v_div_scale_f32 v27, s[0:1], v26, v26, 1.0
	v_rcp_f32_e32 v44, v27
	v_div_scale_f32 v45, vcc, 1.0, v26, 1.0
	v_fma_f32 v49, -v27, v44, 1.0
	v_fmac_f32_e32 v44, v49, v44
	v_mul_f32_e32 v49, v45, v44
	v_fma_f32 v52, -v27, v49, v45
	v_fmac_f32_e32 v49, v52, v44
	v_fma_f32 v27, -v27, v49, v45
	v_div_fmas_f32 v27, v27, v44, v49
	v_div_fixup_f32 v26, v27, v26, 1.0
	s_waitcnt vmcnt(0)
	v_mul_f32_e32 v27, v48, v26
	global_store_dword v[0:1], v27, off
	global_load_dword v27, v[2:3], off
	s_waitcnt vmcnt(0)
	v_mul_f32_e32 v27, v27, v26
	global_store_dword v[2:3], v27, off
	global_load_dword v27, v[18:19], off
	;; [unrolled: 4-line block ×4, first 2 shown]
	s_nop 0
	global_load_dword v27, v[42:43], off
	global_load_dword v44, v[28:29], off
	s_waitcnt vmcnt(0)
	v_fmac_f32_e32 v26, v27, v44
	global_store_dword v[12:13], v26, off
	global_load_dword v26, v[14:15], off
	s_nop 0
	global_load_dword v27, v[42:43], off
	global_load_dword v44, v[16:17], off
	s_waitcnt vmcnt(0)
	v_fmac_f32_e32 v26, v27, v44
	global_store_dword v[14:15], v26, off
	global_load_dword v26, v[24:25], off
	;; [unrolled: 7-line block ×4, first 2 shown]
	s_nop 0
	global_load_dword v27, v[32:33], off
	global_load_dword v44, v[12:13], off
	s_waitcnt vmcnt(1)
	v_fma_f32 v26, -v26, v27, 1.0
	v_div_scale_f32 v27, s[0:1], v26, v26, 1.0
	v_rcp_f32_e32 v42, v27
	v_div_scale_f32 v43, vcc, 1.0, v26, 1.0
	v_fma_f32 v45, -v27, v42, 1.0
	v_fmac_f32_e32 v42, v45, v42
	v_mul_f32_e32 v45, v43, v42
	v_fma_f32 v48, -v27, v45, v43
	v_fmac_f32_e32 v45, v48, v42
	v_fma_f32 v27, -v27, v45, v43
	v_div_fmas_f32 v27, v27, v42, v45
	v_div_fixup_f32 v26, v27, v26, 1.0
	s_waitcnt vmcnt(0)
	v_mul_f32_e32 v27, v44, v26
	global_store_dword v[12:13], v27, off
	global_load_dword v27, v[14:15], off
	s_waitcnt vmcnt(0)
	v_mul_f32_e32 v27, v27, v26
	global_store_dword v[14:15], v27, off
	global_load_dword v27, v[24:25], off
	;; [unrolled: 4-line block ×4, first 2 shown]
	s_nop 0
	global_load_dword v27, v[50:51], off
	global_load_dword v42, v[28:29], off
	s_waitcnt vmcnt(0)
	v_fmac_f32_e32 v26, v27, v42
	global_store_dword v[34:35], v26, off
	global_load_dword v26, v[46:47], off
	s_nop 0
	global_load_dword v27, v[50:51], off
	global_load_dword v28, v[16:17], off
	s_waitcnt vmcnt(0)
	v_fmac_f32_e32 v26, v27, v28
	global_store_dword v[46:47], v26, off
	global_load_dword v16, v[36:37], off
	global_load_dword v17, v[50:51], off
	s_nop 0
	global_load_dword v26, v[30:31], off
	s_waitcnt vmcnt(0)
	v_fmac_f32_e32 v16, v17, v26
	global_store_dword v[36:37], v16, off
	global_load_dword v16, v[38:39], off
	s_nop 0
	global_load_dword v17, v[50:51], off
	global_load_dword v26, v[32:33], off
	s_waitcnt vmcnt(0)
	v_fmac_f32_e32 v16, v17, v26
	global_store_dword v[38:39], v16, off
	global_load_dword v16, v[50:51], off
	s_nop 0
	global_load_dword v17, v[40:41], off
	global_load_dword v26, v[34:35], off
	s_waitcnt vmcnt(1)
	v_fma_f32 v16, -v16, v17, 1.0
	v_div_scale_f32 v17, s[0:1], v16, v16, 1.0
	v_rcp_f32_e32 v27, v17
	v_div_scale_f32 v28, vcc, 1.0, v16, 1.0
	v_fma_f32 v29, -v17, v27, 1.0
	v_fmac_f32_e32 v27, v29, v27
	v_mul_f32_e32 v29, v28, v27
	v_fma_f32 v30, -v17, v29, v28
	v_fmac_f32_e32 v29, v30, v27
	v_fma_f32 v17, -v17, v29, v28
	v_div_fmas_f32 v17, v17, v27, v29
	v_div_fixup_f32 v16, v17, v16, 1.0
	s_waitcnt vmcnt(0)
	v_mul_f32_e32 v17, v26, v16
	global_store_dword v[34:35], v17, off
	global_load_dword v17, v[46:47], off
	s_waitcnt vmcnt(0)
	v_mul_f32_e32 v17, v17, v16
	global_store_dword v[46:47], v17, off
	global_load_dword v17, v[36:37], off
	;; [unrolled: 4-line block ×4, first 2 shown]
	s_nop 0
	global_load_dword v17, v[22:23], off
	global_load_dword v26, v[34:35], off
	s_waitcnt vmcnt(0)
	v_fmac_f32_e32 v16, v17, v26
	global_store_dword v[4:5], v16, off
	global_load_dword v16, v[6:7], off
	s_nop 0
	global_load_dword v17, v[22:23], off
	global_load_dword v26, v[36:37], off
	s_waitcnt vmcnt(0)
	v_fmac_f32_e32 v16, v17, v26
	global_store_dword v[6:7], v16, off
	global_load_dword v16, v[8:9], off
	s_nop 0
	global_load_dword v17, v[22:23], off
	global_load_dword v26, v[38:39], off
	s_waitcnt vmcnt(0)
	v_fmac_f32_e32 v16, v17, v26
	global_store_dword v[8:9], v16, off
	global_load_dword v16, v[22:23], off
	s_nop 0
	global_load_dword v17, v[46:47], off
	global_load_dword v26, v[4:5], off
	s_waitcnt vmcnt(1)
	v_fma_f32 v16, -v16, v17, 1.0
	v_div_scale_f32 v17, s[0:1], v16, v16, 1.0
	v_rcp_f32_e32 v22, v17
	v_div_scale_f32 v23, vcc, 1.0, v16, 1.0
	v_fma_f32 v27, -v17, v22, 1.0
	v_fmac_f32_e32 v22, v27, v22
	v_mul_f32_e32 v27, v23, v22
	v_fma_f32 v28, -v17, v27, v23
	v_fmac_f32_e32 v27, v28, v22
	v_fma_f32 v17, -v17, v27, v23
	v_div_fmas_f32 v17, v17, v22, v27
	v_div_fixup_f32 v16, v17, v16, 1.0
	s_waitcnt vmcnt(0)
	v_mul_f32_e32 v17, v26, v16
	global_store_dword v[4:5], v17, off
	global_load_dword v17, v[6:7], off
	s_waitcnt vmcnt(0)
	v_mul_f32_e32 v17, v17, v16
	global_store_dword v[6:7], v17, off
	global_load_dword v17, v[8:9], off
	s_waitcnt vmcnt(0)
	v_mul_f32_e32 v16, v16, v17
	global_store_dword v[8:9], v16, off
	global_load_dword v16, v[0:1], off
	s_nop 0
	global_load_dword v17, v[10:11], off
	global_load_dword v22, v[34:35], off
	s_waitcnt vmcnt(0)
	v_fmac_f32_e32 v16, v17, v22
	global_store_dword v[0:1], v16, off
	global_load_dword v16, v[2:3], off
	s_nop 0
	global_load_dword v17, v[10:11], off
	global_load_dword v22, v[46:47], off
	s_waitcnt vmcnt(0)
	v_fmac_f32_e32 v16, v17, v22
	global_store_dword v[2:3], v16, off
	global_load_dword v16, v[18:19], off
	s_nop 0
	global_load_dword v17, v[38:39], off
	global_load_dword v22, v[10:11], off
	s_waitcnt vmcnt(0)
	v_fmac_f32_e32 v16, v22, v17
	global_store_dword v[18:19], v16, off
	global_load_dword v16, v[10:11], off
	s_nop 0
	global_load_dword v17, v[36:37], off
	global_load_dword v22, v[0:1], off
	s_waitcnt vmcnt(1)
	v_fma_f32 v10, -v16, v17, 1.0
	v_div_scale_f32 v11, s[0:1], v10, v10, 1.0
	v_rcp_f32_e32 v16, v11
	v_div_scale_f32 v17, vcc, 1.0, v10, 1.0
	v_fma_f32 v23, -v11, v16, 1.0
	v_fmac_f32_e32 v16, v23, v16
	v_mul_f32_e32 v23, v17, v16
	v_fma_f32 v26, -v11, v23, v17
	v_fmac_f32_e32 v23, v26, v16
	v_fma_f32 v11, -v11, v23, v17
	v_div_fmas_f32 v11, v11, v16, v23
	v_div_fixup_f32 v10, v11, v10, 1.0
	s_waitcnt vmcnt(0)
	v_mul_f32_e32 v11, v22, v10
	global_store_dword v[0:1], v11, off
	global_load_dword v11, v[2:3], off
	s_waitcnt vmcnt(0)
	v_mul_f32_e32 v11, v11, v10
	global_store_dword v[2:3], v11, off
	global_load_dword v11, v[18:19], off
	s_waitcnt vmcnt(0)
	v_mul_f32_e32 v10, v10, v11
	global_store_dword v[18:19], v10, off
	global_load_dword v10, v[12:13], off
	;; [unrolled: 49-line block ×3, first 2 shown]
	s_nop 0
	global_load_dword v11, v[8:9], off
	global_load_dword v16, v[12:13], off
	s_waitcnt vmcnt(0)
	v_fmac_f32_e32 v10, v11, v16
	global_store_dword v[4:5], v10, off
	global_load_dword v10, v[6:7], off
	s_nop 0
	global_load_dword v11, v[24:25], off
	global_load_dword v16, v[8:9], off
	s_waitcnt vmcnt(0)
	v_fmac_f32_e32 v10, v16, v11
	global_store_dword v[6:7], v10, off
	global_load_dword v10, v[8:9], off
	s_nop 0
	global_load_dword v11, v[14:15], off
	global_load_dword v16, v[4:5], off
	s_waitcnt vmcnt(1)
	v_fma_f32 v8, -v10, v11, 1.0
	v_div_scale_f32 v9, s[0:1], v8, v8, 1.0
	v_rcp_f32_e32 v10, v9
	v_div_scale_f32 v11, vcc, 1.0, v8, 1.0
	v_fma_f32 v17, -v9, v10, 1.0
	v_fmac_f32_e32 v10, v17, v10
	v_mul_f32_e32 v17, v11, v10
	v_fma_f32 v20, -v9, v17, v11
	v_fmac_f32_e32 v17, v20, v10
	v_fma_f32 v9, -v9, v17, v11
	v_div_fmas_f32 v9, v9, v10, v17
	v_div_fixup_f32 v8, v9, v8, 1.0
	s_waitcnt vmcnt(0)
	v_mul_f32_e32 v9, v16, v8
	global_store_dword v[4:5], v9, off
	global_load_dword v9, v[6:7], off
	s_waitcnt vmcnt(0)
	v_mul_f32_e32 v8, v9, v8
	global_store_dword v[6:7], v8, off
	global_load_dword v8, v[0:1], off
	s_nop 0
	global_load_dword v9, v[18:19], off
	global_load_dword v10, v[12:13], off
	s_waitcnt vmcnt(0)
	v_fmac_f32_e32 v8, v9, v10
	global_store_dword v[0:1], v8, off
	global_load_dword v8, v[2:3], off
	s_nop 0
	global_load_dword v9, v[18:19], off
	global_load_dword v10, v[14:15], off
	s_waitcnt vmcnt(0)
	v_fmac_f32_e32 v8, v9, v10
	global_store_dword v[2:3], v8, off
	global_load_dword v8, v[18:19], off
	s_nop 0
	global_load_dword v9, v[24:25], off
	global_load_dword v10, v[0:1], off
	s_waitcnt vmcnt(1)
	v_fma_f32 v8, -v8, v9, 1.0
	v_div_scale_f32 v9, s[0:1], v8, v8, 1.0
	v_rcp_f32_e32 v11, v9
	v_div_scale_f32 v12, vcc, 1.0, v8, 1.0
	v_fma_f32 v13, -v9, v11, 1.0
	v_fmac_f32_e32 v11, v13, v11
	v_mul_f32_e32 v13, v12, v11
	v_fma_f32 v14, -v9, v13, v12
	v_fmac_f32_e32 v13, v14, v11
	v_fma_f32 v9, -v9, v13, v12
	v_div_fmas_f32 v9, v9, v11, v13
	v_div_fixup_f32 v8, v9, v8, 1.0
	s_waitcnt vmcnt(0)
	v_mul_f32_e32 v9, v10, v8
	global_store_dword v[0:1], v9, off
	global_load_dword v9, v[2:3], off
	s_waitcnt vmcnt(0)
	v_mul_f32_e32 v8, v9, v8
	global_store_dword v[2:3], v8, off
	global_load_dword v8, v[4:5], off
	s_nop 0
	global_load_dword v9, v[6:7], off
	global_load_dword v10, v[0:1], off
	s_waitcnt vmcnt(0)
	v_fmac_f32_e32 v8, v9, v10
	global_store_dword v[4:5], v8, off
	global_load_dword v0, v[6:7], off
	global_load_dword v1, v[2:3], off
	s_waitcnt vmcnt(0)
	v_fma_f32 v0, -v0, v1, 1.0
	v_div_scale_f32 v1, s[0:1], v0, v0, 1.0
	v_rcp_f32_e32 v2, v1
	v_div_scale_f32 v3, vcc, 1.0, v0, 1.0
	v_fma_f32 v6, -v1, v2, 1.0
	v_fmac_f32_e32 v2, v6, v2
	v_mul_f32_e32 v6, v3, v2
	v_fma_f32 v7, -v1, v6, v3
	v_fmac_f32_e32 v6, v7, v2
	v_fma_f32 v1, -v1, v6, v3
	v_div_fmas_f32 v1, v1, v2, v6
	v_div_fixup_f32 v0, v1, v0, 1.0
	v_mul_f32_e32 v0, v8, v0
	global_store_dword v[4:5], v0, off
	s_endpgm
	.section	.rodata,"a",@progbits
	.p2align	6, 0x0
	.amdhsa_kernel _Z12qssab_kernelIfEvPT_S1_S1_
		.amdhsa_group_segment_fixed_size 0
		.amdhsa_private_segment_fixed_size 0
		.amdhsa_kernarg_size 280
		.amdhsa_user_sgpr_count 2
		.amdhsa_user_sgpr_dispatch_ptr 0
		.amdhsa_user_sgpr_queue_ptr 0
		.amdhsa_user_sgpr_kernarg_segment_ptr 1
		.amdhsa_user_sgpr_dispatch_id 0
		.amdhsa_user_sgpr_kernarg_preload_length 0
		.amdhsa_user_sgpr_kernarg_preload_offset 0
		.amdhsa_user_sgpr_private_segment_size 0
		.amdhsa_uses_dynamic_stack 0
		.amdhsa_enable_private_segment 0
		.amdhsa_system_sgpr_workgroup_id_x 1
		.amdhsa_system_sgpr_workgroup_id_y 0
		.amdhsa_system_sgpr_workgroup_id_z 0
		.amdhsa_system_sgpr_workgroup_info 0
		.amdhsa_system_vgpr_workitem_id 0
		.amdhsa_next_free_vgpr 58
		.amdhsa_next_free_sgpr 13
		.amdhsa_accum_offset 60
		.amdhsa_reserve_vcc 1
		.amdhsa_float_round_mode_32 0
		.amdhsa_float_round_mode_16_64 0
		.amdhsa_float_denorm_mode_32 3
		.amdhsa_float_denorm_mode_16_64 3
		.amdhsa_dx10_clamp 1
		.amdhsa_ieee_mode 1
		.amdhsa_fp16_overflow 0
		.amdhsa_tg_split 0
		.amdhsa_exception_fp_ieee_invalid_op 0
		.amdhsa_exception_fp_denorm_src 0
		.amdhsa_exception_fp_ieee_div_zero 0
		.amdhsa_exception_fp_ieee_overflow 0
		.amdhsa_exception_fp_ieee_underflow 0
		.amdhsa_exception_fp_ieee_inexact 0
		.amdhsa_exception_int_div_zero 0
	.end_amdhsa_kernel
	.section	.text._Z12qssab_kernelIfEvPT_S1_S1_,"axG",@progbits,_Z12qssab_kernelIfEvPT_S1_S1_,comdat
.Lfunc_end17:
	.size	_Z12qssab_kernelIfEvPT_S1_S1_, .Lfunc_end17-_Z12qssab_kernelIfEvPT_S1_S1_
                                        ; -- End function
	.set _Z12qssab_kernelIfEvPT_S1_S1_.num_vgpr, 58
	.set _Z12qssab_kernelIfEvPT_S1_S1_.num_agpr, 0
	.set _Z12qssab_kernelIfEvPT_S1_S1_.numbered_sgpr, 13
	.set _Z12qssab_kernelIfEvPT_S1_S1_.num_named_barrier, 0
	.set _Z12qssab_kernelIfEvPT_S1_S1_.private_seg_size, 0
	.set _Z12qssab_kernelIfEvPT_S1_S1_.uses_vcc, 1
	.set _Z12qssab_kernelIfEvPT_S1_S1_.uses_flat_scratch, 0
	.set _Z12qssab_kernelIfEvPT_S1_S1_.has_dyn_sized_stack, 0
	.set _Z12qssab_kernelIfEvPT_S1_S1_.has_recursion, 0
	.set _Z12qssab_kernelIfEvPT_S1_S1_.has_indirect_call, 0
	.section	.AMDGPU.csdata,"",@progbits
; Kernel info:
; codeLenInByte = 6660
; TotalNumSgprs: 19
; NumVgprs: 58
; NumAgprs: 0
; TotalNumVgprs: 58
; ScratchSize: 0
; MemoryBound: 1
; FloatMode: 240
; IeeeMode: 1
; LDSByteSize: 0 bytes/workgroup (compile time only)
; SGPRBlocks: 2
; VGPRBlocks: 7
; NumSGPRsForWavesPerEU: 19
; NumVGPRsForWavesPerEU: 58
; AccumOffset: 60
; Occupancy: 8
; WaveLimiterHint : 1
; COMPUTE_PGM_RSRC2:SCRATCH_EN: 0
; COMPUTE_PGM_RSRC2:USER_SGPR: 2
; COMPUTE_PGM_RSRC2:TRAP_HANDLER: 0
; COMPUTE_PGM_RSRC2:TGID_X_EN: 1
; COMPUTE_PGM_RSRC2:TGID_Y_EN: 0
; COMPUTE_PGM_RSRC2:TGID_Z_EN: 0
; COMPUTE_PGM_RSRC2:TIDIG_COMP_CNT: 0
; COMPUTE_PGM_RSRC3_GFX90A:ACCUM_OFFSET: 14
; COMPUTE_PGM_RSRC3_GFX90A:TG_SPLIT: 0
	.section	.text._Z12qssa2_kernelIfEvPT_S1_PKS0_,"axG",@progbits,_Z12qssa2_kernelIfEvPT_S1_PKS0_,comdat
	.protected	_Z12qssa2_kernelIfEvPT_S1_PKS0_ ; -- Begin function _Z12qssa2_kernelIfEvPT_S1_PKS0_
	.globl	_Z12qssa2_kernelIfEvPT_S1_PKS0_
	.p2align	8
	.type	_Z12qssa2_kernelIfEvPT_S1_PKS0_,@function
_Z12qssa2_kernelIfEvPT_S1_PKS0_:        ; @_Z12qssa2_kernelIfEvPT_S1_PKS0_
; %bb.0:
	s_load_dword s3, s[0:1], 0x24
	s_load_dword s10, s[0:1], 0x18
	s_load_dwordx4 s[4:7], s[0:1], 0x0
	s_load_dwordx2 s[8:9], s[0:1], 0x10
	v_mov_b32_e32 v1, 0
	s_waitcnt lgkmcnt(0)
	s_and_b32 s1, s3, 0xffff
	s_mul_i32 s0, s10, s1
	s_mul_i32 s3, s0, 43
	;; [unrolled: 1-line block ×3, first 2 shown]
	s_add_i32 s3, s3, s2
	v_add_u32_e32 v0, s3, v0
	v_mad_u64_u32 v[4:5], s[2:3], s0, -11, v[0:1]
	s_lshl_b32 s2, s0, 2
	v_lshlrev_b64 v[36:37], 2, v[0:1]
	v_mov_b32_e32 v5, v1
	v_add_u32_e32 v0, s2, v4
	v_lshl_add_u64 v[8:9], v[4:5], 2, s[8:9]
	v_mad_u64_u32 v[4:5], s[10:11], s0, 40, v[0:1]
	v_lshlrev_b64 v[38:39], 2, v[0:1]
	v_mov_b32_e32 v5, v1
	v_add_u32_e32 v0, s2, v4
	v_lshlrev_b64 v[22:23], 2, v[4:5]
	v_lshlrev_b64 v[4:5], 2, v[0:1]
	v_subrev_u32_e32 v0, s0, v0
	s_mul_i32 s1, s0, 0xffffffc6
	v_lshlrev_b64 v[6:7], 2, v[0:1]
	v_add_u32_e32 v0, s1, v0
	v_lshl_add_u64 v[18:19], v[0:1], 2, s[8:9]
	v_add_u32_e32 v0, s2, v0
	v_lshl_add_u64 v[2:3], s[8:9], 0, v[36:37]
	v_lshl_add_u64 v[20:21], v[0:1], 2, s[8:9]
	v_subrev_u32_e32 v0, s0, v0
	v_lshl_add_u64 v[10:11], s[8:9], 0, v[38:39]
	v_lshl_add_u64 v[12:13], s[8:9], 0, v[22:23]
	;; [unrolled: 1-line block ×4, first 2 shown]
	global_load_dword v53, v[2:3], off
	global_load_dword v54, v[8:9], off
	;; [unrolled: 1-line block ×8, first 2 shown]
	v_lshl_add_u64 v[2:3], v[0:1], 2, s[8:9]
	v_add_u32_e32 v0, s2, v0
	s_mul_i32 s1, s0, 0xffffffee
	v_lshl_add_u64 v[8:9], v[0:1], 2, s[8:9]
	v_add_u32_e32 v0, s1, v0
	v_lshl_add_u64 v[10:11], v[0:1], 2, s[8:9]
	v_add_u32_e32 v0, s2, v0
	v_lshl_add_u64 v[12:13], v[0:1], 2, s[8:9]
	v_subrev_u32_e32 v0, s0, v0
	v_lshl_add_u64 v[14:15], v[0:1], 2, s[8:9]
	v_add_u32_e32 v0, s2, v0
	s_mul_i32 s1, s0, -5
	v_lshl_add_u64 v[16:17], v[0:1], 2, s[8:9]
	v_add_u32_e32 v0, s1, v0
	s_mul_i32 s3, s0, 0x4b
	v_lshl_add_u64 v[18:19], v[0:1], 2, s[8:9]
	v_add_u32_e32 v0, s3, v0
	v_lshlrev_b64 v[26:27], 2, v[0:1]
	v_add_u32_e32 v0, s2, v0
	global_load_dword v48, v[2:3], off
	global_load_dword v49, v[8:9], off
	;; [unrolled: 1-line block ×7, first 2 shown]
	v_lshlrev_b64 v[8:9], 2, v[0:1]
	v_subrev_u32_e32 v0, s0, v0
	s_mul_i32 s3, s0, 0xffffffe7
	v_lshlrev_b64 v[10:11], 2, v[0:1]
	v_add_u32_e32 v0, s3, v0
	s_mul_i32 s3, s0, 3
	v_lshlrev_b64 v[18:19], 2, v[0:1]
	v_add_u32_e32 v0, s3, v0
	v_lshlrev_b64 v[20:21], 2, v[0:1]
	v_add_u32_e32 v0, s2, v0
	;; [unrolled: 2-line block ×3, first 2 shown]
	v_mad_u64_u32 v[24:25], s[10:11], s0, 31, v[0:1]
	v_lshlrev_b64 v[14:15], 2, v[0:1]
	v_add_u32_e32 v0, s2, v24
	v_lshl_add_u64 v[12:13], v[0:1], 2, s[8:9]
	v_add_u32_e32 v0, s3, v0
	s_mul_i32 s1, s0, 0xffffffcd
	v_lshlrev_b64 v[2:3], 2, v[0:1]
	v_add_u32_e32 v0, s1, v0
	v_lshlrev_b64 v[32:33], 2, v[0:1]
	v_add_u32_e32 v0, s3, v0
	v_mad_u64_u32 v[28:29], s[10:11], s0, 52, v[0:1]
	v_lshl_add_u64 v[34:35], v[0:1], 2, s[8:9]
	v_lshl_add_u32 v0, s0, 3, v28
	s_mul_i32 s1, s0, 0xffffffac
	v_lshl_add_u64 v[30:31], v[0:1], 2, s[8:9]
	v_add_u32_e32 v0, s1, v0
	v_lshl_add_u64 v[42:43], v[0:1], 2, s[4:5]
	global_load_dword v25, v[42:43], off
	v_lshl_add_u64 v[40:41], s[8:9], 0, v[26:27]
	v_add_u32_e32 v0, s0, v0
	global_load_dword v55, v[40:41], off
	v_lshlrev_b64 v[40:41], 2, v[0:1]
	v_add_u32_e32 v0, s0, v0
	v_lshl_add_u64 v[38:39], s[4:5], 0, v[38:39]
	s_lshl_b32 s1, s0, 1
	v_lshl_add_u64 v[36:37], s[4:5], 0, v[36:37]
	v_lshl_add_u64 v[60:61], s[4:5], 0, v[22:23]
	;; [unrolled: 1-line block ×3, first 2 shown]
	s_waitcnt vmcnt(14)
	v_fmac_f32_e32 v54, v53, v44
	s_waitcnt vmcnt(12)
	v_fmac_f32_e32 v52, v53, v45
	;; [unrolled: 2-line block ×3, first 2 shown]
	v_lshlrev_b64 v[44:45], 2, v[0:1]
	s_waitcnt vmcnt(9)
	v_fmac_f32_e32 v56, v53, v47
	v_lshl_add_u64 v[46:47], s[4:5], 0, v[44:45]
	v_add_u32_e32 v0, s1, v0
	v_lshl_add_u64 v[44:45], s[6:7], 0, v[44:45]
	s_waitcnt vmcnt(8)
	v_fmac_f32_e32 v56, v54, v48
	s_waitcnt vmcnt(7)
	v_fmac_f32_e32 v56, v52, v49
	;; [unrolled: 2-line block ×6, first 2 shown]
	s_waitcnt vmcnt(1)
	v_mul_f32_e32 v25, v57, v25
	global_store_dword v[42:43], v25, off
	v_lshl_add_u64 v[42:43], s[4:5], 0, v[40:41]
	global_load_dword v25, v[42:43], off
	v_lshl_add_u64 v[40:41], s[6:7], 0, v[40:41]
	global_load_dword v29, v[40:41], off
	s_waitcnt vmcnt(1)
	v_mul_f32_e32 v25, v57, v25
	global_store_dword v[42:43], v25, off
	global_load_dword v25, v[46:47], off
	v_lshlrev_b64 v[42:43], 2, v[0:1]
	v_add_u32_e32 v0, s0, v0
	v_lshl_add_u64 v[48:49], v[0:1], 2, s[4:5]
	v_add_u32_e32 v0, s0, v0
	s_waitcnt vmcnt(2)
	v_mul_f32_e32 v29, v53, v29
	global_store_dword v[40:41], v29, off
	global_load_dword v29, v[44:45], off
	s_waitcnt vmcnt(2)
	v_mul_f32_e32 v25, v57, v25
	global_store_dword v[46:47], v25, off
	global_load_dword v25, v[38:39], off
	v_lshl_add_u64 v[46:47], s[4:5], 0, v[42:43]
	v_lshl_add_u64 v[42:43], s[6:7], 0, v[42:43]
	s_waitcnt vmcnt(2)
	v_mul_f32_e32 v29, v56, v29
	global_store_dword v[44:45], v29, off
	global_load_dword v29, v[42:43], off
	s_waitcnt vmcnt(2)
	v_mul_f32_e32 v25, v57, v25
	global_store_dword v[38:39], v25, off
	global_load_dword v25, v[46:47], off
	v_lshlrev_b64 v[38:39], 2, v[0:1]
	v_add_u32_e32 v0, s0, v0
	s_waitcnt vmcnt(2)
	v_mul_f32_e32 v29, v53, v29
	global_store_dword v[42:43], v29, off
	s_waitcnt vmcnt(1)
	v_mul_f32_e32 v25, v57, v25
	global_store_dword v[46:47], v25, off
	global_load_dword v25, v[48:49], off
	v_lshl_add_u64 v[46:47], s[4:5], 0, v[38:39]
	v_lshl_add_u64 v[38:39], s[6:7], 0, v[38:39]
	global_load_dword v29, v[38:39], off
	s_waitcnt vmcnt(1)
	v_mul_f32_e32 v25, v57, v25
	global_store_dword v[48:49], v25, off
	global_load_dword v25, v[46:47], off
	v_lshl_add_u64 v[48:49], v[0:1], 2, s[4:5]
	v_add_u32_e32 v0, s0, v0
	s_waitcnt vmcnt(2)
	v_mul_f32_e32 v29, v53, v29
	global_store_dword v[38:39], v29, off
	v_lshl_add_u64 v[38:39], s[4:5], 0, v[18:19]
	v_lshl_add_u64 v[18:19], s[8:9], 0, v[18:19]
	s_waitcnt vmcnt(1)
	v_mul_f32_e32 v25, v57, v25
	global_store_dword v[46:47], v25, off
	global_load_dword v25, v[48:49], off
	v_lshl_add_u64 v[46:47], v[0:1], 2, s[4:5]
	v_add_u32_e32 v0, s0, v0
	s_waitcnt vmcnt(0)
	v_mul_f32_e32 v25, v53, v25
	global_store_dword v[48:49], v25, off
	global_load_dword v25, v[46:47], off
	v_lshl_add_u64 v[48:49], v[0:1], 2, s[4:5]
	v_add_u32_e32 v0, s1, v0
	s_waitcnt vmcnt(0)
	v_mul_f32_e32 v25, v53, v25
	global_store_dword v[46:47], v25, off
	global_load_dword v25, v[48:49], off
	v_lshl_add_u64 v[46:47], v[0:1], 2, s[4:5]
	v_add_u32_e32 v0, s0, v0
	s_waitcnt vmcnt(0)
	v_mul_f32_e32 v25, v53, v25
	global_store_dword v[48:49], v25, off
	global_load_dword v25, v[36:37], off
	s_waitcnt vmcnt(0)
	v_mul_f32_e32 v25, v53, v25
	global_store_dword v[36:37], v25, off
	global_load_dword v25, v[46:47], off
	v_lshl_add_u64 v[36:37], v[0:1], 2, s[4:5]
	v_add_u32_e32 v0, s0, v0
	s_waitcnt vmcnt(0)
	v_mul_f32_e32 v25, v53, v25
	global_store_dword v[46:47], v25, off
	global_load_dword v25, v[36:37], off
	v_lshl_add_u64 v[46:47], v[0:1], 2, s[4:5]
	v_add_u32_e32 v0, s0, v0
	;; [unrolled: 6-line block ×4, first 2 shown]
	s_waitcnt vmcnt(0)
	v_mul_f32_e32 v25, v56, v25
	global_store_dword v[36:37], v25, off
	global_load_dword v25, v[46:47], off
	v_lshlrev_b64 v[36:37], 2, v[0:1]
	v_lshl_add_u64 v[48:49], s[4:5], 0, v[36:37]
	v_add_u32_e32 v0, s0, v0
	v_lshl_add_u64 v[36:37], s[6:7], 0, v[36:37]
	global_load_dword v29, v[36:37], off
	s_waitcnt vmcnt(1)
	v_mul_f32_e32 v25, v56, v25
	global_store_dword v[46:47], v25, off
	global_load_dword v25, v[48:49], off
	v_lshlrev_b64 v[46:47], 2, v[0:1]
	v_lshl_add_u64 v[50:51], s[4:5], 0, v[46:47]
	v_add_u32_e32 v0, s0, v0
	s_waitcnt vmcnt(2)
	v_mul_f32_e32 v29, v53, v29
	v_lshl_add_u64 v[46:47], s[6:7], 0, v[46:47]
	global_store_dword v[36:37], v29, off
	global_load_dword v29, v[46:47], off
	s_waitcnt vmcnt(2)
	v_mul_f32_e32 v25, v56, v25
	global_store_dword v[48:49], v25, off
	global_load_dword v25, v[50:51], off
	v_lshl_add_u64 v[48:49], v[0:1], 2, s[4:5]
	v_add_u32_e32 v0, s0, v0
	s_waitcnt vmcnt(2)
	v_mul_f32_e32 v29, v53, v29
	global_store_dword v[46:47], v29, off
	v_lshl_add_u64 v[46:47], s[4:5], 0, v[14:15]
	s_waitcnt vmcnt(1)
	v_mul_f32_e32 v25, v56, v25
	global_store_dword v[50:51], v25, off
	global_load_dword v25, v[48:49], off
	v_lshl_add_u64 v[50:51], v[0:1], 2, s[4:5]
	v_add_u32_e32 v0, s0, v0
	s_waitcnt vmcnt(0)
	v_mul_f32_e32 v25, v56, v25
	global_store_dword v[48:49], v25, off
	global_load_dword v25, v[50:51], off
	v_lshlrev_b64 v[48:49], 2, v[0:1]
	v_add_u32_e32 v0, s1, v0
	s_waitcnt vmcnt(0)
	v_mul_f32_e32 v25, v56, v25
	global_store_dword v[50:51], v25, off
	v_lshl_add_u64 v[50:51], s[4:5], 0, v[48:49]
	global_load_dword v25, v[50:51], off
	s_waitcnt vmcnt(0)
	v_mul_f32_e32 v25, v56, v25
	global_store_dword v[50:51], v25, off
	v_lshl_add_u64 v[50:51], s[4:5], 0, v[32:33]
	global_load_dword v25, v[50:51], off
	;; [unrolled: 5-line block ×3, first 2 shown]
	v_add_u32_e32 v0, s3, v0
	v_lshlrev_b64 v[40:41], 2, v[0:1]
	v_add_u32_e32 v0, s0, v0
	v_lshlrev_b64 v[44:45], 2, v[0:1]
	v_add_u32_e32 v0, s0, v0
	s_waitcnt vmcnt(0)
	v_mul_f32_e32 v25, v56, v25
	global_store_dword v[50:51], v25, off
	v_lshl_add_u64 v[50:51], s[4:5], 0, v[40:41]
	global_load_dword v25, v[50:51], off
	s_waitcnt vmcnt(0)
	v_mul_f32_e32 v25, v54, v25
	global_store_dword v[50:51], v25, off
	v_lshl_add_u64 v[50:51], s[4:5], 0, v[44:45]
	global_load_dword v25, v[50:51], off
	;; [unrolled: 5-line block ×3, first 2 shown]
	v_add_u32_e32 v0, s0, v0
	v_lshlrev_b64 v[42:43], 2, v[0:1]
	v_add_u32_e32 v0, s0, v0
	v_lshl_add_u64 v[58:59], s[6:7], 0, v[42:43]
	s_waitcnt vmcnt(0)
	v_mul_f32_e32 v25, v54, v25
	global_store_dword v[50:51], v25, off
	v_lshl_add_u64 v[50:51], s[4:5], 0, v[42:43]
	global_load_dword v25, v[50:51], off
	s_waitcnt vmcnt(0)
	v_mul_f32_e32 v25, v54, v25
	global_store_dword v[50:51], v25, off
	v_lshl_add_u64 v[50:51], v[0:1], 2, s[4:5]
	global_load_dword v25, v[50:51], off
	v_add_u32_e32 v0, s0, v0
	s_waitcnt vmcnt(0)
	v_mul_f32_e32 v25, v54, v25
	global_store_dword v[50:51], v25, off
	v_lshl_add_u64 v[50:51], v[0:1], 2, s[4:5]
	global_load_dword v25, v[50:51], off
	v_add_u32_e32 v0, s0, v0
	;; [unrolled: 6-line block ×3, first 2 shown]
	s_waitcnt vmcnt(0)
	v_mul_f32_e32 v25, v54, v25
	global_store_dword v[50:51], v25, off
	global_load_dword v25, v[38:39], off
	v_lshlrev_b64 v[50:51], 2, v[0:1]
	v_lshl_add_u64 v[36:37], s[4:5], 0, v[50:51]
	v_add_u32_e32 v0, s3, v0
	v_lshl_add_u64 v[50:51], s[6:7], 0, v[50:51]
	s_waitcnt vmcnt(0)
	v_mul_f32_e32 v25, v54, v25
	global_store_dword v[38:39], v25, off
	global_load_dword v25, v[36:37], off
	v_lshl_add_u64 v[38:39], s[6:7], 0, v[48:49]
	global_load_dword v29, v[38:39], off
	s_waitcnt vmcnt(1)
	v_mul_f32_e32 v25, v54, v25
	global_store_dword v[36:37], v25, off
	global_load_dword v25, v[46:47], off
	s_waitcnt vmcnt(2)
	v_mul_f32_e32 v29, v57, v29
	v_lshl_add_u64 v[36:37], s[6:7], 0, v[40:41]
	global_store_dword v[38:39], v29, off
	global_load_dword v29, v[36:37], off
	v_lshl_add_u64 v[38:39], s[4:5], 0, v[20:21]
	v_lshl_add_u64 v[40:41], s[6:7], 0, v[44:45]
	s_waitcnt vmcnt(2)
	v_mul_f32_e32 v25, v54, v25
	global_store_dword v[46:47], v25, off
	global_load_dword v25, v[38:39], off
	s_waitcnt vmcnt(2)
	v_mul_f32_e32 v29, v56, v29
	global_store_dword v[36:37], v29, off
	global_load_dword v29, v[40:41], off
	v_lshl_add_u64 v[36:37], v[0:1], 2, s[4:5]
	v_add_u32_e32 v0, s0, v0
	v_lshl_add_u64 v[48:49], v[0:1], 2, s[6:7]
	v_add_u32_e32 v0, s0, v0
	;; [unrolled: 2-line block ×5, first 2 shown]
	s_waitcnt vmcnt(2)
	v_mul_f32_e32 v25, v54, v25
	global_store_dword v[38:39], v25, off
	global_load_dword v25, v[36:37], off
	v_mad_u64_u32 v[38:39], s[10:11], s0, 6, v[0:1]
	s_waitcnt vmcnt(2)
	v_mul_f32_e32 v29, v57, v29
	global_store_dword v[40:41], v29, off
	global_load_dword v29, v[58:59], off
	v_lshl_add_u64 v[40:41], v[0:1], 2, s[6:7]
	v_add_u32_e32 v0, s3, v38
	s_waitcnt vmcnt(2)
	v_mul_f32_e32 v22, v54, v25
	global_store_dword v[36:37], v22, off
	global_load_dword v25, v[60:61], off
	s_waitcnt vmcnt(2)
	v_mul_f32_e32 v22, v53, v29
	global_store_dword v[58:59], v22, off
	v_lshl_add_u64 v[22:23], v[0:1], 2, s[6:7]
	v_add_u32_e32 v0, s1, v0
	v_lshlrev_b64 v[36:37], 2, v[0:1]
	v_lshl_add_u64 v[58:59], s[4:5], 0, v[36:37]
	v_add_u32_e32 v0, s1, v0
	global_load_dword v29, v[50:51], off
	v_lshl_add_u64 v[36:37], s[6:7], 0, v[36:37]
	s_waitcnt vmcnt(2)
	v_mul_f32_e32 v25, v57, v25
	global_store_dword v[60:61], v25, off
	global_load_dword v25, v[58:59], off
	v_lshl_add_u64 v[60:61], s[4:5], 0, v[8:9]
	v_lshl_add_u64 v[8:9], s[8:9], 0, v[8:9]
	s_waitcnt vmcnt(2)
	v_mul_f32_e32 v29, v56, v29
	global_store_dword v[50:51], v29, off
	v_lshl_add_u64 v[50:51], s[6:7], 0, v[14:15]
	global_load_dword v29, v[50:51], off
	v_lshl_add_u64 v[14:15], s[8:9], 0, v[14:15]
	s_waitcnt vmcnt(2)
	v_mul_f32_e32 v25, v57, v25
	global_store_dword v[58:59], v25, off
	global_load_dword v25, v[26:27], off
	s_waitcnt vmcnt(0)
	v_mul_f32_e32 v25, v53, v25
	global_store_dword v[26:27], v25, off
	v_lshl_add_u64 v[26:27], v[0:1], 2, s[4:5]
	global_load_dword v25, v[26:27], off
	v_add_u32_e32 v0, s0, v0
	s_waitcnt vmcnt(0)
	v_mul_f32_e32 v25, v53, v25
	global_store_dword v[26:27], v25, off
	v_lshl_add_u64 v[26:27], s[4:5], 0, v[10:11]
	global_load_dword v25, v[26:27], off
	v_lshl_add_u64 v[10:11], s[8:9], 0, v[10:11]
	s_waitcnt vmcnt(0)
	v_mul_f32_e32 v25, v56, v25
	global_store_dword v[26:27], v25, off
	global_load_dword v25, v[60:61], off
	v_lshl_add_u64 v[26:27], s[8:9], 0, v[32:33]
	global_load_dword v58, v[26:27], off
	global_load_dword v39, v[34:35], off
	v_lshl_add_u64 v[32:33], v[0:1], 2, s[6:7]
	v_add_u32_e32 v0, s2, v0
	v_mul_f32_e32 v26, v56, v29
	global_store_dword v[50:51], v26, off
	v_lshl_add_u64 v[26:27], v[0:1], 2, s[6:7]
	v_add_u32_e32 v0, s1, v0
	v_lshl_add_u64 v[34:35], v[0:1], 2, s[4:5]
	v_mov_b32_e32 v29, v1
	v_lshl_add_u64 v[28:29], v[28:29], 2, s[8:9]
	global_load_dword v50, v[28:29], off
	global_load_dword v51, v[30:31], off
	v_lshl_add_u64 v[28:29], s[6:7], 0, v[20:21]
	v_add_u32_e32 v0, s0, v0
	v_lshl_add_u64 v[30:31], v[0:1], 2, s[4:5]
	v_add_u32_e32 v0, s0, v0
	v_lshl_add_u64 v[20:21], s[8:9], 0, v[20:21]
	s_waitcnt vmcnt(5)
	v_mul_f32_e32 v25, v54, v25
	global_store_dword v[60:61], v25, off
	global_load_dword v25, v[34:35], off
	s_waitcnt vmcnt(5)
	v_fmac_f32_e32 v58, v54, v39
	global_load_dword v39, v[28:29], off
	s_waitcnt vmcnt(1)
	v_mul_f32_e32 v25, v58, v25
	global_store_dword v[34:35], v25, off
	global_load_dword v25, v[30:31], off
	s_waitcnt vmcnt(2)
	v_mul_f32_e32 v34, v56, v39
	global_store_dword v[28:29], v34, off
	v_lshlrev_b64 v[28:29], 2, v[0:1]
	v_lshl_add_u64 v[60:61], s[4:5], 0, v[28:29]
	v_add_u32_e32 v0, s1, v0
	s_waitcnt vmcnt(1)
	v_mul_f32_e32 v25, v58, v25
	global_store_dword v[30:31], v25, off
	global_load_dword v30, v[60:61], off
	v_mov_b32_e32 v25, v1
	v_lshlrev_b64 v[34:35], 2, v[24:25]
	v_lshl_add_u64 v[24:25], s[4:5], 0, v[34:35]
	v_lshl_add_u64 v[34:35], s[8:9], 0, v[34:35]
	s_waitcnt vmcnt(0)
	v_mul_f32_e32 v30, v58, v30
	global_store_dword v[60:61], v30, off
	global_load_dword v39, v[24:25], off
	v_lshl_add_u64 v[30:31], v[0:1], 2, s[4:5]
	v_add_u32_e32 v0, s0, v0
	s_waitcnt vmcnt(0)
	v_mul_f32_e32 v39, v58, v39
	global_store_dword v[24:25], v39, off
	global_load_dword v39, v[30:31], off
	v_lshl_add_u64 v[24:25], v[0:1], 2, s[4:5]
	v_add_u32_e32 v0, s2, v0
	s_waitcnt vmcnt(0)
	v_mul_f32_e32 v39, v58, v39
	global_store_dword v[30:31], v39, off
	global_load_dword v39, v[24:25], off
	v_lshl_add_u64 v[30:31], v[0:1], 2, s[4:5]
	v_add_u32_e32 v0, s1, v0
	s_waitcnt vmcnt(0)
	v_mul_f32_e32 v39, v58, v39
	global_store_dword v[24:25], v39, off
	global_load_dword v39, v[30:31], off
	v_lshl_add_u64 v[24:25], s[4:5], 0, v[2:3]
	v_lshl_add_u64 v[2:3], s[8:9], 0, v[2:3]
	s_waitcnt vmcnt(0)
	v_mul_f32_e32 v39, v57, v39
	global_store_dword v[30:31], v39, off
	global_load_dword v30, v[24:25], off
	s_nop 0
	global_load_dword v39, v[48:49], off
	s_waitcnt vmcnt(1)
	v_mul_f32_e32 v30, v56, v30
	global_store_dword v[24:25], v30, off
	v_lshl_add_u64 v[30:31], v[0:1], 2, s[4:5]
	global_load_dword v59, v[30:31], off
	v_add_u32_e32 v0, s0, v0
	s_waitcnt vmcnt(2)
	v_mul_f32_e32 v24, v58, v39
	global_store_dword v[48:49], v24, off
	v_lshl_add_u64 v[24:25], v[0:1], 2, s[6:7]
	v_add_u32_e32 v0, s3, v0
	v_lshl_add_u64 v[48:49], v[0:1], 2, s[4:5]
	v_add_u32_e32 v0, s0, v0
	s_waitcnt vmcnt(1)
	v_mul_f32_e32 v39, v54, v59
	global_store_dword v[30:31], v39, off
	global_load_dword v30, v[48:49], off
	s_waitcnt vmcnt(0)
	v_mul_f32_e32 v57, v57, v30
	global_load_dword v39, v[46:47], off
	v_lshlrev_b64 v[30:31], 2, v[0:1]
	global_store_dword v[48:49], v57, off
	v_lshl_add_u64 v[60:61], s[4:5], 0, v[30:31]
	global_load_dword v49, v[60:61], off
	global_load_dword v48, v[18:19], off
	;; [unrolled: 1-line block ×3, first 2 shown]
	v_lshl_add_u64 v[20:21], s[6:7], 0, v[16:17]
	v_add_u32_e32 v0, s1, v0
	v_lshl_add_u64 v[16:17], s[8:9], 0, v[16:17]
	global_load_dword v59, v[16:17], off
	s_waitcnt vmcnt(5)
	v_mul_f32_e32 v18, v53, v39
	global_store_dword v[46:47], v18, off
	v_lshl_add_u64 v[18:19], v[0:1], 2, s[6:7]
	global_load_dword v39, v[20:21], off
	v_add_u32_e32 v0, s0, v0
	s_waitcnt vmcnt(5)
	v_mul_f32_e32 v46, v56, v49
	global_store_dword v[60:61], v46, off
	v_lshl_add_u64 v[46:47], v[0:1], 2, s[4:5]
	global_load_dword v49, v[46:47], off
	v_add_u32_e32 v0, s1, v0
	s_waitcnt vmcnt(5)
	v_fmac_f32_e32 v48, v54, v57
	s_waitcnt vmcnt(4)
	v_fmac_f32_e32 v48, v52, v59
	s_waitcnt vmcnt(2)
	v_mul_f32_e32 v16, v53, v39
	global_store_dword v[20:21], v16, off
	v_lshl_add_u64 v[16:17], v[0:1], 2, s[6:7]
	v_add_u32_e32 v0, s3, v0
	v_lshlrev_b64 v[20:21], 2, v[0:1]
	s_waitcnt vmcnt(1)
	v_mul_f32_e32 v39, v52, v49
	global_store_dword v[46:47], v39, off
	v_lshl_add_u64 v[46:47], s[4:5], 0, v[20:21]
	global_load_dword v39, v[46:47], off
	global_load_dword v49, v[14:15], off
	v_add_u32_e32 v0, s1, v0
	global_load_dword v60, v[44:45], off
	s_waitcnt vmcnt(2)
	v_mul_f32_e32 v14, v53, v39
	global_store_dword v[46:47], v14, off
	v_lshl_add_u64 v[14:15], v[0:1], 2, s[4:5]
	global_load_dword v39, v[14:15], off
	v_add_u32_e32 v0, s0, v0
	s_waitcnt vmcnt(3)
	v_fmac_f32_e32 v48, v56, v49
	s_waitcnt vmcnt(2)
	v_mul_f32_e32 v49, v53, v60
	global_load_dword v46, v[34:35], off
	global_load_dword v47, v[12:13], off
	v_lshlrev_b64 v[12:13], 2, v[0:1]
	global_store_dword v[44:45], v49, off
	v_lshl_add_u64 v[34:35], s[4:5], 0, v[12:13]
	global_load_dword v49, v[42:43], off
	v_add_u32_e32 v0, s0, v0
	v_lshl_add_u64 v[44:45], v[0:1], 2, s[4:5]
	v_add_u32_e32 v0, s0, v0
	v_lshl_add_u64 v[12:13], s[6:7], 0, v[12:13]
	s_waitcnt vmcnt(4)
	v_mul_f32_e32 v39, v48, v39
	global_store_dword v[14:15], v39, off
	global_load_dword v14, v[34:35], off
	s_waitcnt vmcnt(4)
	v_fmac_f32_e32 v46, v53, v47
	s_waitcnt vmcnt(2)
	v_mul_f32_e32 v15, v53, v49
	global_store_dword v[42:43], v15, off
	global_load_dword v39, v[40:41], off
	s_waitcnt vmcnt(2)
	v_mul_f32_e32 v14, v48, v14
	global_store_dword v[34:35], v14, off
	global_load_dword v49, v[44:45], off
	v_lshl_add_u64 v[34:35], s[6:7], 0, v[6:7]
	v_lshlrev_b64 v[14:15], 2, v[0:1]
	v_lshl_add_u64 v[42:43], s[4:5], 0, v[14:15]
	v_add_u32_e32 v0, s0, v0
	v_lshl_add_u64 v[14:15], s[6:7], 0, v[14:15]
	s_waitcnt vmcnt(2)
	v_mul_f32_e32 v6, v53, v39
	global_store_dword v[40:41], v6, off
	global_load_dword v39, v[34:35], off
	v_lshl_add_u64 v[40:41], s[6:7], 0, v[4:5]
	s_waitcnt vmcnt(2)
	v_mul_f32_e32 v6, v48, v49
	global_store_dword v[44:45], v6, off
	global_load_dword v49, v[42:43], off
	v_lshl_add_u64 v[6:7], v[0:1], 2, s[6:7]
	v_add_u32_e32 v0, s2, v0
	v_lshl_add_u64 v[4:5], v[0:1], 2, s[6:7]
	v_add_u32_e32 v0, s1, v0
	v_lshl_add_u64 v[44:45], v[0:1], 2, s[4:5]
	s_waitcnt vmcnt(2)
	v_mul_f32_e32 v39, v56, v39
	global_store_dword v[34:35], v39, off
	global_load_dword v34, v[40:41], off
	v_mov_b32_e32 v39, v1
	v_lshl_add_u64 v[38:39], v[38:39], 2, s[6:7]
	v_add_u32_e32 v0, s0, v0
	s_waitcnt vmcnt(2)
	v_mul_f32_e32 v35, v48, v49
	global_store_dword v[42:43], v35, off
	global_load_dword v35, v[44:45], off
	v_lshl_add_u64 v[42:43], v[0:1], 2, s[4:5]
	v_add_u32_e32 v0, s0, v0
	s_waitcnt vmcnt(2)
	v_mul_f32_e32 v34, v54, v34
	global_store_dword v[40:41], v34, off
	global_load_dword v49, v[38:39], off
	s_waitcnt vmcnt(2)
	v_mul_f32_e32 v34, v52, v35
	global_store_dword v[44:45], v34, off
	global_load_dword v44, v[42:43], off
	v_lshlrev_b64 v[34:35], 2, v[0:1]
	v_lshl_add_u64 v[40:41], s[4:5], 0, v[34:35]
	v_add_u32_e32 v0, s0, v0
	s_waitcnt vmcnt(2)
	v_mul_f32_e32 v45, v58, v49
	global_store_dword v[38:39], v45, off
	global_load_dword v45, v[22:23], off
	s_waitcnt vmcnt(2)
	v_mul_f32_e32 v38, v52, v44
	global_store_dword v[42:43], v38, off
	global_load_dword v42, v[40:41], off
	v_lshl_add_u64 v[38:39], v[0:1], 2, s[4:5]
	v_add_u32_e32 v0, s0, v0
	s_waitcnt vmcnt(2)
	v_mul_f32_e32 v43, v58, v45
	global_store_dword v[22:23], v43, off
	global_load_dword v43, v[36:37], off
	s_waitcnt vmcnt(2)
	v_mul_f32_e32 v22, v52, v42
	global_store_dword v[40:41], v22, off
	global_load_dword v40, v[38:39], off
	;; [unrolled: 10-line block ×3, first 2 shown]
	s_nop 0
	global_load_dword v38, v[8:9], off
	global_load_dword v39, v[10:11], off
	v_lshl_add_u64 v[8:9], v[0:1], 2, s[4:5]
	v_add_u32_e32 v0, s0, v0
	s_waitcnt vmcnt(4)
	v_mul_f32_e32 v10, v53, v36
	global_store_dword v[32:33], v10, off
	global_load_dword v32, v[26:27], off
	s_waitcnt vmcnt(3)
	v_fmac_f32_e32 v55, v53, v38
	v_mul_f32_e32 v10, v52, v37
	global_store_dword v[22:23], v10, off
	global_load_dword v33, v[8:9], off
	s_waitcnt vmcnt(4)
	v_fmac_f32_e32 v55, v54, v39
	v_lshl_add_u64 v[10:11], s[6:7], 0, v[28:29]
	v_lshl_add_u64 v[22:23], v[0:1], 2, s[4:5]
	v_add_u32_e32 v0, s0, v0
	s_waitcnt vmcnt(2)
	v_mul_f32_e32 v28, v55, v32
	global_store_dword v[26:27], v28, off
	global_load_dword v28, v[10:11], off
	v_fmac_f32_e32 v50, v55, v51
	s_waitcnt vmcnt(2)
	v_mul_f32_e32 v26, v52, v33
	global_store_dword v[8:9], v26, off
	global_load_dword v29, v[22:23], off
	v_lshlrev_b64 v[8:9], 2, v[0:1]
	v_lshl_add_u64 v[26:27], s[4:5], 0, v[8:9]
	v_add_u32_e32 v0, s0, v0
	s_waitcnt vmcnt(2)
	v_mul_f32_e32 v28, v54, v28
	global_store_dword v[10:11], v28, off
	global_load_dword v32, v[24:25], off
	s_waitcnt vmcnt(2)
	v_mul_f32_e32 v10, v52, v29
	global_store_dword v[22:23], v10, off
	global_load_dword v22, v[26:27], off
	v_lshl_add_u64 v[28:29], s[6:7], 0, v[30:31]
	v_lshlrev_b64 v[10:11], 2, v[0:1]
	v_lshl_add_u64 v[30:31], s[4:5], 0, v[10:11]
	v_add_u32_e32 v0, s0, v0
	s_waitcnt vmcnt(2)
	v_mul_f32_e32 v23, v54, v32
	global_store_dword v[24:25], v23, off
	global_load_dword v32, v[28:29], off
	s_waitcnt vmcnt(2)
	v_mul_f32_e32 v22, v52, v22
	global_store_dword v[26:27], v22, off
	global_load_dword v26, v[30:31], off
	v_lshlrev_b64 v[22:23], 2, v[0:1]
	v_lshl_add_u64 v[24:25], s[4:5], 0, v[22:23]
	v_add_u32_e32 v0, s0, v0
	s_waitcnt vmcnt(2)
	v_mul_f32_e32 v27, v52, v32
	global_store_dword v[28:29], v27, off
	global_load_dword v28, v[18:19], off
	s_waitcnt vmcnt(2)
	v_mul_f32_e32 v26, v52, v26
	global_store_dword v[30:31], v26, off
	global_load_dword v29, v[24:25], off
	v_lshl_add_u64 v[26:27], v[0:1], 2, s[4:5]
	v_add_u32_e32 v0, s1, v0
	s_waitcnt vmcnt(2)
	v_mul_f32_e32 v28, v48, v28
	global_store_dword v[18:19], v28, off
	global_load_dword v28, v[16:17], off
	s_waitcnt vmcnt(2)
	v_mul_f32_e32 v18, v52, v29
	global_store_dword v[24:25], v18, off
	global_load_dword v24, v[26:27], off
	v_lshl_add_u64 v[18:19], s[6:7], 0, v[20:21]
	v_lshl_add_u64 v[20:21], v[0:1], 2, s[4:5]
	v_add_u32_e32 v0, s0, v0
	s_waitcnt vmcnt(2)
	v_mul_f32_e32 v25, v56, v28
	global_store_dword v[16:17], v25, off
	global_load_dword v25, v[18:19], off
	s_waitcnt vmcnt(2)
	v_mul_f32_e32 v16, v52, v24
	global_store_dword v[26:27], v16, off
	global_load_dword v24, v[20:21], off
	v_lshl_add_u64 v[16:17], v[0:1], 2, s[4:5]
	v_add_u32_e32 v0, s0, v0
	s_waitcnt vmcnt(2)
	v_mul_f32_e32 v25, v52, v25
	global_store_dword v[18:19], v25, off
	global_load_dword v25, v[12:13], off
	s_waitcnt vmcnt(2)
	v_mul_f32_e32 v18, v52, v24
	global_store_dword v[20:21], v18, off
	global_load_dword v20, v[16:17], off
	;; [unrolled: 10-line block ×3, first 2 shown]
	s_waitcnt vmcnt(2)
	v_mul_f32_e32 v12, v56, v12
	global_load_dword v16, v[2:3], off
	v_lshl_add_u64 v[2:3], v[0:1], 2, s[4:5]
	global_store_dword v[14:15], v12, off
	global_load_dword v14, v[6:7], off
	v_add_u32_e32 v0, s0, v0
	s_waitcnt vmcnt(3)
	v_mul_f32_e32 v12, v52, v13
	global_store_dword v[18:19], v12, off
	global_load_dword v15, v[2:3], off
	v_lshl_add_u64 v[12:13], v[0:1], 2, s[4:5]
	v_add_u32_e32 v0, s0, v0
	s_waitcnt vmcnt(4)
	v_fmac_f32_e32 v46, v52, v16
	s_waitcnt vmcnt(2)
	v_mul_f32_e32 v14, v46, v14
	global_store_dword v[6:7], v14, off
	global_load_dword v16, v[4:5], off
	s_waitcnt vmcnt(2)
	v_mul_f32_e32 v6, v46, v15
	global_store_dword v[2:3], v6, off
	global_load_dword v17, v[12:13], off
	v_lshl_add_u64 v[2:3], s[6:7], 0, v[34:35]
	v_lshlrev_b64 v[6:7], 2, v[0:1]
	v_lshl_add_u64 v[14:15], s[4:5], 0, v[6:7]
	v_add_u32_e32 v0, s0, v0
	s_waitcnt vmcnt(2)
	v_mul_f32_e32 v16, v56, v16
	global_store_dword v[4:5], v16, off
	global_load_dword v16, v[2:3], off
	s_waitcnt vmcnt(2)
	v_mul_f32_e32 v4, v46, v17
	global_store_dword v[12:13], v4, off
	global_load_dword v12, v[14:15], off
	v_lshl_add_u64 v[4:5], s[6:7], 0, v[8:9]
	v_lshl_add_u64 v[8:9], v[0:1], 2, s[4:5]
	v_add_u32_e32 v0, s0, v0
	s_waitcnt vmcnt(2)
	v_mul_f32_e32 v13, v48, v16
	global_store_dword v[2:3], v13, off
	global_load_dword v13, v[4:5], off
	s_waitcnt vmcnt(2)
	v_mul_f32_e32 v2, v46, v12
	global_store_dword v[14:15], v2, off
	global_load_dword v12, v[8:9], off
	v_lshl_add_u64 v[2:3], s[6:7], 0, v[10:11]
	;; [unrolled: 11-line block ×5, first 2 shown]
	v_add_u32_e32 v0, s0, v0
	v_lshl_add_u64 v[8:9], v[0:1], 2, s[6:7]
	v_add_u32_e32 v0, s0, v0
	s_waitcnt vmcnt(2)
	v_mul_f32_e32 v11, v53, v11
	global_store_dword v[2:3], v11, off
	global_load_dword v24, v[8:9], off
	s_waitcnt vmcnt(2)
	v_mul_f32_e32 v2, v46, v10
	global_store_dword v[6:7], v2, off
	global_load_dword v25, v[4:5], off
	v_lshl_add_u64 v[2:3], v[0:1], 2, s[6:7]
	v_add_u32_e32 v0, s0, v0
	v_lshl_add_u64 v[6:7], v[0:1], 2, s[6:7]
	v_add_u32_e32 v0, s0, v0
	;; [unrolled: 2-line block ×7, first 2 shown]
	s_waitcnt vmcnt(2)
	v_mul_f32_e32 v24, v48, v24
	v_lshlrev_b64 v[20:21], 2, v[0:1]
	global_store_dword v[8:9], v24, off
	v_lshl_add_u64 v[22:23], s[4:5], 0, v[20:21]
	global_load_dword v8, v[2:3], off
	v_add_u32_e32 v0, s0, v0
	s_waitcnt vmcnt(2)
	v_mul_f32_e32 v9, v46, v25
	global_store_dword v[4:5], v9, off
	global_load_dword v9, v[22:23], off
	v_lshl_add_u64 v[4:5], v[0:1], 2, s[4:5]
	v_add_u32_e32 v0, s0, v0
	s_waitcnt vmcnt(2)
	v_mul_f32_e32 v8, v55, v8
	global_store_dword v[2:3], v8, off
	global_load_dword v24, v[6:7], off
	s_waitcnt vmcnt(2)
	v_mul_f32_e32 v2, v53, v9
	global_store_dword v[22:23], v2, off
	global_load_dword v22, v[4:5], off
	v_lshlrev_b64 v[2:3], 2, v[0:1]
	v_lshl_add_u64 v[8:9], s[4:5], 0, v[2:3]
	v_add_u32_e32 v0, s0, v0
	v_lshl_add_u64 v[2:3], s[6:7], 0, v[2:3]
	s_waitcnt vmcnt(2)
	v_mul_f32_e32 v23, v52, v24
	global_store_dword v[6:7], v23, off
	global_load_dword v6, v[10:11], off
	s_waitcnt vmcnt(2)
	v_mul_f32_e32 v7, v56, v22
	global_store_dword v[4:5], v7, off
	global_load_dword v7, v[8:9], off
	v_lshl_add_u64 v[4:5], v[0:1], 2, s[4:5]
	v_add_u32_e32 v0, s0, v0
	s_waitcnt vmcnt(2)
	v_mul_f32_e32 v6, v52, v6
	global_store_dword v[10:11], v6, off
	global_load_dword v22, v[12:13], off
	s_waitcnt vmcnt(2)
	v_mul_f32_e32 v6, v54, v7
	global_store_dword v[8:9], v6, off
	global_load_dword v23, v[4:5], off
	v_lshl_add_u64 v[6:7], v[0:1], 2, s[6:7]
	v_add_u32_e32 v0, s0, v0
	v_lshl_add_u64 v[8:9], v[0:1], 2, s[6:7]
	v_add_u32_e32 v0, s0, v0
	;; [unrolled: 2-line block ×3, first 2 shown]
	s_waitcnt vmcnt(2)
	v_mul_f32_e32 v22, v53, v22
	global_store_dword v[12:13], v22, off
	global_load_dword v12, v[14:15], off
	s_waitcnt vmcnt(2)
	v_mul_f32_e32 v13, v54, v23
	global_store_dword v[4:5], v13, off
	global_load_dword v13, v[10:11], off
	v_lshl_add_u64 v[4:5], v[0:1], 2, s[4:5]
	v_add_u32_e32 v0, s0, v0
	s_waitcnt vmcnt(2)
	v_mul_f32_e32 v12, v56, v12
	global_store_dword v[14:15], v12, off
	global_load_dword v12, v[16:17], off
	s_waitcnt vmcnt(2)
	v_mul_f32_e32 v13, v55, v13
	global_store_dword v[10:11], v13, off
	global_load_dword v13, v[4:5], off
	v_lshl_add_u64 v[10:11], v[0:1], 2, s[4:5]
	v_add_u32_e32 v0, s0, v0
	s_waitcnt vmcnt(2)
	v_mul_f32_e32 v12, v52, v12
	global_store_dword v[16:17], v12, off
	global_load_dword v14, v[18:19], off
	s_waitcnt vmcnt(2)
	v_mul_f32_e32 v12, v55, v13
	global_store_dword v[4:5], v12, off
	global_load_dword v15, v[10:11], off
	v_lshl_add_u64 v[4:5], s[6:7], 0, v[20:21]
	v_lshl_add_u64 v[12:13], v[0:1], 2, s[4:5]
	v_add_u32_e32 v0, s0, v0
	s_waitcnt vmcnt(2)
	v_mul_f32_e32 v14, v52, v14
	global_store_dword v[18:19], v14, off
	global_load_dword v14, v[4:5], off
	s_waitcnt vmcnt(2)
	v_mul_f32_e32 v15, v55, v15
	global_store_dword v[10:11], v15, off
	global_load_dword v15, v[12:13], off
	v_lshl_add_u64 v[10:11], v[0:1], 2, s[4:5]
	v_add_u32_e32 v0, s0, v0
	s_waitcnt vmcnt(2)
	v_mul_f32_e32 v14, v55, v14
	global_store_dword v[4:5], v14, off
	global_load_dword v14, v[2:3], off
	s_waitcnt vmcnt(2)
	v_mul_f32_e32 v4, v55, v15
	global_store_dword v[12:13], v4, off
	global_load_dword v12, v[10:11], off
	;; [unrolled: 10-line block ×4, first 2 shown]
	v_lshl_add_u64 v[4:5], v[0:1], 2, s[4:5]
	v_add_u32_e32 v0, s0, v0
	v_lshl_add_u64 v[6:7], v[0:1], 2, s[4:5]
	v_add_u32_e32 v0, s1, v0
	;; [unrolled: 2-line block ×3, first 2 shown]
	s_waitcnt vmcnt(2)
	v_mul_f32_e32 v12, v50, v12
	global_store_dword v[8:9], v12, off
	global_load_dword v8, v[10:11], off
	s_waitcnt vmcnt(2)
	v_mul_f32_e32 v9, v55, v13
	global_store_dword v[2:3], v9, off
	global_load_dword v9, v[4:5], off
	v_lshl_add_u64 v[2:3], v[0:1], 2, s[6:7]
	v_add_u32_e32 v0, s0, v0
	s_waitcnt vmcnt(2)
	v_mul_f32_e32 v8, v55, v8
	global_store_dword v[10:11], v8, off
	global_load_dword v12, v[2:3], off
	s_waitcnt vmcnt(2)
	v_mul_f32_e32 v8, v55, v9
	global_store_dword v[4:5], v8, off
	global_load_dword v13, v[6:7], off
	v_lshl_add_u64 v[4:5], v[0:1], 2, s[6:7]
	v_add_u32_e32 v0, s0, v0
	v_lshlrev_b64 v[8:9], 2, v[0:1]
	v_lshl_add_u64 v[10:11], s[4:5], 0, v[8:9]
	v_add_u32_e32 v0, s0, v0
	s_waitcnt vmcnt(2)
	v_mul_f32_e32 v12, v55, v12
	global_store_dword v[2:3], v12, off
	global_load_dword v16, v[4:5], off
	s_waitcnt vmcnt(2)
	v_mul_f32_e32 v2, v55, v13
	global_store_dword v[6:7], v2, off
	global_load_dword v17, v[10:11], off
	v_lshl_add_u64 v[6:7], v[0:1], 2, s[6:7]
	v_add_u32_e32 v0, s1, v0
	v_lshl_add_u64 v[2:3], s[6:7], 0, v[8:9]
	v_lshl_add_u64 v[8:9], v[0:1], 2, s[6:7]
	v_add_u32_e32 v0, s1, v0
	v_lshl_add_u64 v[12:13], v[0:1], 2, s[6:7]
	v_add_u32_e32 v0, s0, v0
	;; [unrolled: 2-line block ×3, first 2 shown]
	s_waitcnt vmcnt(2)
	v_mul_f32_e32 v16, v55, v16
	global_store_dword v[4:5], v16, off
	global_load_dword v18, v[2:3], off
	s_waitcnt vmcnt(2)
	v_mul_f32_e32 v4, v54, v17
	global_store_dword v[10:11], v4, off
	global_load_dword v19, v[14:15], off
	v_mad_u64_u32 v[4:5], s[2:3], s0, 9, v[0:1]
	v_mov_b32_e32 v5, v1
	v_lshlrev_b64 v[10:11], 2, v[4:5]
	v_lshl_add_u64 v[16:17], s[4:5], 0, v[10:11]
	s_waitcnt vmcnt(2)
	v_mul_f32_e32 v5, v55, v18
	global_store_dword v[2:3], v5, off
	global_load_dword v18, v[6:7], off
	s_waitcnt vmcnt(2)
	v_mul_f32_e32 v2, v53, v19
	global_store_dword v[14:15], v2, off
	global_load_dword v14, v[16:17], off
	v_lshl_add_u64 v[2:3], v[0:1], 2, s[6:7]
	v_add_u32_e32 v0, s0, v4
	v_lshl_add_u64 v[4:5], v[0:1], 2, s[4:5]
	v_add_u32_e32 v0, s0, v0
	s_waitcnt vmcnt(2)
	v_mul_f32_e32 v15, v55, v18
	global_store_dword v[6:7], v15, off
	global_load_dword v18, v[8:9], off
	s_waitcnt vmcnt(2)
	v_mul_f32_e32 v6, v50, v14
	global_store_dword v[16:17], v6, off
	global_load_dword v16, v[4:5], off
	v_lshlrev_b64 v[6:7], 2, v[0:1]
	v_lshl_add_u64 v[14:15], s[4:5], 0, v[6:7]
	v_add_u32_e32 v0, s0, v0
	s_waitcnt vmcnt(2)
	v_mul_f32_e32 v17, v48, v18
	global_store_dword v[8:9], v17, off
	global_load_dword v8, v[12:13], off
	s_waitcnt vmcnt(2)
	v_mul_f32_e32 v9, v50, v16
	global_store_dword v[4:5], v9, off
	global_load_dword v9, v[14:15], off
	v_lshl_add_u64 v[4:5], v[0:1], 2, s[4:5]
	v_add_u32_e32 v0, s0, v0
	s_waitcnt vmcnt(2)
	v_mul_f32_e32 v8, v52, v8
	global_store_dword v[12:13], v8, off
	global_load_dword v12, v[2:3], off
	s_waitcnt vmcnt(2)
	v_mul_f32_e32 v8, v50, v9
	global_store_dword v[14:15], v8, off
	global_load_dword v13, v[4:5], off
	v_lshl_add_u64 v[8:9], s[6:7], 0, v[10:11]
	v_lshl_add_u64 v[10:11], v[0:1], 2, s[4:5]
	v_add_u32_e32 v0, s0, v0
	s_waitcnt vmcnt(2)
	v_mul_f32_e32 v12, v50, v12
	global_store_dword v[2:3], v12, off
	global_load_dword v12, v[8:9], off
	s_waitcnt vmcnt(2)
	v_mul_f32_e32 v2, v50, v13
	global_store_dword v[4:5], v2, off
	global_load_dword v13, v[10:11], off
	v_lshl_add_u64 v[2:3], s[6:7], 0, v[6:7]
	v_lshlrev_b64 v[4:5], 2, v[0:1]
	v_lshl_add_u64 v[6:7], s[4:5], 0, v[4:5]
	v_add_u32_e32 v0, s0, v0
	v_lshl_add_u64 v[4:5], s[6:7], 0, v[4:5]
	v_lshl_add_u64 v[0:1], v[0:1], 2, s[4:5]
	s_waitcnt vmcnt(2)
	v_mul_f32_e32 v12, v55, v12
	global_store_dword v[8:9], v12, off
	global_load_dword v8, v[2:3], off
	s_waitcnt vmcnt(2)
	v_mul_f32_e32 v9, v50, v13
	global_store_dword v[10:11], v9, off
	global_load_dword v9, v[6:7], off
	;; [unrolled: 4-line block ×4, first 2 shown]
	s_waitcnt vmcnt(2)
	v_mul_f32_e32 v2, v55, v2
	global_store_dword v[4:5], v2, off
	s_waitcnt vmcnt(1)
	v_mul_f32_e32 v2, v50, v3
	global_store_dword v[0:1], v2, off
	s_endpgm
	.section	.rodata,"a",@progbits
	.p2align	6, 0x0
	.amdhsa_kernel _Z12qssa2_kernelIfEvPT_S1_PKS0_
		.amdhsa_group_segment_fixed_size 0
		.amdhsa_private_segment_fixed_size 0
		.amdhsa_kernarg_size 280
		.amdhsa_user_sgpr_count 2
		.amdhsa_user_sgpr_dispatch_ptr 0
		.amdhsa_user_sgpr_queue_ptr 0
		.amdhsa_user_sgpr_kernarg_segment_ptr 1
		.amdhsa_user_sgpr_dispatch_id 0
		.amdhsa_user_sgpr_kernarg_preload_length 0
		.amdhsa_user_sgpr_kernarg_preload_offset 0
		.amdhsa_user_sgpr_private_segment_size 0
		.amdhsa_uses_dynamic_stack 0
		.amdhsa_enable_private_segment 0
		.amdhsa_system_sgpr_workgroup_id_x 1
		.amdhsa_system_sgpr_workgroup_id_y 0
		.amdhsa_system_sgpr_workgroup_id_z 0
		.amdhsa_system_sgpr_workgroup_info 0
		.amdhsa_system_vgpr_workitem_id 0
		.amdhsa_next_free_vgpr 62
		.amdhsa_next_free_sgpr 12
		.amdhsa_accum_offset 64
		.amdhsa_reserve_vcc 0
		.amdhsa_float_round_mode_32 0
		.amdhsa_float_round_mode_16_64 0
		.amdhsa_float_denorm_mode_32 3
		.amdhsa_float_denorm_mode_16_64 3
		.amdhsa_dx10_clamp 1
		.amdhsa_ieee_mode 1
		.amdhsa_fp16_overflow 0
		.amdhsa_tg_split 0
		.amdhsa_exception_fp_ieee_invalid_op 0
		.amdhsa_exception_fp_denorm_src 0
		.amdhsa_exception_fp_ieee_div_zero 0
		.amdhsa_exception_fp_ieee_overflow 0
		.amdhsa_exception_fp_ieee_underflow 0
		.amdhsa_exception_fp_ieee_inexact 0
		.amdhsa_exception_int_div_zero 0
	.end_amdhsa_kernel
	.section	.text._Z12qssa2_kernelIfEvPT_S1_PKS0_,"axG",@progbits,_Z12qssa2_kernelIfEvPT_S1_PKS0_,comdat
.Lfunc_end18:
	.size	_Z12qssa2_kernelIfEvPT_S1_PKS0_, .Lfunc_end18-_Z12qssa2_kernelIfEvPT_S1_PKS0_
                                        ; -- End function
	.set _Z12qssa2_kernelIfEvPT_S1_PKS0_.num_vgpr, 62
	.set _Z12qssa2_kernelIfEvPT_S1_PKS0_.num_agpr, 0
	.set _Z12qssa2_kernelIfEvPT_S1_PKS0_.numbered_sgpr, 12
	.set _Z12qssa2_kernelIfEvPT_S1_PKS0_.num_named_barrier, 0
	.set _Z12qssa2_kernelIfEvPT_S1_PKS0_.private_seg_size, 0
	.set _Z12qssa2_kernelIfEvPT_S1_PKS0_.uses_vcc, 0
	.set _Z12qssa2_kernelIfEvPT_S1_PKS0_.uses_flat_scratch, 0
	.set _Z12qssa2_kernelIfEvPT_S1_PKS0_.has_dyn_sized_stack, 0
	.set _Z12qssa2_kernelIfEvPT_S1_PKS0_.has_recursion, 0
	.set _Z12qssa2_kernelIfEvPT_S1_PKS0_.has_indirect_call, 0
	.section	.AMDGPU.csdata,"",@progbits
; Kernel info:
; codeLenInByte = 7052
; TotalNumSgprs: 18
; NumVgprs: 62
; NumAgprs: 0
; TotalNumVgprs: 62
; ScratchSize: 0
; MemoryBound: 0
; FloatMode: 240
; IeeeMode: 1
; LDSByteSize: 0 bytes/workgroup (compile time only)
; SGPRBlocks: 2
; VGPRBlocks: 7
; NumSGPRsForWavesPerEU: 18
; NumVGPRsForWavesPerEU: 62
; AccumOffset: 64
; Occupancy: 8
; WaveLimiterHint : 0
; COMPUTE_PGM_RSRC2:SCRATCH_EN: 0
; COMPUTE_PGM_RSRC2:USER_SGPR: 2
; COMPUTE_PGM_RSRC2:TRAP_HANDLER: 0
; COMPUTE_PGM_RSRC2:TGID_X_EN: 1
; COMPUTE_PGM_RSRC2:TGID_Y_EN: 0
; COMPUTE_PGM_RSRC2:TGID_Z_EN: 0
; COMPUTE_PGM_RSRC2:TIDIG_COMP_CNT: 0
; COMPUTE_PGM_RSRC3_GFX90A:ACCUM_OFFSET: 15
; COMPUTE_PGM_RSRC3_GFX90A:TG_SPLIT: 0
	.section	.text._Z13rdwdot_kernelIfEvPKT_S2_PS0_S0_S2_,"axG",@progbits,_Z13rdwdot_kernelIfEvPKT_S2_PS0_S0_S2_,comdat
	.protected	_Z13rdwdot_kernelIfEvPKT_S2_PS0_S0_S2_ ; -- Begin function _Z13rdwdot_kernelIfEvPKT_S2_PS0_S0_S2_
	.globl	_Z13rdwdot_kernelIfEvPKT_S2_PS0_S0_S2_
	.p2align	8
	.type	_Z13rdwdot_kernelIfEvPKT_S2_PS0_S0_S2_,@function
_Z13rdwdot_kernelIfEvPKT_S2_PS0_S0_S2_: ; @_Z13rdwdot_kernelIfEvPKT_S2_PS0_S0_S2_
; %bb.0:
	s_load_dword s3, s[0:1], 0x34
	s_load_dword s10, s[0:1], 0x28
	s_load_dwordx4 s[4:7], s[0:1], 0x0
	s_load_dwordx2 s[8:9], s[0:1], 0x10
	v_mov_b32_e32 v1, 0
	s_waitcnt lgkmcnt(0)
	s_and_b32 s11, s3, 0xffff
	s_mul_i32 s3, s10, s11
	s_mul_i32 s2, s2, s11
	s_lshl_b32 s10, s3, 2
	v_add_u32_e32 v2, s2, v0
	v_add_u32_e32 v0, s10, v2
	v_lshlrev_b64 v[6:7], 2, v[0:1]
	v_add_u32_e32 v0, s3, v0
	v_lshlrev_b64 v[8:9], 2, v[0:1]
	v_lshl_add_u64 v[4:5], s[4:5], 0, v[6:7]
	v_lshl_add_u64 v[10:11], s[4:5], 0, v[8:9]
	v_add_u32_e32 v0, s3, v0
	global_load_dword v4, v[4:5], off
	v_lshl_add_u64 v[6:7], s[6:7], 0, v[6:7]
	global_load_dword v5, v[10:11], off
	v_lshlrev_b64 v[10:11], 2, v[0:1]
	v_add_u32_e32 v0, s3, v0
	v_lshl_add_u64 v[8:9], s[6:7], 0, v[8:9]
	v_lshlrev_b64 v[12:13], 2, v[0:1]
	global_load_dword v6, v[6:7], off
	v_lshl_add_u64 v[14:15], s[4:5], 0, v[12:13]
	global_load_dword v7, v[8:9], off
	v_lshl_add_u64 v[8:9], s[4:5], 0, v[10:11]
	v_lshl_add_u64 v[10:11], s[6:7], 0, v[10:11]
	v_lshl_add_u64 v[12:13], s[6:7], 0, v[12:13]
	v_add_u32_e32 v0, s10, v0
	global_load_dword v10, v[10:11], off
	v_mov_b32_e32 v3, v1
	global_load_dword v11, v[12:13], off
	v_lshlrev_b64 v[12:13], 2, v[0:1]
	global_load_dword v8, v[8:9], off
	v_add_u32_e32 v0, s3, v0
	global_load_dword v9, v[14:15], off
	v_lshl_add_u64 v[14:15], s[4:5], 0, v[12:13]
	global_load_dword v34, v[14:15], off
	v_lshlrev_b64 v[14:15], 2, v[0:1]
	v_lshl_add_u64 v[12:13], s[6:7], 0, v[12:13]
	v_lshl_add_u64 v[16:17], s[4:5], 0, v[14:15]
	v_add_u32_e32 v0, s3, v0
	global_load_dword v13, v[12:13], off
	v_lshlrev_b64 v[22:23], 2, v[2:3]
	global_load_dword v12, v[16:17], off
	v_lshlrev_b64 v[16:17], 2, v[0:1]
	v_add_u32_e32 v0, s3, v0
	v_lshlrev_b64 v[20:21], 2, v[0:1]
	v_add_u32_e32 v0, s3, v2
	v_lshl_add_u64 v[18:19], s[4:5], 0, v[20:21]
	v_lshl_add_u64 v[20:21], s[6:7], 0, v[20:21]
	;; [unrolled: 1-line block ×4, first 2 shown]
	v_lshlrev_b64 v[2:3], 2, v[0:1]
	global_load_dword v21, v[20:21], off
	v_add_u32_e32 v0, s3, v0
	global_load_dword v37, v[22:23], off
	v_lshl_add_u64 v[22:23], s[4:5], 0, v[2:3]
	global_load_dword v36, v[24:25], off
	global_load_dword v38, v[22:23], off
	v_lshl_add_u64 v[22:23], s[6:7], 0, v[2:3]
	global_load_dword v39, v[22:23], off
	v_lshlrev_b64 v[22:23], 2, v[0:1]
	s_mul_i32 s2, s3, 6
	v_lshl_add_u64 v[24:25], s[4:5], 0, v[22:23]
	v_lshl_add_u64 v[22:23], s[6:7], 0, v[22:23]
	v_add_u32_e32 v0, s2, v0
	v_lshl_add_u64 v[14:15], s[6:7], 0, v[14:15]
	global_load_dword v25, v[24:25], off
	v_lshlrev_b64 v[26:27], 2, v[0:1]
	global_load_dword v23, v[22:23], off
	v_lshl_add_u64 v[28:29], s[4:5], 0, v[26:27]
	global_load_dword v35, v[14:15], off
	v_lshl_add_u64 v[14:15], s[4:5], 0, v[16:17]
	v_lshl_add_u64 v[16:17], s[6:7], 0, v[16:17]
	v_lshl_add_u64 v[26:27], s[6:7], 0, v[26:27]
	v_add_u32_e32 v0, s3, v0
	global_load_dword v17, v[16:17], off
	s_mul_i32 s11, s3, 7
	global_load_dword v16, v[26:27], off
	v_lshlrev_b64 v[26:27], 2, v[0:1]
	global_load_dword v15, v[14:15], off
	v_add_u32_e32 v0, s11, v0
	global_load_dword v14, v[28:29], off
	v_lshl_add_u64 v[28:29], s[4:5], 0, v[26:27]
	v_lshl_add_u64 v[26:27], s[6:7], 0, v[26:27]
	global_load_dword v20, v[26:27], off
	v_lshlrev_b64 v[26:27], 2, v[0:1]
	global_load_dword v19, v[18:19], off
	v_add_u32_e32 v0, s3, v0
	global_load_dword v18, v[28:29], off
	v_lshl_add_u64 v[28:29], s[4:5], 0, v[26:27]
	v_lshl_add_u64 v[26:27], s[6:7], 0, v[26:27]
	global_load_dword v41, v[26:27], off
	v_lshlrev_b64 v[26:27], 2, v[0:1]
	global_load_dword v40, v[28:29], off
	v_lshl_add_u64 v[28:29], s[4:5], 0, v[26:27]
	v_add_u32_e32 v0, s3, v0
	global_load_dword v42, v[28:29], off
	v_lshlrev_b64 v[28:29], 2, v[0:1]
	s_mul_i32 s12, s3, 5
	v_lshl_add_u64 v[26:27], s[6:7], 0, v[26:27]
	v_lshl_add_u64 v[30:31], s[4:5], 0, v[28:29]
	;; [unrolled: 1-line block ×3, first 2 shown]
	v_add_u32_e32 v0, s12, v0
	global_load_dword v27, v[26:27], off
	s_waitcnt vmcnt(26)
	v_pk_add_f32 v[4:5], v[4:5], v[6:7] neg_lo:[0,1] neg_hi:[0,1]
	global_load_dword v44, v[28:29], off
	v_lshlrev_b64 v[28:29], 2, v[0:1]
	global_load_dword v43, v[30:31], off
	v_lshl_add_u64 v[30:31], s[4:5], 0, v[28:29]
	global_load_dword v45, v[30:31], off
	v_lshl_add_u64 v[28:29], s[6:7], 0, v[28:29]
	global_load_dword v29, v[28:29], off
	v_add_u32_e32 v0, s3, v0
	v_lshlrev_b64 v[30:31], 2, v[0:1]
	v_lshl_add_u64 v[32:33], s[4:5], 0, v[30:31]
	v_lshl_add_u64 v[30:31], s[6:7], 0, v[30:31]
	global_load_dword v32, v[32:33], off
	v_pk_add_f32 v[4:5], v[4:5], v[4:5] op_sel:[0,1] op_sel_hi:[1,0]
	global_load_dword v30, v[30:31], off
	s_waitcnt vmcnt(28)
	v_pk_add_f32 v[6:7], v[8:9], v[10:11] neg_lo:[0,1] neg_hi:[0,1]
	v_add_u32_e32 v0, s12, v0
	v_pk_add_f32 v[4:5], v[4:5], v[6:7]
	s_lshl_b32 s13, s3, 1
	v_pk_add_f32 v[4:5], v[4:5], v[6:7] op_sel:[0,1] op_sel_hi:[1,0]
	s_mul_i32 s14, s3, 3
	v_mov_b32_e32 v8, v4
	s_lshl_b32 s15, s3, 3
	s_waitcnt vmcnt(22)
	v_sub_f32_e32 v22, v36, v37
	s_waitcnt vmcnt(20)
	v_sub_f32_e32 v24, v38, v39
	s_waitcnt vmcnt(18)
	v_pk_add_f32 v[10:11], v[24:25], v[22:23] neg_lo:[0,1] neg_hi:[0,1]
	s_nop 0
	v_pk_add_f32 v[10:11], v[10:11], v[10:11] op_sel:[0,1] op_sel_hi:[1,0]
	s_waitcnt vmcnt(17)
	v_sub_f32_e32 v9, v12, v35
	v_mov_b32_e32 v11, v34
	v_mov_b32_e32 v12, v4
	v_pk_add_f32 v[6:7], v[10:11], v[12:13] neg_lo:[0,1] neg_hi:[0,1]
	s_waitcnt vmcnt(10)
	v_pk_add_f32 v[10:11], v[18:19], v[20:21] neg_lo:[0,1] neg_hi:[0,1]
	v_pk_add_f32 v[4:5], v[6:7], v[4:5] neg_lo:[0,1] neg_hi:[0,1]
	v_pk_add_f32 v[6:7], v[6:7], v[8:9]
	v_pk_add_f32 v[8:9], v[14:15], v[16:17] neg_lo:[0,1] neg_hi:[0,1]
	v_mov_b32_e32 v5, v7
	v_pk_add_f32 v[4:5], v[4:5], v[8:9] neg_lo:[0,1] neg_hi:[0,1]
	v_add_f32_e32 v6, v7, v9
	v_pk_add_f32 v[4:5], v[4:5], v[10:11] neg_lo:[0,1] neg_hi:[0,1]
	v_add_f32_e32 v6, v6, v11
	v_lshlrev_b64 v[8:9], 2, v[0:1]
	v_pk_add_f32 v[4:5], v[4:5], v[6:7] op_sel_hi:[1,0] neg_lo:[0,1] neg_hi:[0,1]
	v_lshl_add_u64 v[10:11], s[4:5], 0, v[8:9]
	v_lshl_add_u64 v[8:9], s[6:7], 0, v[8:9]
	v_add_u32_e32 v0, s10, v0
	s_waitcnt vmcnt(8)
	v_sub_f32_e32 v26, v40, v41
	s_waitcnt vmcnt(7)
	v_mov_b32_e32 v5, v42
	global_load_dword v47, v[8:9], off
	v_lshlrev_b64 v[8:9], 2, v[0:1]
	s_waitcnt vmcnt(7)
	v_pk_add_f32 v[4:5], v[4:5], v[26:27] neg_lo:[0,1] neg_hi:[0,1]
	global_load_dword v46, v[10:11], off
	v_lshl_add_u64 v[10:11], s[4:5], 0, v[8:9]
	v_add_u32_e32 v0, s3, v0
	v_pk_add_f32 v[4:5], v[4:5], v[4:5] op_sel:[0,1] op_sel_hi:[1,0] neg_lo:[0,1] neg_hi:[0,1]
	global_load_dword v48, v[10:11], off
	v_lshlrev_b64 v[10:11], 2, v[0:1]
	v_add_u32_e32 v0, s3, v0
	s_waitcnt vmcnt(7)
	v_sub_f32_e32 v28, v43, v44
	s_waitcnt vmcnt(6)
	v_mov_b32_e32 v5, v45
	v_lshl_add_u64 v[8:9], s[6:7], 0, v[8:9]
	v_lshlrev_b64 v[12:13], 2, v[0:1]
	s_waitcnt vmcnt(5)
	v_pk_add_f32 v[6:7], v[4:5], v[28:29] neg_lo:[0,1] neg_hi:[0,1]
	global_load_dword v5, v[8:9], off
	v_lshl_add_u64 v[8:9], s[4:5], 0, v[10:11]
	v_lshl_add_u64 v[14:15], s[4:5], 0, v[12:13]
	v_add_u32_e32 v0, s3, v0
	global_load_dword v8, v[8:9], off
	v_lshl_add_u64 v[10:11], s[6:7], 0, v[10:11]
	global_load_dword v9, v[14:15], off
	v_lshlrev_b64 v[14:15], 2, v[0:1]
	v_add_u32_e32 v0, s10, v0
	v_lshl_add_u64 v[12:13], s[6:7], 0, v[12:13]
	v_lshlrev_b64 v[16:17], 2, v[0:1]
	global_load_dword v10, v[10:11], off
	v_lshl_add_u64 v[18:19], s[4:5], 0, v[16:17]
	global_load_dword v11, v[12:13], off
	v_lshl_add_u64 v[12:13], s[4:5], 0, v[14:15]
	v_lshl_add_u64 v[14:15], s[6:7], 0, v[14:15]
	;; [unrolled: 1-line block ×3, first 2 shown]
	v_add_u32_e32 v0, s3, v0
	global_load_dword v14, v[14:15], off
	v_pk_add_f32 v[6:7], v[6:7], v[6:7] op_sel:[0,1] op_sel_hi:[1,0] neg_lo:[0,1] neg_hi:[0,1]
	global_load_dword v15, v[16:17], off
	v_lshlrev_b64 v[16:17], 2, v[0:1]
	global_load_dword v12, v[12:13], off
	v_add_u32_e32 v0, s13, v0
	global_load_dword v13, v[18:19], off
	v_lshl_add_u64 v[18:19], s[4:5], 0, v[16:17]
	v_lshl_add_u64 v[16:17], s[6:7], 0, v[16:17]
	global_load_dword v50, v[16:17], off
	v_lshlrev_b64 v[16:17], 2, v[0:1]
	global_load_dword v49, v[18:19], off
	v_lshl_add_u64 v[18:19], s[4:5], 0, v[16:17]
	v_add_u32_e32 v0, s13, v0
	global_load_dword v51, v[18:19], off
	v_lshlrev_b64 v[18:19], 2, v[0:1]
	v_add_u32_e32 v0, s13, v0
	v_lshlrev_b64 v[20:21], 2, v[0:1]
	v_lshl_add_u64 v[22:23], s[4:5], 0, v[20:21]
	v_add_u32_e32 v0, s3, v0
	global_load_dword v53, v[22:23], off
	v_lshlrev_b64 v[22:23], 2, v[0:1]
	v_add_u32_e32 v0, s3, v0
	v_lshl_add_u64 v[16:17], s[6:7], 0, v[16:17]
	v_lshlrev_b64 v[26:27], 2, v[0:1]
	v_add_u32_e32 v0, s13, v0
	global_load_dword v52, v[16:17], off
	v_lshl_add_u64 v[16:17], s[4:5], 0, v[18:19]
	v_lshl_add_u64 v[18:19], s[6:7], 0, v[18:19]
	;; [unrolled: 1-line block ×4, first 2 shown]
	v_lshlrev_b64 v[28:29], 2, v[0:1]
	global_load_dword v17, v[16:17], off
	v_add_u32_e32 v0, s3, v0
	global_load_dword v19, v[18:19], off
	v_lshl_add_u64 v[20:21], s[6:7], 0, v[20:21]
	global_load_dword v26, v[26:27], off
	s_waitcnt vmcnt(20)
	v_sub_f32_e32 v4, v32, v30
	v_lshl_add_u64 v[30:31], s[4:5], 0, v[28:29]
	v_lshl_add_u64 v[28:29], s[6:7], 0, v[28:29]
	global_load_dword v27, v[28:29], off
	v_lshlrev_b64 v[28:29], 2, v[0:1]
	v_add_u32_e32 v0, s10, v0
	global_load_dword v54, v[20:21], off
	v_lshl_add_u64 v[20:21], s[4:5], 0, v[22:23]
	v_lshl_add_u64 v[22:23], s[6:7], 0, v[22:23]
	v_lshlrev_b64 v[32:33], 2, v[0:1]
	global_load_dword v21, v[20:21], off
	v_lshl_add_u64 v[34:35], s[4:5], 0, v[32:33]
	global_load_dword v23, v[22:23], off
	v_lshl_add_u64 v[32:33], s[6:7], 0, v[32:33]
	global_load_dword v24, v[24:25], off
	v_add_u32_e32 v0, s14, v0
	global_load_dword v25, v[30:31], off
	v_lshl_add_u64 v[30:31], s[4:5], 0, v[28:29]
	v_lshl_add_u64 v[28:29], s[6:7], 0, v[28:29]
	global_load_dword v28, v[28:29], off
	s_waitcnt vmcnt(24)
	v_mov_b32_e32 v7, v48
	global_load_dword v29, v[32:33], off
	v_lshlrev_b64 v[32:33], 2, v[0:1]
	global_load_dword v30, v[30:31], off
	v_add_u32_e32 v0, s13, v0
	global_load_dword v31, v[34:35], off
	v_lshl_add_u64 v[34:35], s[4:5], 0, v[32:33]
	v_lshl_add_u64 v[32:33], s[6:7], 0, v[32:33]
	global_load_dword v56, v[32:33], off
	v_lshlrev_b64 v[32:33], 2, v[0:1]
	global_load_dword v55, v[34:35], off
	v_lshl_add_u64 v[34:35], s[4:5], 0, v[32:33]
	v_add_u32_e32 v0, s3, v0
	global_load_dword v57, v[34:35], off
	v_lshlrev_b64 v[34:35], 2, v[0:1]
	v_add_u32_e32 v0, s3, v0
	v_lshlrev_b64 v[38:39], 2, v[0:1]
	v_lshl_add_u64 v[32:33], s[6:7], 0, v[32:33]
	v_lshl_add_u64 v[36:37], s[4:5], 0, v[34:35]
	;; [unrolled: 1-line block ×5, first 2 shown]
	v_add_u32_e32 v0, s3, v0
	global_load_dword v33, v[32:33], off
	v_sub_f32_e32 v16, v46, v47
	global_load_dword v34, v[34:35], off
	s_waitcnt vmcnt(31)
	v_pk_add_f32 v[4:5], v[6:7], v[4:5] neg_lo:[0,1] neg_hi:[0,1]
	global_load_dword v35, v[38:39], off
	v_lshlrev_b64 v[38:39], 2, v[0:1]
	v_add_u32_e32 v0, s2, v0
	global_load_dword v36, v[36:37], off
	v_lshlrev_b64 v[42:43], 2, v[0:1]
	global_load_dword v37, v[40:41], off
	v_lshl_add_u64 v[40:41], s[4:5], 0, v[38:39]
	v_lshl_add_u64 v[38:39], s[6:7], 0, v[38:39]
	;; [unrolled: 1-line block ×4, first 2 shown]
	global_load_dword v40, v[40:41], off
	v_add_f32_e32 v4, v4, v16
	global_load_dword v38, v[38:39], off
	v_add_f32_e32 v6, v4, v5
	global_load_dword v41, v[44:45], off
	global_load_dword v39, v[42:43], off
	s_waitcnt vmcnt(34)
	v_pk_add_f32 v[4:5], v[8:9], v[10:11] neg_lo:[0,1] neg_hi:[0,1]
	s_waitcnt vmcnt(28)
	v_sub_f32_e32 v18, v49, v50
	v_add_f32_e32 v4, v6, v4
	v_add_f32_e32 v6, v4, v5
	v_pk_add_f32 v[4:5], v[12:13], v[14:15] neg_lo:[0,1] neg_hi:[0,1]
	v_add_u32_e32 v0, s3, v0
	v_add_f32_e32 v4, v6, v4
	v_sub_f32_e32 v16, v4, v5
	s_waitcnt vmcnt(25)
	v_sub_f32_e32 v6, v51, v52
	v_lshlrev_b64 v[42:43], 2, v[0:1]
	v_lshl_add_u64 v[44:45], s[4:5], 0, v[42:43]
	v_lshl_add_u64 v[42:43], s[6:7], 0, v[42:43]
	v_add_u32_e32 v0, s12, v0
	global_load_dword v59, v[42:43], off
	s_waitcnt vmcnt(24)
	v_pk_add_f32 v[4:5], v[16:17], v[18:19] neg_lo:[0,1] neg_hi:[0,1]
	v_lshlrev_b64 v[42:43], 2, v[0:1]
	v_add_f32_e32 v4, v4, v6
	v_add_f32_e32 v20, v4, v5
	v_add_u32_e32 v0, s3, v0
	v_lshl_add_u64 v[10:11], s[6:7], 0, v[42:43]
	global_load_dword v58, v[44:45], off
	s_waitcnt vmcnt(22)
	v_sub_f32_e32 v22, v53, v54
	s_waitcnt vmcnt(20)
	v_pk_add_f32 v[4:5], v[20:21], v[22:23] neg_lo:[0,1] neg_hi:[0,1]
	s_nop 0
	v_pk_add_f32 v[4:5], v[4:5], v[4:5] op_sel:[0,1] op_sel_hi:[1,0]
	s_waitcnt vmcnt(18)
	v_pk_add_f32 v[6:7], v[24:25], v[26:27] neg_lo:[0,1] neg_hi:[0,1]
	s_nop 0
	v_pk_add_f32 v[4:5], v[4:5], v[6:7]
	s_waitcnt vmcnt(12)
	v_sub_f32_e32 v32, v55, v56
	v_pk_add_f32 v[4:5], v[4:5], v[6:7] op_sel:[0,1] op_sel_hi:[1,0]
	s_nop 0
	v_pk_add_f32 v[4:5], v[6:7], v[4:5] op_sel:[1,0] op_sel_hi:[0,1]
	v_pk_add_f32 v[6:7], v[30:31], v[28:29] neg_lo:[0,1] neg_hi:[0,1]
	s_nop 0
	v_pk_add_f32 v[4:5], v[4:5], v[6:7]
	s_nop 0
	v_pk_add_f32 v[4:5], v[4:5], v[6:7] op_sel:[0,1] op_sel_hi:[1,0]
	s_waitcnt vmcnt(6)
	v_pk_add_f32 v[6:7], v[36:37], v[34:35] neg_lo:[0,1] neg_hi:[0,1]
	v_mov_b32_e32 v5, v57
	v_pk_add_f32 v[4:5], v[4:5], v[32:33] neg_lo:[0,1] neg_hi:[0,1]
	s_nop 0
	v_pk_add_f32 v[4:5], v[4:5], v[4:5] op_sel:[0,1] op_sel_hi:[1,0]
	s_nop 0
	v_pk_add_f32 v[4:5], v[4:5], v[6:7]
	s_nop 0
	v_pk_add_f32 v[4:5], v[4:5], v[6:7] op_sel:[0,1] op_sel_hi:[1,0]
	s_waitcnt vmcnt(2)
	v_pk_add_f32 v[6:7], v[40:41], v[38:39] neg_lo:[0,1] neg_hi:[0,1]
	s_nop 0
	v_pk_add_f32 v[8:9], v[4:5], v[6:7]
	global_load_dword v5, v[10:11], off
	v_pk_add_f32 v[6:7], v[8:9], v[6:7] op_sel:[0,1] op_sel_hi:[1,0] neg_lo:[0,1] neg_hi:[0,1]
	v_lshlrev_b64 v[8:9], 2, v[0:1]
	v_lshl_add_u64 v[10:11], s[4:5], 0, v[8:9]
	global_load_dword v40, v[10:11], off
	v_lshl_add_u64 v[44:45], s[4:5], 0, v[42:43]
	global_load_dword v44, v[44:45], off
	v_lshl_add_u64 v[8:9], s[6:7], 0, v[8:9]
	v_add_u32_e32 v0, s3, v0
	global_load_dword v41, v[8:9], off
	v_lshlrev_b64 v[8:9], 2, v[0:1]
	v_lshl_add_u64 v[10:11], s[4:5], 0, v[8:9]
	v_lshl_add_u64 v[8:9], s[6:7], 0, v[8:9]
	v_add_u32_e32 v0, s15, v0
	global_load_dword v43, v[8:9], off
	v_lshlrev_b64 v[8:9], 2, v[0:1]
	v_add_u32_e32 v0, s10, v0
	v_lshlrev_b64 v[12:13], 2, v[0:1]
	v_add_u32_e32 v0, s3, v0
	global_load_dword v42, v[10:11], off
	v_lshl_add_u64 v[10:11], s[4:5], 0, v[8:9]
	v_lshlrev_b64 v[14:15], 2, v[0:1]
	v_lshl_add_u64 v[16:17], s[4:5], 0, v[14:15]
	v_add_u32_e32 v0, s13, v0
	v_lshl_add_u64 v[14:15], s[6:7], 0, v[14:15]
	v_lshl_add_u64 v[8:9], s[6:7], 0, v[8:9]
	global_load_dword v9, v[8:9], off
	s_waitcnt vmcnt(7)
	v_sub_f32_e32 v4, v58, v59
	s_waitcnt vmcnt(4)
	v_mov_b32_e32 v7, v44
	global_load_dword v44, v[10:11], off
	v_lshl_add_u64 v[10:11], s[4:5], 0, v[12:13]
	global_load_dword v10, v[10:11], off
	v_lshl_add_u64 v[12:13], s[6:7], 0, v[12:13]
	global_load_dword v11, v[16:17], off
	v_lshlrev_b64 v[16:17], 2, v[0:1]
	v_add_u32_e32 v0, s13, v0
	v_lshlrev_b64 v[18:19], 2, v[0:1]
	global_load_dword v12, v[12:13], off
	v_lshl_add_u64 v[20:21], s[4:5], 0, v[18:19]
	global_load_dword v13, v[14:15], off
	v_lshl_add_u64 v[14:15], s[4:5], 0, v[16:17]
	v_lshl_add_u64 v[16:17], s[6:7], 0, v[16:17]
	;; [unrolled: 1-line block ×3, first 2 shown]
	v_add_u32_e32 v0, s3, v0
	global_load_dword v16, v[16:17], off
	v_pk_add_f32 v[4:5], v[6:7], v[4:5] neg_lo:[0,1] neg_hi:[0,1]
	global_load_dword v17, v[18:19], off
	v_lshlrev_b64 v[18:19], 2, v[0:1]
	global_load_dword v14, v[14:15], off
	v_add_u32_e32 v0, s3, v0
	global_load_dword v15, v[20:21], off
	v_lshl_add_u64 v[20:21], s[4:5], 0, v[18:19]
	global_load_dword v45, v[20:21], off
	v_lshlrev_b64 v[20:21], 2, v[0:1]
	v_add_u32_e32 v0, s10, v0
	v_lshl_add_u64 v[18:19], s[6:7], 0, v[18:19]
	v_lshlrev_b64 v[22:23], 2, v[0:1]
	global_load_dword v46, v[18:19], off
	v_lshl_add_u64 v[18:19], s[4:5], 0, v[20:21]
	v_lshl_add_u64 v[20:21], s[6:7], 0, v[20:21]
	;; [unrolled: 1-line block ×4, first 2 shown]
	v_add_u32_e32 v0, s14, v0
	global_load_dword v21, v[20:21], off
	v_pk_add_f32 v[4:5], v[4:5], v[4:5] op_sel:[0,1] op_sel_hi:[1,0]
	global_load_dword v48, v[22:23], off
	v_lshlrev_b64 v[22:23], 2, v[0:1]
	global_load_dword v47, v[24:25], off
	v_lshl_add_u64 v[24:25], s[4:5], 0, v[22:23]
	v_add_u32_e32 v0, s14, v0
	global_load_dword v49, v[24:25], off
	v_lshlrev_b64 v[24:25], 2, v[0:1]
	v_lshl_add_u64 v[26:27], s[4:5], 0, v[24:25]
	v_lshl_add_u64 v[24:25], s[6:7], 0, v[24:25]
	v_add_u32_e32 v0, s3, v0
	global_load_dword v51, v[24:25], off
	v_lshlrev_b64 v[24:25], 2, v[0:1]
	global_load_dword v50, v[26:27], off
	v_lshl_add_u64 v[26:27], s[4:5], 0, v[24:25]
	v_lshl_add_u64 v[24:25], s[6:7], 0, v[24:25]
	v_add_u32_e32 v0, s2, v0
	global_load_dword v53, v[24:25], off
	v_lshlrev_b64 v[24:25], 2, v[0:1]
	global_load_dword v52, v[26:27], off
	v_lshl_add_u64 v[26:27], s[4:5], 0, v[24:25]
	v_add_u32_e32 v0, s3, v0
	global_load_dword v54, v[26:27], off
	v_lshlrev_b64 v[26:27], 2, v[0:1]
	v_add_u32_e32 v0, s13, v0
	global_load_dword v19, v[18:19], off
	v_lshlrev_b64 v[30:31], 2, v[0:1]
	v_lshl_add_u64 v[28:29], s[4:5], 0, v[26:27]
	v_lshl_add_u64 v[26:27], s[6:7], 0, v[26:27]
	;; [unrolled: 1-line block ×4, first 2 shown]
	v_add_u32_e32 v0, s2, v0
	v_lshl_add_u64 v[22:23], s[6:7], 0, v[22:23]
	global_load_dword v26, v[26:27], off
	v_lshl_add_u64 v[24:25], s[6:7], 0, v[24:25]
	global_load_dword v27, v[30:31], off
	v_lshlrev_b64 v[30:31], 2, v[0:1]
	v_add_u32_e32 v0, s13, v0
	global_load_dword v23, v[22:23], off
	v_lshlrev_b64 v[34:35], 2, v[0:1]
	global_load_dword v28, v[28:29], off
	v_lshl_add_u64 v[36:37], s[4:5], 0, v[34:35]
	global_load_dword v29, v[32:33], off
	v_lshl_add_u64 v[32:33], s[4:5], 0, v[30:31]
	v_lshl_add_u64 v[30:31], s[6:7], 0, v[30:31]
	;; [unrolled: 1-line block ×3, first 2 shown]
	v_add_u32_e32 v0, s3, v0
	global_load_dword v30, v[30:31], off
	s_waitcnt vmcnt(30)
	v_sub_f32_e32 v8, v40, v41
	global_load_dword v31, v[34:35], off
	v_lshlrev_b64 v[34:35], 2, v[0:1]
	global_load_dword v25, v[24:25], off
	v_add_u32_e32 v0, s3, v0
	global_load_dword v32, v[32:33], off
	s_waitcnt vmcnt(29)
	v_mov_b32_e32 v5, v44
	global_load_dword v33, v[36:37], off
	v_lshl_add_u64 v[36:37], s[4:5], 0, v[34:35]
	v_lshl_add_u64 v[34:35], s[6:7], 0, v[34:35]
	global_load_dword v56, v[34:35], off
	v_lshlrev_b64 v[34:35], 2, v[0:1]
	v_add_u32_e32 v0, s10, v0
	global_load_dword v55, v[36:37], off
	v_lshlrev_b64 v[36:37], 2, v[0:1]
	v_lshl_add_u64 v[38:39], s[4:5], 0, v[36:37]
	v_lshl_add_u64 v[36:37], s[6:7], 0, v[36:37]
	v_add_u32_e32 v0, s3, v0
	global_load_dword v58, v[36:37], off
	v_lshlrev_b64 v[36:37], 2, v[0:1]
	global_load_dword v57, v[38:39], off
	v_lshl_add_u64 v[38:39], s[4:5], 0, v[36:37]
	global_load_dword v59, v[38:39], off
	v_lshl_add_u64 v[38:39], s[4:5], 0, v[34:35]
	v_lshl_add_u64 v[34:35], s[6:7], 0, v[34:35]
	global_load_dword v39, v[38:39], off
	v_lshl_add_u64 v[36:37], s[6:7], 0, v[36:37]
	global_load_dword v35, v[34:35], off
	v_sub_f32_e32 v6, v42, v43
	global_load_dword v37, v[36:37], off
	v_pk_add_f32 v[4:5], v[4:5], v[8:9] neg_lo:[0,1] neg_hi:[0,1]
	s_waitcnt vmcnt(28)
	v_sub_f32_e32 v20, v45, v46
	v_add_f32_e32 v4, v4, v6
	v_add_f32_e32 v6, v4, v5
	v_pk_add_f32 v[4:5], v[10:11], v[12:13] neg_lo:[0,1] neg_hi:[0,1]
	s_waitcnt vmcnt(25)
	v_sub_f32_e32 v22, v47, v48
	v_add_f32_e32 v4, v6, v4
	v_add_f32_e32 v6, v4, v5
	v_pk_add_f32 v[4:5], v[14:15], v[16:17] neg_lo:[0,1] neg_hi:[0,1]
	v_add_u32_e32 v0, s3, v0
	v_add_f32_e32 v4, v6, v4
	v_sub_f32_e32 v18, v4, v5
	s_waitcnt vmcnt(22)
	v_sub_f32_e32 v24, v50, v51
	s_waitcnt vmcnt(20)
	;; [unrolled: 2-line block ×3, first 2 shown]
	v_pk_add_f32 v[4:5], v[18:19], v[20:21] neg_lo:[0,1] neg_hi:[0,1]
	s_nop 0
	v_pk_add_f32 v[4:5], v[4:5], v[4:5] op_sel:[0,1] op_sel_hi:[1,0] neg_lo:[0,1] neg_hi:[0,1]
	s_waitcnt vmcnt(6)
	v_sub_f32_e32 v34, v55, v56
	v_mov_b32_e32 v5, v49
	v_pk_add_f32 v[4:5], v[4:5], v[22:23] neg_lo:[0,1] neg_hi:[0,1]
	s_waitcnt vmcnt(4)
	v_sub_f32_e32 v36, v57, v58
	v_pk_add_f32 v[4:5], v[4:5], v[4:5] op_sel:[0,1] op_sel_hi:[1,0]
	s_nop 0
	v_mov_b32_e32 v5, v54
	v_pk_add_f32 v[4:5], v[4:5], v[24:25] neg_lo:[0,1] neg_hi:[0,1]
	s_nop 0
	v_add_f32_e32 v4, v4, v6
	v_add_f32_e32 v6, v4, v5
	v_pk_add_f32 v[4:5], v[28:29], v[26:27] neg_lo:[0,1] neg_hi:[0,1]
	s_nop 0
	v_add_f32_e32 v4, v6, v4
	v_add_f32_e32 v6, v4, v5
	v_pk_add_f32 v[4:5], v[32:33], v[30:31] neg_lo:[0,1] neg_hi:[0,1]
	s_nop 0
	v_add_f32_e32 v4, v6, v4
	v_sub_f32_e32 v38, v4, v5
	v_lshlrev_b64 v[6:7], 2, v[0:1]
	s_waitcnt vmcnt(1)
	v_pk_add_f32 v[4:5], v[38:39], v[34:35] neg_lo:[0,1] neg_hi:[0,1]
	v_lshl_add_u64 v[8:9], s[4:5], 0, v[6:7]
	v_lshl_add_u64 v[6:7], s[6:7], 0, v[6:7]
	v_add_u32_e32 v0, s3, v0
	v_pk_add_f32 v[4:5], v[4:5], v[4:5] op_sel:[0,1] op_sel_hi:[1,0] neg_lo:[0,1] neg_hi:[0,1]
	global_load_dword v35, v[6:7], off
	v_lshlrev_b64 v[6:7], 2, v[0:1]
	v_mov_b32_e32 v5, v59
	global_load_dword v34, v[8:9], off
	v_lshl_add_u64 v[8:9], s[4:5], 0, v[6:7]
	v_lshl_add_u64 v[6:7], s[6:7], 0, v[6:7]
	s_waitcnt vmcnt(2)
	v_pk_add_f32 v[4:5], v[4:5], v[36:37] neg_lo:[0,1] neg_hi:[0,1]
	global_load_dword v37, v[6:7], off
	v_mad_u64_u32 v[6:7], s[16:17], s3, 11, v[0:1]
	v_mov_b32_e32 v7, v1
	global_load_dword v36, v[8:9], off
	v_lshlrev_b64 v[8:9], 2, v[6:7]
	v_lshl_add_u64 v[10:11], s[4:5], 0, v[8:9]
	v_lshl_add_u64 v[8:9], s[6:7], 0, v[8:9]
	v_add_u32_e32 v0, s13, v6
	global_load_dword v7, v[8:9], off
	v_lshlrev_b64 v[8:9], 2, v[0:1]
	global_load_dword v38, v[10:11], off
	v_lshl_add_u64 v[10:11], s[4:5], 0, v[8:9]
	v_add_u32_e32 v0, s3, v0
	global_load_dword v39, v[10:11], off
	v_lshlrev_b64 v[10:11], 2, v[0:1]
	v_add_u32_e32 v0, s3, v0
	v_lshlrev_b64 v[12:13], 2, v[0:1]
	v_lshl_add_u64 v[14:15], s[4:5], 0, v[12:13]
	v_lshl_add_u64 v[12:13], s[6:7], 0, v[12:13]
	v_add_u32_e32 v0, s2, v0
	global_load_dword v42, v[12:13], off
	v_lshlrev_b64 v[12:13], 2, v[0:1]
	global_load_dword v41, v[14:15], off
	v_lshl_add_u64 v[14:15], s[4:5], 0, v[12:13]
	v_add_u32_e32 v0, s3, v0
	global_load_dword v43, v[14:15], off
	v_lshlrev_b64 v[14:15], 2, v[0:1]
	v_lshl_add_u64 v[16:17], s[4:5], 0, v[14:15]
	v_lshl_add_u64 v[14:15], s[6:7], 0, v[14:15]
	v_add_u32_e32 v0, s15, v0
	global_load_dword v45, v[14:15], off
	v_lshlrev_b64 v[14:15], 2, v[0:1]
	v_add_u32_e32 v0, s13, v0
	v_lshlrev_b64 v[18:19], 2, v[0:1]
	v_add_u32_e32 v0, s14, v0
	global_load_dword v44, v[16:17], off
	v_lshl_add_u64 v[16:17], s[4:5], 0, v[14:15]
	v_lshlrev_b64 v[20:21], 2, v[0:1]
	global_load_dword v46, v[16:17], off
	v_lshl_add_u64 v[16:17], s[4:5], 0, v[18:19]
	v_lshl_add_u64 v[18:19], s[6:7], 0, v[18:19]
	;; [unrolled: 1-line block ×4, first 2 shown]
	v_add_u32_e32 v0, s3, v0
	global_load_dword v18, v[18:19], off
	v_lshl_add_u64 v[8:9], s[6:7], 0, v[8:9]
	global_load_dword v19, v[20:21], off
	v_lshlrev_b64 v[20:21], 2, v[0:1]
	global_load_dword v16, v[16:17], off
	v_add_u32_e32 v0, s13, v0
	global_load_dword v17, v[22:23], off
	v_lshl_add_u64 v[22:23], s[4:5], 0, v[20:21]
	v_lshl_add_u64 v[20:21], s[6:7], 0, v[20:21]
	global_load_dword v48, v[20:21], off
	v_lshlrev_b64 v[20:21], 2, v[0:1]
	global_load_dword v47, v[22:23], off
	v_lshl_add_u64 v[22:23], s[4:5], 0, v[20:21]
	v_lshl_add_u64 v[20:21], s[6:7], 0, v[20:21]
	v_add_u32_e32 v0, s11, v0
	global_load_dword v50, v[20:21], off
	v_lshlrev_b64 v[20:21], 2, v[0:1]
	global_load_dword v49, v[22:23], off
	v_lshl_add_u64 v[22:23], s[4:5], 0, v[20:21]
	v_add_u32_e32 v0, s12, v0
	global_load_dword v51, v[22:23], off
	v_lshlrev_b64 v[22:23], 2, v[0:1]
	v_lshl_add_u64 v[24:25], s[4:5], 0, v[22:23]
	v_lshl_add_u64 v[22:23], s[6:7], 0, v[22:23]
	v_add_u32_e32 v0, s3, v0
	global_load_dword v53, v[22:23], off
	v_lshlrev_b64 v[22:23], 2, v[0:1]
	v_add_u32_e32 v0, s10, v0
	v_lshlrev_b64 v[26:27], 2, v[0:1]
	v_lshl_add_u64 v[28:29], s[4:5], 0, v[26:27]
	v_lshl_add_u64 v[26:27], s[6:7], 0, v[26:27]
	v_add_u32_e32 v0, s3, v0
	global_load_dword v55, v[26:27], off
	v_lshlrev_b64 v[26:27], 2, v[0:1]
	global_load_dword v54, v[28:29], off
	v_lshl_add_u64 v[28:29], s[4:5], 0, v[26:27]
	v_add_u32_e32 v0, s3, v0
	global_load_dword v56, v[28:29], off
	v_lshlrev_b64 v[28:29], 2, v[0:1]
	v_lshl_add_u64 v[30:31], s[4:5], 0, v[28:29]
	v_lshl_add_u64 v[28:29], s[6:7], 0, v[28:29]
	v_add_u32_e32 v0, s3, v0
	global_load_dword v58, v[28:29], off
	v_lshlrev_b64 v[28:29], 2, v[0:1]
	global_load_dword v57, v[30:31], off
	v_lshl_add_u64 v[30:31], s[4:5], 0, v[28:29]
	v_add_u32_e32 v0, s2, v0
	global_load_dword v59, v[30:31], off
	v_lshlrev_b64 v[30:31], 2, v[0:1]
	v_add_u32_e32 v0, s3, v0
	v_lshl_add_u64 v[32:33], s[4:5], 0, v[30:31]
	v_lshl_add_u64 v[30:31], s[6:7], 0, v[30:31]
	v_lshlrev_b64 v[0:1], 2, v[0:1]
	global_load_dword v32, v[32:33], off
	v_lshl_add_u64 v[12:13], s[6:7], 0, v[12:13]
	global_load_dword v33, v[30:31], off
	v_lshl_add_u64 v[30:31], s[4:5], 0, v[0:1]
	v_lshl_add_u64 v[0:1], s[6:7], 0, v[0:1]
	global_load_dword v40, v[8:9], off
	v_lshl_add_u64 v[14:15], s[6:7], 0, v[14:15]
	global_load_dword v1, v[0:1], off
	v_lshl_add_u64 v[8:9], s[4:5], 0, v[10:11]
	v_lshl_add_u64 v[10:11], s[6:7], 0, v[10:11]
	global_load_dword v9, v[8:9], off
	v_lshl_add_u64 v[20:21], s[6:7], 0, v[20:21]
	global_load_dword v11, v[10:11], off
	;; [unrolled: 2-line block ×4, first 2 shown]
	v_pk_add_f32 v[4:5], v[4:5], v[4:5] op_sel:[0,1] op_sel_hi:[1,0] neg_lo:[0,1] neg_hi:[0,1]
	global_load_dword v21, v[20:21], off
	s_waitcnt vmcnt(36)
	v_sub_f32_e32 v6, v34, v35
	global_load_dword v52, v[24:25], off
	v_lshl_add_u64 v[24:25], s[4:5], 0, v[22:23]
	v_lshl_add_u64 v[22:23], s[6:7], 0, v[22:23]
	global_load_dword v25, v[24:25], off
	s_waitcnt vmcnt(34)
	v_mov_b32_e32 v5, v38
	global_load_dword v23, v[22:23], off
	v_sub_f32_e32 v0, v36, v37
	global_load_dword v27, v[26:27], off
	v_pk_add_f32 v[4:5], v[4:5], v[6:7] neg_lo:[0,1] neg_hi:[0,1]
	global_load_dword v29, v[28:29], off
	v_add_f32_e32 v0, v4, v0
	global_load_dword v30, v[30:31], off
	v_add_f32_e32 v8, v0, v5
	s_waitcnt vmcnt(35)
	v_sub_f32_e32 v12, v41, v42
	s_waitcnt vmcnt(32)
	v_sub_f32_e32 v14, v44, v45
	s_waitcnt vmcnt(27)
	v_pk_add_f32 v[6:7], v[16:17], v[18:19] neg_lo:[0,1] neg_hi:[0,1]
	s_load_dword s4, s[0:1], 0x18
	s_load_dwordx2 s[2:3], s[0:1], 0x20
	s_waitcnt vmcnt(25)
	v_sub_f32_e32 v20, v47, v48
	s_waitcnt lgkmcnt(0)
	s_load_dword s0, s[2:3], 0x4
	s_waitcnt vmcnt(23)
	v_sub_f32_e32 v0, v49, v50
	s_waitcnt vmcnt(19)
	v_sub_f32_e32 v26, v54, v55
	;; [unrolled: 2-line block ×4, first 2 shown]
	s_waitcnt vmcnt(9)
	v_pk_add_f32 v[4:5], v[8:9], v[10:11] neg_lo:[0,1] neg_hi:[0,1]
	s_nop 0
	v_pk_add_f32 v[4:5], v[4:5], v[4:5] op_sel:[0,1] op_sel_hi:[1,0] neg_lo:[0,1] neg_hi:[0,1]
	s_waitcnt vmcnt(5)
	v_sub_f32_e32 v22, v52, v53
	v_mov_b32_e32 v5, v43
	v_pk_add_f32 v[4:5], v[4:5], v[12:13] neg_lo:[0,1] neg_hi:[0,1]
	s_nop 0
	v_pk_add_f32 v[4:5], v[4:5], v[4:5] op_sel:[0,1] op_sel_hi:[1,0] neg_lo:[0,1] neg_hi:[0,1]
	s_nop 0
	v_mov_b32_e32 v5, v46
	v_pk_add_f32 v[4:5], v[4:5], v[14:15] neg_lo:[0,1] neg_hi:[0,1]
	s_nop 0
	v_pk_add_f32 v[4:5], v[4:5], v[4:5] op_sel:[0,1] op_sel_hi:[1,0]
	s_nop 0
	v_pk_add_f32 v[4:5], v[4:5], v[6:7]
	s_nop 0
	v_pk_add_f32 v[4:5], v[4:5], v[6:7] op_sel:[0,1] op_sel_hi:[1,0] neg_lo:[0,1] neg_hi:[0,1]
	s_nop 0
	v_mov_b32_e32 v5, v51
	v_pk_add_f32 v[4:5], v[4:5], v[20:21] neg_lo:[0,1] neg_hi:[0,1]
	s_nop 0
	v_add_f32_e32 v0, v4, v0
	v_sub_f32_e32 v24, v0, v5
	s_waitcnt vmcnt(3)
	v_pk_add_f32 v[4:5], v[24:25], v[22:23] neg_lo:[0,1] neg_hi:[0,1]
	v_sub_f32_e32 v0, v32, v33
	v_pk_add_f32 v[4:5], v[4:5], v[4:5] op_sel:[0,1] op_sel_hi:[1,0] neg_lo:[0,1] neg_hi:[0,1]
	s_nop 0
	v_mov_b32_e32 v5, v56
	s_waitcnt vmcnt(2)
	v_pk_add_f32 v[4:5], v[4:5], v[26:27] neg_lo:[0,1] neg_hi:[0,1]
	s_nop 0
	v_pk_add_f32 v[4:5], v[4:5], v[4:5] op_sel:[0,1] op_sel_hi:[1,0] neg_lo:[0,1] neg_hi:[0,1]
	s_nop 0
	v_mov_b32_e32 v5, v59
	s_waitcnt vmcnt(1)
	v_pk_add_f32 v[4:5], v[4:5], v[28:29] neg_lo:[0,1] neg_hi:[0,1]
	s_nop 0
	v_pk_add_f32 v[4:5], v[4:5], v[4:5] op_sel:[0,1] op_sel_hi:[1,0]
	s_waitcnt vmcnt(0)
	v_mov_b32_e32 v5, v30
	v_pk_add_f32 v[0:1], v[4:5], v[0:1] neg_lo:[0,1] neg_hi:[0,1]
	s_nop 0
	v_sub_f32_e32 v0, v0, v1
	v_mul_f32_e32 v0, s4, v0
	s_waitcnt lgkmcnt(0)
	v_mul_f32_e32 v4, s0, v0
	v_lshl_add_u64 v[0:1], s[8:9], 0, v[2:3]
	global_store_dword v[0:1], v4, off
	s_endpgm
	.section	.rodata,"a",@progbits
	.p2align	6, 0x0
	.amdhsa_kernel _Z13rdwdot_kernelIfEvPKT_S2_PS0_S0_S2_
		.amdhsa_group_segment_fixed_size 0
		.amdhsa_private_segment_fixed_size 0
		.amdhsa_kernarg_size 296
		.amdhsa_user_sgpr_count 2
		.amdhsa_user_sgpr_dispatch_ptr 0
		.amdhsa_user_sgpr_queue_ptr 0
		.amdhsa_user_sgpr_kernarg_segment_ptr 1
		.amdhsa_user_sgpr_dispatch_id 0
		.amdhsa_user_sgpr_kernarg_preload_length 0
		.amdhsa_user_sgpr_kernarg_preload_offset 0
		.amdhsa_user_sgpr_private_segment_size 0
		.amdhsa_uses_dynamic_stack 0
		.amdhsa_enable_private_segment 0
		.amdhsa_system_sgpr_workgroup_id_x 1
		.amdhsa_system_sgpr_workgroup_id_y 0
		.amdhsa_system_sgpr_workgroup_id_z 0
		.amdhsa_system_sgpr_workgroup_info 0
		.amdhsa_system_vgpr_workitem_id 0
		.amdhsa_next_free_vgpr 60
		.amdhsa_next_free_sgpr 18
		.amdhsa_accum_offset 60
		.amdhsa_reserve_vcc 0
		.amdhsa_float_round_mode_32 0
		.amdhsa_float_round_mode_16_64 0
		.amdhsa_float_denorm_mode_32 3
		.amdhsa_float_denorm_mode_16_64 3
		.amdhsa_dx10_clamp 1
		.amdhsa_ieee_mode 1
		.amdhsa_fp16_overflow 0
		.amdhsa_tg_split 0
		.amdhsa_exception_fp_ieee_invalid_op 0
		.amdhsa_exception_fp_denorm_src 0
		.amdhsa_exception_fp_ieee_div_zero 0
		.amdhsa_exception_fp_ieee_overflow 0
		.amdhsa_exception_fp_ieee_underflow 0
		.amdhsa_exception_fp_ieee_inexact 0
		.amdhsa_exception_int_div_zero 0
	.end_amdhsa_kernel
	.section	.text._Z13rdwdot_kernelIfEvPKT_S2_PS0_S0_S2_,"axG",@progbits,_Z13rdwdot_kernelIfEvPKT_S2_PS0_S0_S2_,comdat
.Lfunc_end19:
	.size	_Z13rdwdot_kernelIfEvPKT_S2_PS0_S0_S2_, .Lfunc_end19-_Z13rdwdot_kernelIfEvPKT_S2_PS0_S0_S2_
                                        ; -- End function
	.set _Z13rdwdot_kernelIfEvPKT_S2_PS0_S0_S2_.num_vgpr, 60
	.set _Z13rdwdot_kernelIfEvPKT_S2_PS0_S0_S2_.num_agpr, 0
	.set _Z13rdwdot_kernelIfEvPKT_S2_PS0_S0_S2_.numbered_sgpr, 18
	.set _Z13rdwdot_kernelIfEvPKT_S2_PS0_S0_S2_.num_named_barrier, 0
	.set _Z13rdwdot_kernelIfEvPKT_S2_PS0_S0_S2_.private_seg_size, 0
	.set _Z13rdwdot_kernelIfEvPKT_S2_PS0_S0_S2_.uses_vcc, 0
	.set _Z13rdwdot_kernelIfEvPKT_S2_PS0_S0_S2_.uses_flat_scratch, 0
	.set _Z13rdwdot_kernelIfEvPKT_S2_PS0_S0_S2_.has_dyn_sized_stack, 0
	.set _Z13rdwdot_kernelIfEvPKT_S2_PS0_S0_S2_.has_recursion, 0
	.set _Z13rdwdot_kernelIfEvPKT_S2_PS0_S0_S2_.has_indirect_call, 0
	.section	.AMDGPU.csdata,"",@progbits
; Kernel info:
; codeLenInByte = 5132
; TotalNumSgprs: 24
; NumVgprs: 60
; NumAgprs: 0
; TotalNumVgprs: 60
; ScratchSize: 0
; MemoryBound: 0
; FloatMode: 240
; IeeeMode: 1
; LDSByteSize: 0 bytes/workgroup (compile time only)
; SGPRBlocks: 2
; VGPRBlocks: 7
; NumSGPRsForWavesPerEU: 24
; NumVGPRsForWavesPerEU: 60
; AccumOffset: 60
; Occupancy: 8
; WaveLimiterHint : 0
; COMPUTE_PGM_RSRC2:SCRATCH_EN: 0
; COMPUTE_PGM_RSRC2:USER_SGPR: 2
; COMPUTE_PGM_RSRC2:TRAP_HANDLER: 0
; COMPUTE_PGM_RSRC2:TGID_X_EN: 1
; COMPUTE_PGM_RSRC2:TGID_Y_EN: 0
; COMPUTE_PGM_RSRC2:TGID_Z_EN: 0
; COMPUTE_PGM_RSRC2:TIDIG_COMP_CNT: 0
; COMPUTE_PGM_RSRC3_GFX90A:ACCUM_OFFSET: 14
; COMPUTE_PGM_RSRC3_GFX90A:TG_SPLIT: 0
	.section	.text._Z14rdwdot2_kernelIfEvPKT_S2_PS0_S0_S2_,"axG",@progbits,_Z14rdwdot2_kernelIfEvPKT_S2_PS0_S0_S2_,comdat
	.protected	_Z14rdwdot2_kernelIfEvPKT_S2_PS0_S0_S2_ ; -- Begin function _Z14rdwdot2_kernelIfEvPKT_S2_PS0_S0_S2_
	.globl	_Z14rdwdot2_kernelIfEvPKT_S2_PS0_S0_S2_
	.p2align	8
	.type	_Z14rdwdot2_kernelIfEvPKT_S2_PS0_S0_S2_,@function
_Z14rdwdot2_kernelIfEvPKT_S2_PS0_S0_S2_: ; @_Z14rdwdot2_kernelIfEvPKT_S2_PS0_S0_S2_
; %bb.0:
	s_load_dword s3, s[0:1], 0x34
	s_load_dword s10, s[0:1], 0x28
	s_load_dwordx4 s[4:7], s[0:1], 0x0
	s_load_dwordx2 s[8:9], s[0:1], 0x10
	v_mov_b32_e32 v1, 0
	s_waitcnt lgkmcnt(0)
	s_and_b32 s11, s3, 0xffff
	s_mul_i32 s3, s10, s11
	s_mul_i32 s10, s3, 0x78
	;; [unrolled: 1-line block ×3, first 2 shown]
	s_add_i32 s10, s10, s2
	v_add_u32_e32 v0, s10, v0
	v_lshlrev_b64 v[2:3], 2, v[0:1]
	v_lshl_add_u64 v[4:5], s[4:5], 0, v[2:3]
	v_lshl_add_u64 v[2:3], s[6:7], 0, v[2:3]
	global_load_dword v4, v[4:5], off
	s_lshl_b32 s2, s3, 1
	global_load_dword v5, v[2:3], off
	v_mad_u64_u32 v[2:3], s[10:11], s3, 25, v[0:1]
	v_mov_b32_e32 v3, v1
	v_lshlrev_b64 v[6:7], 2, v[2:3]
	v_mad_u64_u32 v[2:3], s[10:11], s3, 19, v[2:3]
	v_lshl_add_u64 v[8:9], s[4:5], 0, v[6:7]
	v_lshl_add_u64 v[6:7], s[6:7], 0, v[6:7]
	v_mov_b32_e32 v3, v1
	global_load_dword v13, v[6:7], off
	v_lshlrev_b64 v[6:7], 2, v[2:3]
	v_add_u32_e32 v0, s2, v2
	global_load_dword v12, v[8:9], off
	v_lshl_add_u64 v[8:9], s[4:5], 0, v[6:7]
	v_lshl_add_u64 v[6:7], s[6:7], 0, v[6:7]
	v_lshlrev_b64 v[2:3], 2, v[0:1]
	global_load_dword v15, v[6:7], off
	v_lshl_add_u64 v[6:7], s[4:5], 0, v[2:3]
	v_lshl_add_u64 v[2:3], s[6:7], 0, v[2:3]
	global_load_dword v17, v[2:3], off
	v_mad_u64_u32 v[2:3], s[10:11], s3, 18, v[0:1]
	v_mov_b32_e32 v3, v1
	global_load_dword v14, v[8:9], off
	global_load_dword v16, v[6:7], off
	v_lshlrev_b64 v[6:7], 2, v[2:3]
	v_add_u32_e32 v0, s3, v2
	v_lshl_add_u64 v[8:9], s[4:5], 0, v[6:7]
	v_lshl_add_u64 v[6:7], s[6:7], 0, v[6:7]
	v_lshlrev_b64 v[2:3], 2, v[0:1]
	global_load_dword v19, v[6:7], off
	v_lshl_add_u64 v[6:7], s[4:5], 0, v[2:3]
	v_lshl_add_u64 v[2:3], s[6:7], 0, v[2:3]
	v_add_u32_e32 v0, s3, v0
	global_load_dword v21, v[2:3], off
	v_lshlrev_b64 v[2:3], 2, v[0:1]
	global_load_dword v18, v[8:9], off
	global_load_dword v20, v[6:7], off
	v_lshl_add_u64 v[6:7], s[4:5], 0, v[2:3]
	v_lshl_add_u64 v[2:3], s[6:7], 0, v[2:3]
	v_add_u32_e32 v0, s3, v0
	global_load_dword v23, v[2:3], off
	v_lshlrev_b64 v[2:3], 2, v[0:1]
	global_load_dword v22, v[6:7], off
	v_lshl_add_u64 v[6:7], s[4:5], 0, v[2:3]
	v_lshl_add_u64 v[2:3], s[6:7], 0, v[2:3]
	v_add_u32_e32 v0, s3, v0
	global_load_dword v25, v[2:3], off
	v_lshlrev_b64 v[2:3], 2, v[0:1]
	s_mul_i32 s10, s3, 3
	global_load_dword v24, v[6:7], off
	v_lshl_add_u64 v[6:7], s[4:5], 0, v[2:3]
	v_lshl_add_u64 v[2:3], s[6:7], 0, v[2:3]
	v_add_u32_e32 v0, s10, v0
	global_load_dword v27, v[2:3], off
	v_lshlrev_b64 v[2:3], 2, v[0:1]
	global_load_dword v26, v[6:7], off
	v_lshl_add_u64 v[6:7], s[4:5], 0, v[2:3]
	v_lshl_add_u64 v[2:3], s[6:7], 0, v[2:3]
	v_add_u32_e32 v0, s10, v0
	global_load_dword v29, v[2:3], off
	v_lshlrev_b64 v[2:3], 2, v[0:1]
	;; [unrolled: 6-line block ×5, first 2 shown]
	global_load_dword v34, v[6:7], off
	v_lshl_add_u64 v[6:7], s[4:5], 0, v[2:3]
	v_lshl_add_u64 v[2:3], s[6:7], 0, v[2:3]
	v_lshl_add_u32 v0, s3, 3, v0
	global_load_dword v37, v[2:3], off
	v_lshlrev_b64 v[2:3], 2, v[0:1]
	s_mul_i32 s10, s3, 0xffffff46
	global_load_dword v36, v[6:7], off
	v_lshl_add_u64 v[6:7], s[4:5], 0, v[2:3]
	v_lshl_add_u64 v[2:3], s[6:7], 0, v[2:3]
	v_add_u32_e32 v0, s10, v0
	s_mul_i32 s10, s3, 0x7d
	global_load_dword v39, v[2:3], off
	v_lshl_add_u64 v[2:3], v[0:1], 2, s[8:9]
	v_add_u32_e32 v0, s10, v0
	global_load_dword v38, v[6:7], off
	v_lshlrev_b64 v[6:7], 2, v[0:1]
	v_lshl_add_u64 v[8:9], s[4:5], 0, v[6:7]
	v_lshl_add_u64 v[6:7], s[6:7], 0, v[6:7]
	global_load_dword v41, v[6:7], off
	v_mad_u64_u32 v[6:7], s[10:11], s3, 45, v[0:1]
	v_mov_b32_e32 v7, v1
	global_load_dword v40, v[8:9], off
	v_lshlrev_b64 v[8:9], 2, v[6:7]
	v_add_u32_e32 v0, s3, v6
	v_lshl_add_u64 v[10:11], s[4:5], 0, v[8:9]
	v_lshl_add_u64 v[8:9], s[6:7], 0, v[8:9]
	v_lshlrev_b64 v[6:7], 2, v[0:1]
	global_load_dword v43, v[8:9], off
	v_lshl_add_u64 v[8:9], s[4:5], 0, v[6:7]
	v_lshl_add_u64 v[6:7], s[6:7], 0, v[6:7]
	v_add_u32_e32 v0, s2, v0
	global_load_dword v45, v[6:7], off
	v_lshlrev_b64 v[6:7], 2, v[0:1]
	global_load_dword v42, v[10:11], off
	global_load_dword v44, v[8:9], off
	v_lshl_add_u64 v[8:9], s[4:5], 0, v[6:7]
	v_lshl_add_u64 v[6:7], s[6:7], 0, v[6:7]
	v_add_u32_e32 v0, s3, v0
	global_load_dword v47, v[6:7], off
	v_lshlrev_b64 v[6:7], 2, v[0:1]
	global_load_dword v46, v[8:9], off
	v_lshl_add_u64 v[8:9], s[4:5], 0, v[6:7]
	v_lshl_add_u64 v[6:7], s[6:7], 0, v[6:7]
	global_load_dword v49, v[6:7], off
	v_mad_u64_u32 v[6:7], s[10:11], s3, 6, v[0:1]
	global_load_dword v48, v[8:9], off
	v_mov_b32_e32 v7, v1
	v_lshlrev_b64 v[8:9], 2, v[6:7]
	v_add_u32_e32 v0, s2, v6
	v_lshl_add_u64 v[10:11], s[4:5], 0, v[8:9]
	v_lshl_add_u64 v[8:9], s[6:7], 0, v[8:9]
	v_lshlrev_b64 v[6:7], 2, v[0:1]
	global_load_dword v10, v[10:11], off
	v_add_u32_e32 v0, s3, v0
	global_load_dword v11, v[8:9], off
	v_lshl_add_u64 v[8:9], s[4:5], 0, v[6:7]
	v_lshl_add_u64 v[6:7], s[6:7], 0, v[6:7]
	global_load_dword v51, v[6:7], off
	v_lshlrev_b64 v[6:7], 2, v[0:1]
	global_load_dword v50, v[8:9], off
	v_lshl_add_u64 v[8:9], s[4:5], 0, v[6:7]
	v_lshl_add_u64 v[6:7], s[6:7], 0, v[6:7]
	v_add_u32_e32 v0, s2, v0
	global_load_dword v53, v[6:7], off
	v_lshlrev_b64 v[6:7], 2, v[0:1]
	global_load_dword v52, v[8:9], off
	v_lshl_add_u64 v[8:9], s[4:5], 0, v[6:7]
	v_lshl_add_u64 v[6:7], s[6:7], 0, v[6:7]
	global_load_dword v8, v[8:9], off
	s_waitcnt vmcnt(45)
	v_sub_f32_e32 v4, v4, v5
	global_load_dword v6, v[6:7], off
	s_waitcnt vmcnt(44)
	v_sub_f32_e32 v5, v12, v13
	v_add_f32_e32 v4, v4, v5
	s_waitcnt vmcnt(41)
	v_sub_f32_e32 v5, v14, v15
	v_add_f32_e32 v4, v4, v5
	s_waitcnt vmcnt(40)
	v_sub_f32_e32 v5, v16, v17
	v_add_f32_e32 v4, v4, v5
	s_waitcnt vmcnt(37)
	v_sub_f32_e32 v5, v18, v19
	v_sub_f32_e32 v4, v4, v5
	s_waitcnt vmcnt(36)
	v_sub_f32_e32 v7, v20, v21
	v_sub_f32_e32 v4, v4, v7
	s_waitcnt vmcnt(34)
	v_sub_f32_e32 v7, v22, v23
	s_load_dword s2, s[0:1], 0x18
	s_load_dwordx2 s[4:5], s[0:1], 0x20
	v_sub_f32_e32 v4, v4, v7
	s_waitcnt vmcnt(32)
	v_sub_f32_e32 v9, v24, v25
	v_sub_f32_e32 v4, v4, v9
	s_waitcnt vmcnt(30)
	v_sub_f32_e32 v9, v26, v27
	;; [unrolled: 3-line block ×3, first 2 shown]
	v_add_f32_e32 v4, v4, v12
	s_waitcnt vmcnt(26)
	v_sub_f32_e32 v13, v30, v31
	v_add_f32_e32 v4, v4, v13
	s_waitcnt vmcnt(24)
	v_sub_f32_e32 v14, v32, v33
	;; [unrolled: 3-line block ×3, first 2 shown]
	s_waitcnt lgkmcnt(0)
	s_load_dwordx2 s[0:1], s[4:5], 0x4c
	v_add_f32_e32 v4, v4, v15
	s_waitcnt vmcnt(20)
	v_sub_f32_e32 v16, v36, v37
	v_add_f32_e32 v4, v4, v16
	s_waitcnt vmcnt(18)
	v_sub_f32_e32 v17, v38, v39
	v_add_f32_e32 v4, v4, v17
	v_mul_f32_e32 v4, s2, v4
	s_waitcnt lgkmcnt(0)
	v_mul_f32_e32 v4, s0, v4
	global_store_dword v[2:3], v4, off
	s_waitcnt vmcnt(17)
	v_sub_f32_e32 v2, v40, v41
	v_add_f32_e32 v2, v5, v2
	v_add_f32_e32 v2, v7, v2
	;; [unrolled: 1-line block ×3, first 2 shown]
	s_mul_i32 s0, s3, 0xffffff48
	v_add_u32_e32 v0, s0, v0
	s_waitcnt vmcnt(14)
	v_sub_f32_e32 v3, v42, v43
	v_sub_f32_e32 v2, v2, v3
	s_waitcnt vmcnt(13)
	v_sub_f32_e32 v3, v44, v45
	v_sub_f32_e32 v2, v2, v3
	;; [unrolled: 1-line block ×3, first 2 shown]
	s_waitcnt vmcnt(11)
	v_sub_f32_e32 v3, v46, v47
	v_sub_f32_e32 v2, v2, v3
	s_waitcnt vmcnt(9)
	v_sub_f32_e32 v3, v48, v49
	v_sub_f32_e32 v2, v2, v3
	;; [unrolled: 1-line block ×6, first 2 shown]
	s_waitcnt vmcnt(7)
	v_sub_f32_e32 v3, v10, v11
	v_add_f32_e32 v2, v3, v2
	s_waitcnt vmcnt(5)
	v_sub_f32_e32 v3, v50, v51
	v_add_f32_e32 v2, v3, v2
	;; [unrolled: 3-line block ×4, first 2 shown]
	v_mul_f32_e32 v2, s2, v2
	v_mul_f32_e32 v4, s1, v2
	v_lshl_add_u64 v[2:3], v[0:1], 2, s[8:9]
	v_add_u32_e32 v0, s3, v0
	global_store_dword v[2:3], v4, off
	v_lshl_add_u64 v[2:3], v[0:1], 2, s[8:9]
	global_store_dword v[2:3], v1, off
	s_endpgm
	.section	.rodata,"a",@progbits
	.p2align	6, 0x0
	.amdhsa_kernel _Z14rdwdot2_kernelIfEvPKT_S2_PS0_S0_S2_
		.amdhsa_group_segment_fixed_size 0
		.amdhsa_private_segment_fixed_size 0
		.amdhsa_kernarg_size 296
		.amdhsa_user_sgpr_count 2
		.amdhsa_user_sgpr_dispatch_ptr 0
		.amdhsa_user_sgpr_queue_ptr 0
		.amdhsa_user_sgpr_kernarg_segment_ptr 1
		.amdhsa_user_sgpr_dispatch_id 0
		.amdhsa_user_sgpr_kernarg_preload_length 0
		.amdhsa_user_sgpr_kernarg_preload_offset 0
		.amdhsa_user_sgpr_private_segment_size 0
		.amdhsa_uses_dynamic_stack 0
		.amdhsa_enable_private_segment 0
		.amdhsa_system_sgpr_workgroup_id_x 1
		.amdhsa_system_sgpr_workgroup_id_y 0
		.amdhsa_system_sgpr_workgroup_id_z 0
		.amdhsa_system_sgpr_workgroup_info 0
		.amdhsa_system_vgpr_workitem_id 0
		.amdhsa_next_free_vgpr 54
		.amdhsa_next_free_sgpr 12
		.amdhsa_accum_offset 56
		.amdhsa_reserve_vcc 0
		.amdhsa_float_round_mode_32 0
		.amdhsa_float_round_mode_16_64 0
		.amdhsa_float_denorm_mode_32 3
		.amdhsa_float_denorm_mode_16_64 3
		.amdhsa_dx10_clamp 1
		.amdhsa_ieee_mode 1
		.amdhsa_fp16_overflow 0
		.amdhsa_tg_split 0
		.amdhsa_exception_fp_ieee_invalid_op 0
		.amdhsa_exception_fp_denorm_src 0
		.amdhsa_exception_fp_ieee_div_zero 0
		.amdhsa_exception_fp_ieee_overflow 0
		.amdhsa_exception_fp_ieee_underflow 0
		.amdhsa_exception_fp_ieee_inexact 0
		.amdhsa_exception_int_div_zero 0
	.end_amdhsa_kernel
	.section	.text._Z14rdwdot2_kernelIfEvPKT_S2_PS0_S0_S2_,"axG",@progbits,_Z14rdwdot2_kernelIfEvPKT_S2_PS0_S0_S2_,comdat
.Lfunc_end20:
	.size	_Z14rdwdot2_kernelIfEvPKT_S2_PS0_S0_S2_, .Lfunc_end20-_Z14rdwdot2_kernelIfEvPKT_S2_PS0_S0_S2_
                                        ; -- End function
	.set _Z14rdwdot2_kernelIfEvPKT_S2_PS0_S0_S2_.num_vgpr, 54
	.set _Z14rdwdot2_kernelIfEvPKT_S2_PS0_S0_S2_.num_agpr, 0
	.set _Z14rdwdot2_kernelIfEvPKT_S2_PS0_S0_S2_.numbered_sgpr, 12
	.set _Z14rdwdot2_kernelIfEvPKT_S2_PS0_S0_S2_.num_named_barrier, 0
	.set _Z14rdwdot2_kernelIfEvPKT_S2_PS0_S0_S2_.private_seg_size, 0
	.set _Z14rdwdot2_kernelIfEvPKT_S2_PS0_S0_S2_.uses_vcc, 0
	.set _Z14rdwdot2_kernelIfEvPKT_S2_PS0_S0_S2_.uses_flat_scratch, 0
	.set _Z14rdwdot2_kernelIfEvPKT_S2_PS0_S0_S2_.has_dyn_sized_stack, 0
	.set _Z14rdwdot2_kernelIfEvPKT_S2_PS0_S0_S2_.has_recursion, 0
	.set _Z14rdwdot2_kernelIfEvPKT_S2_PS0_S0_S2_.has_indirect_call, 0
	.section	.AMDGPU.csdata,"",@progbits
; Kernel info:
; codeLenInByte = 1624
; TotalNumSgprs: 18
; NumVgprs: 54
; NumAgprs: 0
; TotalNumVgprs: 54
; ScratchSize: 0
; MemoryBound: 0
; FloatMode: 240
; IeeeMode: 1
; LDSByteSize: 0 bytes/workgroup (compile time only)
; SGPRBlocks: 2
; VGPRBlocks: 6
; NumSGPRsForWavesPerEU: 18
; NumVGPRsForWavesPerEU: 54
; AccumOffset: 56
; Occupancy: 8
; WaveLimiterHint : 0
; COMPUTE_PGM_RSRC2:SCRATCH_EN: 0
; COMPUTE_PGM_RSRC2:USER_SGPR: 2
; COMPUTE_PGM_RSRC2:TRAP_HANDLER: 0
; COMPUTE_PGM_RSRC2:TGID_X_EN: 1
; COMPUTE_PGM_RSRC2:TGID_Y_EN: 0
; COMPUTE_PGM_RSRC2:TGID_Z_EN: 0
; COMPUTE_PGM_RSRC2:TIDIG_COMP_CNT: 0
; COMPUTE_PGM_RSRC3_GFX90A:ACCUM_OFFSET: 13
; COMPUTE_PGM_RSRC3_GFX90A:TG_SPLIT: 0
	.section	.text._Z14rdwdot3_kernelIfEvPKT_S2_PS0_S0_S2_,"axG",@progbits,_Z14rdwdot3_kernelIfEvPKT_S2_PS0_S0_S2_,comdat
	.protected	_Z14rdwdot3_kernelIfEvPKT_S2_PS0_S0_S2_ ; -- Begin function _Z14rdwdot3_kernelIfEvPKT_S2_PS0_S0_S2_
	.globl	_Z14rdwdot3_kernelIfEvPKT_S2_PS0_S0_S2_
	.p2align	8
	.type	_Z14rdwdot3_kernelIfEvPKT_S2_PS0_S0_S2_,@function
_Z14rdwdot3_kernelIfEvPKT_S2_PS0_S0_S2_: ; @_Z14rdwdot3_kernelIfEvPKT_S2_PS0_S0_S2_
; %bb.0:
	s_load_dwordx4 s[4:7], s[0:1], 0x0
	s_load_dwordx2 s[8:9], s[0:1], 0x10
	s_load_dword s14, s[0:1], 0x18
	s_load_dwordx2 s[12:13], s[0:1], 0x20
	s_load_dword s15, s[0:1], 0x28
	s_load_dword s3, s[0:1], 0x34
	v_mov_b32_e32 v1, 0
	s_waitcnt lgkmcnt(0)
	s_and_b32 s0, s3, 0xffff
	s_mul_i32 s15, s15, s0
	s_mul_i32 s1, s15, 0x71
	;; [unrolled: 1-line block ×3, first 2 shown]
	s_add_i32 s1, s1, s2
	v_add_u32_e32 v0, s1, v0
	v_lshlrev_b64 v[2:3], 2, v[0:1]
	v_lshl_add_u64 v[4:5], s[4:5], 0, v[2:3]
	v_lshl_add_u64 v[2:3], s[6:7], 0, v[2:3]
	global_load_dword v4, v[4:5], off
	s_lshl_b32 s0, s15, 3
	global_load_dword v2, v[2:3], off
	v_add_u32_e32 v0, s0, v0
	s_mul_i32 s1, s15, 0xffffffa5
	s_mul_i32 s22, s15, 6
	s_lshl_b32 s23, s15, 2
	s_mul_i32 s20, s15, 12
	s_lshl_b32 s17, s15, 1
	s_mul_i32 s21, s15, 3
	s_mul_i32 s19, s15, 39
	;; [unrolled: 1-line block ×3, first 2 shown]
	s_waitcnt vmcnt(0)
	v_sub_f32_e32 v6, v4, v2
	v_lshlrev_b64 v[2:3], 2, v[0:1]
	v_lshl_add_u64 v[4:5], s[4:5], 0, v[2:3]
	v_lshl_add_u64 v[2:3], s[6:7], 0, v[2:3]
	global_load_dword v4, v[4:5], off
	v_add_u32_e32 v0, s1, v0
	global_load_dword v2, v[2:3], off
	s_waitcnt vmcnt(0)
	v_sub_f32_e32 v2, v4, v2
	v_lshlrev_b64 v[4:5], 2, v[0:1]
	v_sub_f32_e32 v2, v6, v2
	v_lshl_add_u64 v[6:7], s[4:5], 0, v[4:5]
	v_lshl_add_u64 v[4:5], s[6:7], 0, v[4:5]
	global_load_dword v3, v[6:7], off
	v_add_u32_e32 v0, s22, v0
	global_load_dword v4, v[4:5], off
	s_waitcnt vmcnt(0)
	v_sub_f32_e32 v3, v3, v4
	v_lshlrev_b64 v[4:5], 2, v[0:1]
	v_lshl_add_u64 v[6:7], s[4:5], 0, v[4:5]
	v_lshl_add_u64 v[4:5], s[6:7], 0, v[4:5]
	global_load_dword v6, v[6:7], off
	v_add_u32_e32 v0, s23, v0
	global_load_dword v4, v[4:5], off
	s_waitcnt vmcnt(0)
	v_sub_f32_e32 v4, v6, v4
	v_add_f32_e32 v3, v3, v4
	v_lshlrev_b64 v[4:5], 2, v[0:1]
	v_lshl_add_u64 v[6:7], s[4:5], 0, v[4:5]
	v_lshl_add_u64 v[4:5], s[6:7], 0, v[4:5]
	global_load_dword v6, v[6:7], off
	v_add_u32_e32 v0, s20, v0
	global_load_dword v4, v[4:5], off
	s_waitcnt vmcnt(0)
	v_sub_f32_e32 v4, v6, v4
	v_add_f32_e32 v3, v3, v4
	;; [unrolled: 9-line block ×3, first 2 shown]
	v_lshlrev_b64 v[4:5], 2, v[0:1]
	v_lshl_add_u64 v[6:7], s[4:5], 0, v[4:5]
	v_lshl_add_u64 v[4:5], s[6:7], 0, v[4:5]
	global_load_dword v6, v[6:7], off
	v_add_u32_e32 v0, s0, v0
	global_load_dword v4, v[4:5], off
	s_mul_i32 s0, s15, 7
	s_waitcnt vmcnt(0)
	v_sub_f32_e32 v4, v6, v4
	v_add_f32_e32 v3, v3, v4
	v_lshlrev_b64 v[4:5], 2, v[0:1]
	v_lshl_add_u64 v[6:7], s[4:5], 0, v[4:5]
	v_lshl_add_u64 v[4:5], s[6:7], 0, v[4:5]
	global_load_dword v6, v[6:7], off
	v_add_u32_e32 v0, s0, v0
	global_load_dword v4, v[4:5], off
	s_waitcnt vmcnt(0)
	v_sub_f32_e32 v4, v6, v4
	v_add_f32_e32 v3, v3, v4
	v_lshlrev_b64 v[4:5], 2, v[0:1]
	v_lshl_add_u64 v[6:7], s[4:5], 0, v[4:5]
	v_lshl_add_u64 v[4:5], s[6:7], 0, v[4:5]
	global_load_dword v6, v[6:7], off
	v_add_u32_e32 v0, s15, v0
	global_load_dword v4, v[4:5], off
	;; [unrolled: 9-line block ×3, first 2 shown]
	s_waitcnt vmcnt(0)
	v_sub_f32_e32 v4, v6, v4
	v_sub_f32_e32 v3, v3, v4
	v_lshlrev_b64 v[4:5], 2, v[0:1]
	v_lshl_add_u64 v[6:7], s[4:5], 0, v[4:5]
	v_lshl_add_u64 v[4:5], s[6:7], 0, v[4:5]
	global_load_dword v6, v[6:7], off
	v_add_u32_e32 v0, s15, v0
	global_load_dword v4, v[4:5], off
	s_waitcnt vmcnt(0)
	v_sub_f32_e32 v4, v6, v4
	v_sub_f32_e32 v3, v3, v4
	v_lshlrev_b64 v[4:5], 2, v[0:1]
	v_lshl_add_u64 v[6:7], s[4:5], 0, v[4:5]
	v_lshl_add_u64 v[4:5], s[6:7], 0, v[4:5]
	global_load_dword v6, v[6:7], off
	v_add_u32_e32 v0, s15, v0
	global_load_dword v4, v[4:5], off
	;; [unrolled: 9-line block ×5, first 2 shown]
	s_waitcnt vmcnt(0)
	v_sub_f32_e32 v4, v6, v4
	v_sub_f32_e32 v3, v3, v4
	v_lshlrev_b64 v[4:5], 2, v[0:1]
	v_lshl_add_u64 v[6:7], s[4:5], 0, v[4:5]
	v_lshl_add_u64 v[8:9], s[6:7], 0, v[4:5]
	global_load_dword v10, v[6:7], off
	global_load_dword v4, v[8:9], off
	v_add_u32_e32 v0, s17, v0
	s_waitcnt vmcnt(0)
	v_sub_f32_e32 v4, v10, v4
	v_sub_f32_e32 v3, v3, v4
	v_lshlrev_b64 v[4:5], 2, v[0:1]
	v_lshl_add_u64 v[10:11], s[4:5], 0, v[4:5]
	v_lshl_add_u64 v[4:5], s[6:7], 0, v[4:5]
	global_load_dword v10, v[10:11], off
	v_add_u32_e32 v0, s23, v0
	global_load_dword v4, v[4:5], off
	s_waitcnt vmcnt(0)
	v_sub_f32_e32 v4, v10, v4
	v_add_f32_e32 v3, v3, v4
	v_lshlrev_b64 v[4:5], 2, v[0:1]
	v_lshl_add_u64 v[10:11], s[4:5], 0, v[4:5]
	v_lshl_add_u64 v[4:5], s[6:7], 0, v[4:5]
	global_load_dword v10, v[10:11], off
	v_add_u32_e32 v0, s0, v0
	global_load_dword v4, v[4:5], off
	s_waitcnt vmcnt(0)
	v_sub_f32_e32 v4, v10, v4
	v_add_f32_e32 v3, v3, v4
	v_lshlrev_b64 v[4:5], 2, v[0:1]
	v_lshl_add_u64 v[10:11], s[4:5], 0, v[4:5]
	v_lshl_add_u64 v[4:5], s[6:7], 0, v[4:5]
	global_load_dword v10, v[10:11], off
	v_add_u32_e32 v0, s22, v0
	global_load_dword v4, v[4:5], off
	s_waitcnt vmcnt(0)
	v_sub_f32_e32 v4, v10, v4
	v_sub_f32_e32 v3, v3, v4
	v_lshlrev_b64 v[4:5], 2, v[0:1]
	v_lshl_add_u64 v[10:11], s[4:5], 0, v[4:5]
	v_lshl_add_u64 v[4:5], s[6:7], 0, v[4:5]
	global_load_dword v10, v[10:11], off
	v_add_u32_e32 v0, s21, v0
	global_load_dword v4, v[4:5], off
	s_waitcnt vmcnt(0)
	v_sub_f32_e32 v4, v10, v4
	v_add_f32_e32 v3, v3, v4
	v_lshlrev_b64 v[4:5], 2, v[0:1]
	v_lshl_add_u64 v[10:11], s[4:5], 0, v[4:5]
	v_lshl_add_u64 v[4:5], s[6:7], 0, v[4:5]
	global_load_dword v10, v[10:11], off
	v_add_u32_e32 v0, s15, v0
	global_load_dword v4, v[4:5], off
	s_waitcnt vmcnt(0)
	v_sub_f32_e32 v4, v10, v4
	v_add_f32_e32 v3, v3, v4
	;; [unrolled: 9-line block ×4, first 2 shown]
	v_lshlrev_b64 v[4:5], 2, v[0:1]
	v_lshl_add_u64 v[10:11], s[4:5], 0, v[4:5]
	v_lshl_add_u64 v[4:5], s[6:7], 0, v[4:5]
	global_load_dword v10, v[10:11], off
	s_nop 0
	global_load_dword v4, v[4:5], off
	s_waitcnt vmcnt(0)
	v_sub_f32_e32 v4, v10, v4
	v_add_f32_e32 v3, v3, v4
	v_mad_u64_u32 v[4:5], s[0:1], s15, 14, v[0:1]
	v_mov_b32_e32 v5, v1
	v_lshlrev_b64 v[10:11], 2, v[4:5]
	v_lshl_add_u64 v[12:13], s[4:5], 0, v[10:11]
	v_lshl_add_u64 v[10:11], s[6:7], 0, v[10:11]
	global_load_dword v0, v[12:13], off
	global_load_dword v5, v[10:11], off
	s_waitcnt vmcnt(0)
	v_sub_f32_e32 v0, v0, v5
	v_add_f32_e32 v12, v3, v0
	v_add_u32_e32 v0, s22, v4
	v_lshlrev_b64 v[4:5], 2, v[0:1]
	v_lshl_add_u64 v[10:11], s[4:5], 0, v[4:5]
	v_lshl_add_u64 v[4:5], s[6:7], 0, v[4:5]
	global_load_dword v3, v[10:11], off
	v_add_u32_e32 v0, s20, v0
	global_load_dword v4, v[4:5], off
	s_waitcnt vmcnt(0)
	v_sub_f32_e32 v3, v3, v4
	v_lshlrev_b64 v[4:5], 2, v[0:1]
	v_lshl_add_u64 v[10:11], s[4:5], 0, v[4:5]
	v_lshl_add_u64 v[4:5], s[6:7], 0, v[4:5]
	global_load_dword v10, v[10:11], off
	v_add_f32_e32 v12, v12, v3
	global_load_dword v4, v[4:5], off
	v_add_u32_e32 v0, s18, v0
	s_waitcnt vmcnt(0)
	v_sub_f32_e32 v4, v10, v4
	v_add_f32_e32 v12, v12, v4
	v_lshlrev_b64 v[4:5], 2, v[0:1]
	v_lshl_add_u64 v[10:11], s[4:5], 0, v[4:5]
	v_lshl_add_u64 v[4:5], s[6:7], 0, v[4:5]
	global_load_dword v10, v[10:11], off
	s_nop 0
	global_load_dword v4, v[4:5], off
	s_waitcnt vmcnt(0)
	v_sub_f32_e32 v4, v10, v4
	v_add_f32_e32 v14, v12, v4
	v_mad_u64_u32 v[4:5], s[0:1], s15, 11, v[0:1]
	v_mov_b32_e32 v5, v1
	v_lshlrev_b64 v[10:11], 2, v[4:5]
	v_lshl_add_u64 v[12:13], s[4:5], 0, v[10:11]
	v_lshl_add_u64 v[10:11], s[6:7], 0, v[10:11]
	global_load_dword v0, v[12:13], off
	global_load_dword v5, v[10:11], off
	s_waitcnt vmcnt(0)
	v_sub_f32_e32 v0, v0, v5
	v_mad_u64_u32 v[4:5], s[0:1], s15, 13, v[4:5]
	v_mov_b32_e32 v5, v1
	v_lshlrev_b64 v[10:11], 2, v[4:5]
	v_lshl_add_u64 v[12:13], s[4:5], 0, v[10:11]
	v_lshl_add_u64 v[10:11], s[6:7], 0, v[10:11]
	global_load_dword v5, v[12:13], off
	v_add_f32_e32 v0, v14, v0
	global_load_dword v10, v[10:11], off
	s_waitcnt vmcnt(0)
	v_sub_f32_e32 v5, v5, v10
	v_add_f32_e32 v12, v0, v5
	v_add_u32_e32 v0, s21, v4
	v_lshlrev_b64 v[4:5], 2, v[0:1]
	v_lshl_add_u64 v[10:11], s[4:5], 0, v[4:5]
	v_lshl_add_u64 v[4:5], s[6:7], 0, v[4:5]
	global_load_dword v10, v[10:11], off
	s_nop 0
	global_load_dword v4, v[4:5], off
	s_load_dwordx4 s[0:3], s[12:13], 0x30
	s_load_dwordx2 s[10:11], s[12:13], 0x40
	s_load_dword s16, s[12:13], 0x48
	s_waitcnt vmcnt(0)
	v_sub_f32_e32 v4, v10, v4
	v_add_f32_e32 v4, v12, v4
	v_mul_f32_e32 v4, s14, v4
	s_waitcnt lgkmcnt(0)
	v_mul_f32_e32 v10, s0, v4
	s_mul_i32 s0, s15, 0xffffff41
	v_add_u32_e32 v0, s0, v0
	v_lshl_add_u64 v[4:5], v[0:1], 2, s[8:9]
	global_store_dword v[4:5], v10, off
	v_mad_u64_u32 v[4:5], s[12:13], s15, 44, v[0:1]
	v_mov_b32_e32 v5, v1
	v_lshlrev_b64 v[10:11], 2, v[4:5]
	v_lshl_add_u64 v[12:13], s[4:5], 0, v[10:11]
	v_lshl_add_u64 v[10:11], s[6:7], 0, v[10:11]
	global_load_dword v0, v[12:13], off
	global_load_dword v5, v[10:11], off
	s_mul_i32 s0, s15, 0xffffff7e
	s_waitcnt vmcnt(0)
	v_sub_f32_e32 v12, v0, v5
	v_add_u32_e32 v0, s15, v4
	v_lshlrev_b64 v[4:5], 2, v[0:1]
	v_lshl_add_u64 v[10:11], s[4:5], 0, v[4:5]
	v_lshl_add_u64 v[4:5], s[6:7], 0, v[4:5]
	global_load_dword v10, v[10:11], off
	s_nop 0
	global_load_dword v4, v[4:5], off
	s_waitcnt vmcnt(0)
	v_sub_f32_e32 v4, v10, v4
	v_add_f32_e32 v12, v12, v4
	v_mad_u64_u32 v[4:5], s[12:13], s15, 53, v[0:1]
	v_mov_b32_e32 v5, v1
	v_lshlrev_b64 v[10:11], 2, v[4:5]
	v_lshl_add_u64 v[18:19], s[4:5], 0, v[10:11]
	v_lshl_add_u64 v[20:21], s[6:7], 0, v[10:11]
	global_load_dword v0, v[18:19], off
	global_load_dword v5, v[20:21], off
	s_waitcnt vmcnt(0)
	v_sub_f32_e32 v0, v0, v5
	v_add_f32_e32 v10, v12, v0
	v_add_u32_e32 v0, s17, v4
	v_lshlrev_b64 v[4:5], 2, v[0:1]
	v_lshl_add_u64 v[14:15], s[4:5], 0, v[4:5]
	v_lshl_add_u64 v[16:17], s[6:7], 0, v[4:5]
	global_load_dword v11, v[14:15], off
	global_load_dword v4, v[16:17], off
	v_add_u32_e32 v0, s17, v0
	s_waitcnt vmcnt(0)
	v_sub_f32_e32 v4, v11, v4
	v_add_f32_e32 v4, v10, v4
	v_sub_f32_e32 v2, v4, v2
	v_lshlrev_b64 v[4:5], 2, v[0:1]
	v_lshl_add_u64 v[10:11], s[4:5], 0, v[4:5]
	v_lshl_add_u64 v[4:5], s[6:7], 0, v[4:5]
	global_load_dword v10, v[10:11], off
	v_add_u32_e32 v0, s15, v0
	global_load_dword v4, v[4:5], off
	s_waitcnt vmcnt(0)
	v_sub_f32_e32 v4, v10, v4
	v_add_f32_e32 v2, v2, v4
	v_lshlrev_b64 v[4:5], 2, v[0:1]
	v_lshl_add_u64 v[22:23], s[4:5], 0, v[4:5]
	v_lshl_add_u64 v[24:25], s[6:7], 0, v[4:5]
	global_load_dword v10, v[22:23], off
	global_load_dword v4, v[24:25], off
	v_add_u32_e32 v0, s15, v0
	s_waitcnt vmcnt(0)
	v_sub_f32_e32 v4, v10, v4
	v_sub_f32_e32 v2, v2, v4
	v_lshlrev_b64 v[4:5], 2, v[0:1]
	v_lshl_add_u64 v[10:11], s[4:5], 0, v[4:5]
	v_lshl_add_u64 v[4:5], s[6:7], 0, v[4:5]
	global_load_dword v10, v[10:11], off
	v_add_u32_e32 v0, s15, v0
	global_load_dword v4, v[4:5], off
	s_waitcnt vmcnt(0)
	v_sub_f32_e32 v4, v10, v4
	v_sub_f32_e32 v2, v2, v4
	v_lshlrev_b64 v[4:5], 2, v[0:1]
	v_lshl_add_u64 v[10:11], s[4:5], 0, v[4:5]
	v_lshl_add_u64 v[12:13], s[6:7], 0, v[4:5]
	global_load_dword v26, v[10:11], off
	global_load_dword v4, v[12:13], off
	v_add_u32_e32 v0, s15, v0
	s_waitcnt vmcnt(0)
	v_sub_f32_e32 v4, v26, v4
	v_sub_f32_e32 v2, v2, v4
	v_lshlrev_b64 v[4:5], 2, v[0:1]
	v_lshl_add_u64 v[26:27], s[4:5], 0, v[4:5]
	v_lshl_add_u64 v[4:5], s[6:7], 0, v[4:5]
	global_load_dword v26, v[26:27], off
	v_add_u32_e32 v0, s15, v0
	global_load_dword v4, v[4:5], off
	s_waitcnt vmcnt(0)
	v_sub_f32_e32 v4, v26, v4
	v_sub_f32_e32 v2, v2, v4
	v_lshlrev_b64 v[4:5], 2, v[0:1]
	v_lshl_add_u64 v[26:27], s[4:5], 0, v[4:5]
	v_lshl_add_u64 v[4:5], s[6:7], 0, v[4:5]
	global_load_dword v26, v[26:27], off
	v_add_u32_e32 v0, s15, v0
	global_load_dword v4, v[4:5], off
	;; [unrolled: 9-line block ×4, first 2 shown]
	s_waitcnt vmcnt(0)
	v_sub_f32_e32 v4, v26, v4
	v_add_f32_e32 v2, v2, v4
	v_lshlrev_b64 v[4:5], 2, v[0:1]
	v_lshl_add_u64 v[26:27], s[4:5], 0, v[4:5]
	v_lshl_add_u64 v[4:5], s[6:7], 0, v[4:5]
	global_load_dword v26, v[26:27], off
	v_add_u32_e32 v0, s15, v0
	global_load_dword v4, v[4:5], off
	s_waitcnt vmcnt(0)
	v_sub_f32_e32 v4, v26, v4
	v_add_f32_e32 v2, v2, v4
	v_lshlrev_b64 v[4:5], 2, v[0:1]
	v_lshl_add_u64 v[26:27], s[4:5], 0, v[4:5]
	v_lshl_add_u64 v[4:5], s[6:7], 0, v[4:5]
	global_load_dword v26, v[26:27], off
	v_add_u32_e32 v0, s22, v0
	global_load_dword v4, v[4:5], off
	;; [unrolled: 9-line block ×3, first 2 shown]
	s_mul_i32 s0, s15, 10
	s_waitcnt vmcnt(0)
	v_sub_f32_e32 v4, v26, v4
	v_add_f32_e32 v2, v2, v4
	v_mul_f32_e32 v2, s14, v2
	v_mul_f32_e32 v2, s1, v2
	s_mul_i32 s1, s15, 0x4d
	v_lshl_add_u64 v[4:5], v[0:1], 2, s[8:9]
	v_add_u32_e32 v0, s1, v0
	global_store_dword v[4:5], v2, off
	v_lshlrev_b64 v[4:5], 2, v[0:1]
	v_lshl_add_u64 v[26:27], s[4:5], 0, v[4:5]
	v_lshl_add_u64 v[4:5], s[6:7], 0, v[4:5]
	global_load_dword v2, v[26:27], off
	v_add_u32_e32 v0, s15, v0
	global_load_dword v4, v[4:5], off
	s_waitcnt vmcnt(0)
	v_sub_f32_e32 v2, v2, v4
	v_lshlrev_b64 v[4:5], 2, v[0:1]
	v_lshl_add_u64 v[26:27], s[4:5], 0, v[4:5]
	v_lshl_add_u64 v[4:5], s[6:7], 0, v[4:5]
	global_load_dword v26, v[26:27], off
	v_add_u32_e32 v0, s21, v0
	global_load_dword v4, v[4:5], off
	s_waitcnt vmcnt(0)
	v_sub_f32_e32 v4, v26, v4
	v_add_f32_e32 v2, v2, v4
	v_lshlrev_b64 v[4:5], 2, v[0:1]
	v_lshl_add_u64 v[26:27], s[4:5], 0, v[4:5]
	v_lshl_add_u64 v[28:29], s[6:7], 0, v[4:5]
	global_load_dword v30, v[26:27], off
	global_load_dword v4, v[28:29], off
	v_add_u32_e32 v0, s0, v0
	s_waitcnt vmcnt(0)
	v_sub_f32_e32 v4, v30, v4
	v_add_f32_e32 v2, v2, v4
	v_lshlrev_b64 v[4:5], 2, v[0:1]
	v_lshl_add_u64 v[30:31], s[4:5], 0, v[4:5]
	v_lshl_add_u64 v[4:5], s[6:7], 0, v[4:5]
	global_load_dword v30, v[30:31], off
	s_nop 0
	global_load_dword v4, v[4:5], off
	s_waitcnt vmcnt(0)
	v_sub_f32_e32 v4, v30, v4
	v_add_f32_e32 v2, v2, v4
	v_mad_u64_u32 v[4:5], s[12:13], s15, 27, v[0:1]
	v_mov_b32_e32 v5, v1
	v_lshlrev_b64 v[30:31], 2, v[4:5]
	v_lshl_add_u64 v[32:33], s[4:5], 0, v[30:31]
	v_lshl_add_u64 v[30:31], s[6:7], 0, v[30:31]
	global_load_dword v0, v[32:33], off
	global_load_dword v5, v[30:31], off
	s_waitcnt vmcnt(0)
	v_sub_f32_e32 v0, v0, v5
	v_add_f32_e32 v2, v2, v0
	v_add_u32_e32 v0, s0, v4
	v_lshlrev_b64 v[4:5], 2, v[0:1]
	v_lshl_add_u64 v[30:31], s[4:5], 0, v[4:5]
	v_lshl_add_u64 v[4:5], s[6:7], 0, v[4:5]
	global_load_dword v30, v[30:31], off
	v_add_u32_e32 v0, s15, v0
	global_load_dword v4, v[4:5], off
	s_mul_i32 s0, s15, 15
	s_waitcnt vmcnt(0)
	v_sub_f32_e32 v4, v30, v4
	v_add_f32_e32 v2, v2, v4
	v_lshlrev_b64 v[4:5], 2, v[0:1]
	v_lshl_add_u64 v[30:31], s[4:5], 0, v[4:5]
	v_lshl_add_u64 v[4:5], s[6:7], 0, v[4:5]
	global_load_dword v30, v[30:31], off
	v_add_u32_e32 v0, s20, v0
	global_load_dword v4, v[4:5], off
	s_waitcnt vmcnt(0)
	v_sub_f32_e32 v4, v30, v4
	v_add_f32_e32 v2, v2, v4
	v_lshlrev_b64 v[4:5], 2, v[0:1]
	v_lshl_add_u64 v[30:31], s[4:5], 0, v[4:5]
	v_lshl_add_u64 v[4:5], s[6:7], 0, v[4:5]
	global_load_dword v30, v[30:31], off
	v_add_u32_e32 v0, s15, v0
	global_load_dword v4, v[4:5], off
	s_waitcnt vmcnt(0)
	v_sub_f32_e32 v4, v30, v4
	v_sub_f32_e32 v2, v2, v4
	v_lshlrev_b64 v[4:5], 2, v[0:1]
	v_lshl_add_u64 v[30:31], s[4:5], 0, v[4:5]
	v_lshl_add_u64 v[4:5], s[6:7], 0, v[4:5]
	global_load_dword v30, v[30:31], off
	v_add_u32_e32 v0, s15, v0
	global_load_dword v4, v[4:5], off
	s_waitcnt vmcnt(0)
	v_sub_f32_e32 v4, v30, v4
	v_sub_f32_e32 v2, v2, v4
	;; [unrolled: 9-line block ×5, first 2 shown]
	v_sub_f32_e32 v30, v2, v3
	v_lshlrev_b64 v[2:3], 2, v[0:1]
	v_lshl_add_u64 v[4:5], s[4:5], 0, v[2:3]
	v_lshl_add_u64 v[2:3], s[6:7], 0, v[2:3]
	global_load_dword v4, v[4:5], off
	v_add_u32_e32 v0, s15, v0
	global_load_dword v2, v[2:3], off
	s_waitcnt vmcnt(0)
	v_sub_f32_e32 v2, v4, v2
	v_sub_f32_e32 v30, v30, v2
	v_lshlrev_b64 v[2:3], 2, v[0:1]
	v_lshl_add_u64 v[4:5], s[4:5], 0, v[2:3]
	v_lshl_add_u64 v[2:3], s[6:7], 0, v[2:3]
	global_load_dword v4, v[4:5], off
	v_add_u32_e32 v0, s15, v0
	global_load_dword v2, v[2:3], off
	s_waitcnt vmcnt(0)
	v_sub_f32_e32 v2, v4, v2
	v_lshlrev_b64 v[4:5], 2, v[0:1]
	v_sub_f32_e32 v30, v30, v2
	v_lshl_add_u64 v[2:3], s[4:5], 0, v[4:5]
	v_lshl_add_u64 v[4:5], s[6:7], 0, v[4:5]
	global_load_dword v31, v[2:3], off
	global_load_dword v32, v[4:5], off
	v_add_u32_e32 v0, s15, v0
	s_waitcnt vmcnt(0)
	v_sub_f32_e32 v31, v31, v32
	v_sub_f32_e32 v34, v30, v31
	v_lshlrev_b64 v[30:31], 2, v[0:1]
	v_lshl_add_u64 v[32:33], s[4:5], 0, v[30:31]
	v_lshl_add_u64 v[30:31], s[6:7], 0, v[30:31]
	global_load_dword v32, v[32:33], off
	v_add_u32_e32 v0, s15, v0
	global_load_dword v30, v[30:31], off
	s_waitcnt vmcnt(0)
	v_sub_f32_e32 v30, v32, v30
	v_sub_f32_e32 v34, v34, v30
	v_lshlrev_b64 v[30:31], 2, v[0:1]
	v_lshl_add_u64 v[32:33], s[4:5], 0, v[30:31]
	v_lshl_add_u64 v[30:31], s[6:7], 0, v[30:31]
	global_load_dword v32, v[32:33], off
	v_add_u32_e32 v0, s15, v0
	global_load_dword v30, v[30:31], off
	;; [unrolled: 9-line block ×7, first 2 shown]
	s_waitcnt vmcnt(0)
	v_sub_f32_e32 v30, v32, v30
	v_add_f32_e32 v34, v34, v30
	v_lshlrev_b64 v[30:31], 2, v[0:1]
	v_lshl_add_u64 v[32:33], s[4:5], 0, v[30:31]
	v_lshl_add_u64 v[30:31], s[6:7], 0, v[30:31]
	global_load_dword v32, v[32:33], off
	v_add_u32_e32 v0, s17, v0
	global_load_dword v30, v[30:31], off
	s_waitcnt vmcnt(0)
	v_sub_f32_e32 v30, v32, v30
	v_add_f32_e32 v34, v34, v30
	v_lshlrev_b64 v[30:31], 2, v[0:1]
	v_lshl_add_u64 v[32:33], s[4:5], 0, v[30:31]
	v_lshl_add_u64 v[30:31], s[6:7], 0, v[30:31]
	global_load_dword v32, v[32:33], off
	v_add_u32_e32 v0, s0, v0
	global_load_dword v30, v[30:31], off
	s_waitcnt vmcnt(0)
	v_sub_f32_e32 v30, v32, v30
	v_add_f32_e32 v34, v34, v30
	v_lshlrev_b64 v[30:31], 2, v[0:1]
	v_lshl_add_u64 v[32:33], s[4:5], 0, v[30:31]
	v_lshl_add_u64 v[30:31], s[6:7], 0, v[30:31]
	global_load_dword v32, v[32:33], off
	s_nop 0
	global_load_dword v30, v[30:31], off
	s_waitcnt vmcnt(0)
	v_sub_f32_e32 v30, v32, v30
	v_add_f32_e32 v30, v34, v30
	v_mul_f32_e32 v30, s14, v30
	v_mul_f32_e32 v32, s2, v30
	s_mul_i32 s2, s15, 0xffffff50
	v_add_u32_e32 v0, s2, v0
	s_mul_i32 s2, s15, 0x4e
	v_lshl_add_u64 v[30:31], v[0:1], 2, s[8:9]
	v_add_u32_e32 v0, s2, v0
	global_store_dword v[30:31], v32, off
	v_lshlrev_b64 v[30:31], 2, v[0:1]
	v_lshl_add_u64 v[32:33], s[4:5], 0, v[30:31]
	v_lshl_add_u64 v[30:31], s[6:7], 0, v[30:31]
	global_load_dword v32, v[32:33], off
	v_add_u32_e32 v0, s1, v0
	global_load_dword v30, v[30:31], off
	s_mul_i32 s1, s15, 0xffffff58
	s_waitcnt vmcnt(0)
	v_sub_f32_e32 v34, v32, v30
	v_lshlrev_b64 v[30:31], 2, v[0:1]
	v_lshl_add_u64 v[32:33], s[4:5], 0, v[30:31]
	v_lshl_add_u64 v[30:31], s[6:7], 0, v[30:31]
	global_load_dword v32, v[32:33], off
	v_add_u32_e32 v0, s18, v0
	global_load_dword v30, v[30:31], off
	s_waitcnt vmcnt(0)
	v_sub_f32_e32 v30, v32, v30
	v_add_f32_e32 v34, v34, v30
	v_lshlrev_b64 v[30:31], 2, v[0:1]
	v_lshl_add_u64 v[32:33], s[4:5], 0, v[30:31]
	v_lshl_add_u64 v[30:31], s[6:7], 0, v[30:31]
	global_load_dword v32, v[32:33], off
	v_add_u32_e32 v0, s21, v0
	global_load_dword v30, v[30:31], off
	s_waitcnt vmcnt(0)
	v_sub_f32_e32 v30, v32, v30
	v_add_f32_e32 v34, v34, v30
	;; [unrolled: 9-line block ×4, first 2 shown]
	v_lshlrev_b64 v[30:31], 2, v[0:1]
	v_lshl_add_u64 v[32:33], s[4:5], 0, v[30:31]
	v_lshl_add_u64 v[30:31], s[6:7], 0, v[30:31]
	global_load_dword v32, v[32:33], off
	v_add_u32_e32 v0, s15, v0
	global_load_dword v30, v[30:31], off
	s_waitcnt vmcnt(0)
	v_sub_f32_e32 v30, v32, v30
	v_sub_f32_e32 v34, v34, v30
	v_lshlrev_b64 v[30:31], 2, v[0:1]
	v_lshl_add_u64 v[32:33], s[4:5], 0, v[30:31]
	v_lshl_add_u64 v[30:31], s[6:7], 0, v[30:31]
	global_load_dword v32, v[32:33], off
	v_add_u32_e32 v0, s15, v0
	global_load_dword v30, v[30:31], off
	s_waitcnt vmcnt(0)
	v_sub_f32_e32 v30, v32, v30
	v_sub_f32_e32 v34, v34, v30
	;; [unrolled: 9-line block ×4, first 2 shown]
	v_lshlrev_b64 v[30:31], 2, v[0:1]
	v_lshl_add_u64 v[32:33], s[4:5], 0, v[30:31]
	v_lshl_add_u64 v[30:31], s[6:7], 0, v[30:31]
	global_load_dword v32, v[32:33], off
	v_add_u32_e32 v0, s1, v0
	global_load_dword v30, v[30:31], off
	s_mul_i32 s1, s15, 0x45
	s_waitcnt vmcnt(0)
	v_sub_f32_e32 v30, v32, v30
	v_sub_f32_e32 v30, v34, v30
	v_mul_f32_e32 v30, s14, v30
	v_mul_f32_e32 v32, s3, v30
	v_lshl_add_u64 v[30:31], v[0:1], 2, s[8:9]
	global_store_dword v[30:31], v32, off
	v_mad_u64_u32 v[30:31], s[2:3], s15, 23, v[0:1]
	v_mov_b32_e32 v31, v1
	v_lshlrev_b64 v[32:33], 2, v[30:31]
	v_lshl_add_u64 v[34:35], s[4:5], 0, v[32:33]
	v_lshl_add_u64 v[32:33], s[6:7], 0, v[32:33]
	global_load_dword v0, v[34:35], off
	global_load_dword v31, v[32:33], off
	s_waitcnt vmcnt(0)
	v_sub_f32_e32 v0, v0, v31
	global_load_dword v31, v[26:27], off
	global_load_dword v32, v[28:29], off
	s_waitcnt vmcnt(0)
	v_sub_f32_e32 v26, v31, v32
	v_sub_f32_e32 v31, v0, v26
	v_add_u32_e32 v0, s1, v30
	v_lshlrev_b64 v[26:27], 2, v[0:1]
	v_lshl_add_u64 v[28:29], s[4:5], 0, v[26:27]
	v_lshl_add_u64 v[26:27], s[6:7], 0, v[26:27]
	global_load_dword v28, v[28:29], off
	v_add_u32_e32 v0, s15, v0
	global_load_dword v26, v[26:27], off
	s_mul_i32 s1, s15, 0xffffff8e
	s_waitcnt vmcnt(0)
	v_sub_f32_e32 v26, v28, v26
	v_sub_f32_e32 v30, v31, v26
	v_lshlrev_b64 v[26:27], 2, v[0:1]
	v_lshl_add_u64 v[28:29], s[4:5], 0, v[26:27]
	v_lshl_add_u64 v[26:27], s[6:7], 0, v[26:27]
	global_load_dword v28, v[28:29], off
	v_add_u32_e32 v0, s15, v0
	global_load_dword v26, v[26:27], off
	s_waitcnt vmcnt(0)
	v_sub_f32_e32 v26, v28, v26
	v_sub_f32_e32 v30, v30, v26
	v_lshlrev_b64 v[26:27], 2, v[0:1]
	v_lshl_add_u64 v[28:29], s[4:5], 0, v[26:27]
	v_lshl_add_u64 v[26:27], s[6:7], 0, v[26:27]
	global_load_dword v28, v[28:29], off
	v_add_u32_e32 v0, s17, v0
	global_load_dword v26, v[26:27], off
	s_waitcnt vmcnt(0)
	v_sub_f32_e32 v26, v28, v26
	global_load_dword v27, v[18:19], off
	global_load_dword v28, v[20:21], off
	v_sub_f32_e32 v26, v30, v26
	s_waitcnt vmcnt(0)
	v_sub_f32_e32 v18, v27, v28
	v_sub_f32_e32 v26, v26, v18
	v_lshlrev_b64 v[18:19], 2, v[0:1]
	v_lshl_add_u64 v[20:21], s[4:5], 0, v[18:19]
	v_lshl_add_u64 v[18:19], s[6:7], 0, v[18:19]
	global_load_dword v20, v[20:21], off
	v_add_u32_e32 v0, s0, v0
	global_load_dword v18, v[18:19], off
	s_waitcnt vmcnt(0)
	v_sub_f32_e32 v18, v20, v18
	global_load_dword v19, v[14:15], off
	global_load_dword v20, v[16:17], off
	v_sub_f32_e32 v18, v26, v18
	s_waitcnt vmcnt(0)
	v_sub_f32_e32 v14, v19, v20
	v_sub_f32_e32 v15, v18, v14
	;; [unrolled: 1-line block ×3, first 2 shown]
	global_load_dword v15, v[22:23], off
	global_load_dword v16, v[24:25], off
	s_waitcnt vmcnt(0)
	v_sub_f32_e32 v15, v15, v16
	v_add_f32_e32 v18, v14, v15
	v_lshlrev_b64 v[14:15], 2, v[0:1]
	v_lshl_add_u64 v[16:17], s[4:5], 0, v[14:15]
	v_lshl_add_u64 v[14:15], s[6:7], 0, v[14:15]
	global_load_dword v16, v[16:17], off
	v_add_u32_e32 v0, s17, v0
	global_load_dword v14, v[14:15], off
	s_waitcnt vmcnt(0)
	v_sub_f32_e32 v16, v16, v14
	v_lshlrev_b64 v[14:15], 2, v[0:1]
	v_add_f32_e32 v17, v18, v16
	v_lshl_add_u64 v[18:19], s[4:5], 0, v[14:15]
	v_lshl_add_u64 v[14:15], s[6:7], 0, v[14:15]
	global_load_dword v18, v[18:19], off
	v_add_u32_e32 v0, s17, v0
	global_load_dword v14, v[14:15], off
	s_waitcnt vmcnt(0)
	v_sub_f32_e32 v15, v18, v14
	v_lshlrev_b64 v[18:19], 2, v[0:1]
	v_lshl_add_u64 v[20:21], s[4:5], 0, v[18:19]
	v_lshl_add_u64 v[18:19], s[6:7], 0, v[18:19]
	global_load_dword v14, v[20:21], off
	v_add_f32_e32 v17, v17, v15
	global_load_dword v18, v[18:19], off
	v_add_u32_e32 v0, s1, v0
	s_mul_i32 s1, s15, 0x44
	s_waitcnt vmcnt(0)
	v_sub_f32_e32 v14, v14, v18
	v_add_f32_e32 v17, v17, v14
	v_mul_f32_e32 v17, s14, v17
	v_mul_f32_e32 v17, s10, v17
	v_lshl_add_u64 v[18:19], v[0:1], 2, s[8:9]
	v_add_u32_e32 v0, s19, v0
	global_store_dword v[18:19], v17, off
	v_lshlrev_b64 v[18:19], 2, v[0:1]
	v_lshl_add_u64 v[20:21], s[4:5], 0, v[18:19]
	v_lshl_add_u64 v[18:19], s[6:7], 0, v[18:19]
	global_load_dword v17, v[20:21], off
	v_add_u32_e32 v0, s1, v0
	global_load_dword v18, v[18:19], off
	s_waitcnt vmcnt(0)
	v_sub_f32_e32 v17, v17, v18
	global_load_dword v18, v[6:7], off
	global_load_dword v19, v[8:9], off
	s_nop 0
	global_load_dword v7, v[10:11], off
	global_load_dword v8, v[12:13], off
	s_waitcnt vmcnt(2)
	v_sub_f32_e32 v6, v18, v19
	v_add_f32_e32 v6, v17, v6
	s_waitcnt vmcnt(0)
	v_sub_f32_e32 v7, v7, v8
	v_add_f32_e32 v10, v6, v7
	v_lshlrev_b64 v[6:7], 2, v[0:1]
	v_lshl_add_u64 v[8:9], s[4:5], 0, v[6:7]
	v_lshl_add_u64 v[6:7], s[6:7], 0, v[6:7]
	global_load_dword v8, v[8:9], off
	v_add_u32_e32 v0, s17, v0
	global_load_dword v6, v[6:7], off
	s_waitcnt vmcnt(0)
	v_sub_f32_e32 v6, v8, v6
	v_add_f32_e32 v10, v10, v6
	v_lshlrev_b64 v[6:7], 2, v[0:1]
	v_lshl_add_u64 v[8:9], s[4:5], 0, v[6:7]
	v_lshl_add_u64 v[6:7], s[6:7], 0, v[6:7]
	global_load_dword v8, v[8:9], off
	v_add_u32_e32 v0, s17, v0
	global_load_dword v6, v[6:7], off
	s_waitcnt vmcnt(0)
	v_sub_f32_e32 v6, v8, v6
	v_sub_f32_e32 v6, v10, v6
	v_sub_f32_e32 v10, v6, v16
	v_lshlrev_b64 v[6:7], 2, v[0:1]
	v_lshl_add_u64 v[8:9], s[4:5], 0, v[6:7]
	v_lshl_add_u64 v[6:7], s[6:7], 0, v[6:7]
	global_load_dword v8, v[8:9], off
	v_add_u32_e32 v0, s17, v0
	global_load_dword v6, v[6:7], off
	s_waitcnt vmcnt(0)
	v_sub_f32_e32 v6, v8, v6
	v_sub_f32_e32 v6, v10, v6
	v_sub_f32_e32 v10, v6, v15
	;; [unrolled: 10-line block ×3, first 2 shown]
	v_lshlrev_b64 v[6:7], 2, v[0:1]
	v_lshl_add_u64 v[8:9], s[4:5], 0, v[6:7]
	v_lshl_add_u64 v[6:7], s[6:7], 0, v[6:7]
	global_load_dword v8, v[8:9], off
	v_add_u32_e32 v0, s0, v0
	global_load_dword v6, v[6:7], off
	s_waitcnt vmcnt(0)
	v_sub_f32_e32 v6, v8, v6
	v_add_f32_e32 v10, v10, v6
	v_lshlrev_b64 v[6:7], 2, v[0:1]
	v_lshl_add_u64 v[8:9], s[4:5], 0, v[6:7]
	v_lshl_add_u64 v[6:7], s[6:7], 0, v[6:7]
	global_load_dword v8, v[8:9], off
	v_add_u32_e32 v0, s15, v0
	global_load_dword v6, v[6:7], off
	s_waitcnt vmcnt(0)
	v_sub_f32_e32 v6, v8, v6
	v_add_f32_e32 v10, v10, v6
	;; [unrolled: 9-line block ×4, first 2 shown]
	v_lshlrev_b64 v[6:7], 2, v[0:1]
	v_lshl_add_u64 v[8:9], s[4:5], 0, v[6:7]
	v_lshl_add_u64 v[6:7], s[6:7], 0, v[6:7]
	global_load_dword v8, v[8:9], off
	s_nop 0
	global_load_dword v6, v[6:7], off
	s_waitcnt vmcnt(0)
	v_sub_f32_e32 v6, v8, v6
	v_add_f32_e32 v12, v10, v6
	v_mad_u64_u32 v[6:7], s[0:1], s15, 40, v[0:1]
	v_mov_b32_e32 v7, v1
	v_lshlrev_b64 v[8:9], 2, v[6:7]
	v_lshl_add_u64 v[10:11], s[4:5], 0, v[8:9]
	v_lshl_add_u64 v[8:9], s[6:7], 0, v[8:9]
	global_load_dword v0, v[10:11], off
	global_load_dword v7, v[8:9], off
	s_mul_i32 s0, s15, 0xffffff51
	s_waitcnt vmcnt(0)
	v_sub_f32_e32 v0, v0, v7
	v_add_f32_e32 v0, v12, v0
	v_mul_f32_e32 v0, s14, v0
	v_mul_f32_e32 v8, s11, v0
	v_add_u32_e32 v0, s0, v6
	s_mul_i32 s0, s15, 0x47
	v_lshl_add_u64 v[6:7], v[0:1], 2, s[8:9]
	v_add_u32_e32 v0, s0, v0
	global_store_dword v[6:7], v8, off
	v_lshlrev_b64 v[6:7], 2, v[0:1]
	v_lshl_add_u64 v[8:9], s[4:5], 0, v[6:7]
	v_lshl_add_u64 v[6:7], s[6:7], 0, v[6:7]
	global_load_dword v8, v[8:9], off
	s_nop 0
	global_load_dword v6, v[6:7], off
	s_waitcnt vmcnt(0)
	v_sub_f32_e32 v12, v8, v6
	v_mad_u64_u32 v[6:7], s[0:1], s15, 59, v[0:1]
	v_mov_b32_e32 v7, v1
	v_lshlrev_b64 v[8:9], 2, v[6:7]
	v_lshl_add_u64 v[10:11], s[4:5], 0, v[8:9]
	v_lshl_add_u64 v[8:9], s[6:7], 0, v[8:9]
	global_load_dword v0, v[10:11], off
	global_load_dword v7, v[8:9], off
	s_waitcnt vmcnt(0)
	v_sub_f32_e32 v0, v0, v7
	global_load_dword v7, v[2:3], off
	global_load_dword v8, v[4:5], off
	v_add_f32_e32 v0, v12, v0
	s_waitcnt vmcnt(0)
	v_sub_f32_e32 v2, v7, v8
	v_add_f32_e32 v0, v0, v2
	v_mad_u64_u32 v[2:3], s[0:1], s15, 25, v[6:7]
	v_mov_b32_e32 v3, v1
	v_lshlrev_b64 v[4:5], 2, v[2:3]
	v_lshl_add_u64 v[6:7], s[4:5], 0, v[4:5]
	v_lshl_add_u64 v[4:5], s[6:7], 0, v[4:5]
	global_load_dword v3, v[6:7], off
	s_mulk_i32 s15, 0xff66
	global_load_dword v4, v[4:5], off
	s_waitcnt vmcnt(0)
	v_sub_f32_e32 v3, v3, v4
	v_add_f32_e32 v0, v0, v3
	v_mul_f32_e32 v0, s14, v0
	v_mul_f32_e32 v3, s16, v0
	v_add_u32_e32 v0, s15, v2
	v_lshl_add_u64 v[0:1], v[0:1], 2, s[8:9]
	global_store_dword v[0:1], v3, off
	s_endpgm
	.section	.rodata,"a",@progbits
	.p2align	6, 0x0
	.amdhsa_kernel _Z14rdwdot3_kernelIfEvPKT_S2_PS0_S0_S2_
		.amdhsa_group_segment_fixed_size 0
		.amdhsa_private_segment_fixed_size 0
		.amdhsa_kernarg_size 296
		.amdhsa_user_sgpr_count 2
		.amdhsa_user_sgpr_dispatch_ptr 0
		.amdhsa_user_sgpr_queue_ptr 0
		.amdhsa_user_sgpr_kernarg_segment_ptr 1
		.amdhsa_user_sgpr_dispatch_id 0
		.amdhsa_user_sgpr_kernarg_preload_length 0
		.amdhsa_user_sgpr_kernarg_preload_offset 0
		.amdhsa_user_sgpr_private_segment_size 0
		.amdhsa_uses_dynamic_stack 0
		.amdhsa_enable_private_segment 0
		.amdhsa_system_sgpr_workgroup_id_x 1
		.amdhsa_system_sgpr_workgroup_id_y 0
		.amdhsa_system_sgpr_workgroup_id_z 0
		.amdhsa_system_sgpr_workgroup_info 0
		.amdhsa_system_vgpr_workitem_id 0
		.amdhsa_next_free_vgpr 36
		.amdhsa_next_free_sgpr 24
		.amdhsa_accum_offset 36
		.amdhsa_reserve_vcc 0
		.amdhsa_float_round_mode_32 0
		.amdhsa_float_round_mode_16_64 0
		.amdhsa_float_denorm_mode_32 3
		.amdhsa_float_denorm_mode_16_64 3
		.amdhsa_dx10_clamp 1
		.amdhsa_ieee_mode 1
		.amdhsa_fp16_overflow 0
		.amdhsa_tg_split 0
		.amdhsa_exception_fp_ieee_invalid_op 0
		.amdhsa_exception_fp_denorm_src 0
		.amdhsa_exception_fp_ieee_div_zero 0
		.amdhsa_exception_fp_ieee_overflow 0
		.amdhsa_exception_fp_ieee_underflow 0
		.amdhsa_exception_fp_ieee_inexact 0
		.amdhsa_exception_int_div_zero 0
	.end_amdhsa_kernel
	.section	.text._Z14rdwdot3_kernelIfEvPKT_S2_PS0_S0_S2_,"axG",@progbits,_Z14rdwdot3_kernelIfEvPKT_S2_PS0_S0_S2_,comdat
.Lfunc_end21:
	.size	_Z14rdwdot3_kernelIfEvPKT_S2_PS0_S0_S2_, .Lfunc_end21-_Z14rdwdot3_kernelIfEvPKT_S2_PS0_S0_S2_
                                        ; -- End function
	.set _Z14rdwdot3_kernelIfEvPKT_S2_PS0_S0_S2_.num_vgpr, 36
	.set _Z14rdwdot3_kernelIfEvPKT_S2_PS0_S0_S2_.num_agpr, 0
	.set _Z14rdwdot3_kernelIfEvPKT_S2_PS0_S0_S2_.numbered_sgpr, 24
	.set _Z14rdwdot3_kernelIfEvPKT_S2_PS0_S0_S2_.num_named_barrier, 0
	.set _Z14rdwdot3_kernelIfEvPKT_S2_PS0_S0_S2_.private_seg_size, 0
	.set _Z14rdwdot3_kernelIfEvPKT_S2_PS0_S0_S2_.uses_vcc, 0
	.set _Z14rdwdot3_kernelIfEvPKT_S2_PS0_S0_S2_.uses_flat_scratch, 0
	.set _Z14rdwdot3_kernelIfEvPKT_S2_PS0_S0_S2_.has_dyn_sized_stack, 0
	.set _Z14rdwdot3_kernelIfEvPKT_S2_PS0_S0_S2_.has_recursion, 0
	.set _Z14rdwdot3_kernelIfEvPKT_S2_PS0_S0_S2_.has_indirect_call, 0
	.section	.AMDGPU.csdata,"",@progbits
; Kernel info:
; codeLenInByte = 6528
; TotalNumSgprs: 30
; NumVgprs: 36
; NumAgprs: 0
; TotalNumVgprs: 36
; ScratchSize: 0
; MemoryBound: 0
; FloatMode: 240
; IeeeMode: 1
; LDSByteSize: 0 bytes/workgroup (compile time only)
; SGPRBlocks: 3
; VGPRBlocks: 4
; NumSGPRsForWavesPerEU: 30
; NumVGPRsForWavesPerEU: 36
; AccumOffset: 36
; Occupancy: 8
; WaveLimiterHint : 0
; COMPUTE_PGM_RSRC2:SCRATCH_EN: 0
; COMPUTE_PGM_RSRC2:USER_SGPR: 2
; COMPUTE_PGM_RSRC2:TRAP_HANDLER: 0
; COMPUTE_PGM_RSRC2:TGID_X_EN: 1
; COMPUTE_PGM_RSRC2:TGID_Y_EN: 0
; COMPUTE_PGM_RSRC2:TGID_Z_EN: 0
; COMPUTE_PGM_RSRC2:TIDIG_COMP_CNT: 0
; COMPUTE_PGM_RSRC3_GFX90A:ACCUM_OFFSET: 8
; COMPUTE_PGM_RSRC3_GFX90A:TG_SPLIT: 0
	.section	.text._Z14rdwdot6_kernelIfEvPKT_S2_PS0_S0_S2_,"axG",@progbits,_Z14rdwdot6_kernelIfEvPKT_S2_PS0_S0_S2_,comdat
	.protected	_Z14rdwdot6_kernelIfEvPKT_S2_PS0_S0_S2_ ; -- Begin function _Z14rdwdot6_kernelIfEvPKT_S2_PS0_S0_S2_
	.globl	_Z14rdwdot6_kernelIfEvPKT_S2_PS0_S0_S2_
	.p2align	8
	.type	_Z14rdwdot6_kernelIfEvPKT_S2_PS0_S0_S2_,@function
_Z14rdwdot6_kernelIfEvPKT_S2_PS0_S0_S2_: ; @_Z14rdwdot6_kernelIfEvPKT_S2_PS0_S0_S2_
; %bb.0:
	s_load_dwordx4 s[4:7], s[0:1], 0x0
	s_load_dwordx2 s[8:9], s[0:1], 0x10
	s_load_dword s3, s[0:1], 0x18
	s_load_dwordx2 s[10:11], s[0:1], 0x20
	s_load_dword s12, s[0:1], 0x28
	s_load_dword s13, s[0:1], 0x34
	v_mov_b32_e32 v1, 0
	s_waitcnt lgkmcnt(0)
	s_and_b32 s0, s13, 0xffff
	s_mul_i32 s12, s12, s0
	s_mul_i32 s1, s12, 28
	;; [unrolled: 1-line block ×3, first 2 shown]
	s_add_i32 s1, s1, s2
	v_add_u32_e32 v0, s1, v0
	v_lshlrev_b64 v[2:3], 2, v[0:1]
	v_lshl_add_u64 v[4:5], s[4:5], 0, v[2:3]
	v_lshl_add_u64 v[2:3], s[6:7], 0, v[2:3]
	global_load_dword v4, v[4:5], off
	v_add_u32_e32 v0, s12, v0
	global_load_dword v2, v[2:3], off
	s_mul_i32 s2, s12, 5
	s_lshl_b32 s0, s12, 1
	s_lshl_b32 s1, s12, 2
	s_mul_i32 s13, s12, 7
	s_waitcnt vmcnt(0)
	v_sub_f32_e32 v2, v4, v2
	v_lshlrev_b64 v[4:5], 2, v[0:1]
	v_lshl_add_u64 v[6:7], s[4:5], 0, v[4:5]
	v_lshl_add_u64 v[4:5], s[6:7], 0, v[4:5]
	global_load_dword v3, v[6:7], off
	v_add_u32_e32 v0, s12, v0
	global_load_dword v4, v[4:5], off
	s_waitcnt vmcnt(0)
	v_sub_f32_e32 v3, v3, v4
	v_lshlrev_b64 v[4:5], 2, v[0:1]
	v_lshl_add_u64 v[6:7], s[4:5], 0, v[4:5]
	v_lshl_add_u64 v[4:5], s[6:7], 0, v[4:5]
	global_load_dword v6, v[6:7], off
	v_sub_f32_e64 v8, -v2, v3
	global_load_dword v4, v[4:5], off
	v_add_u32_e32 v0, s12, v0
	v_add_f32_e32 v2, v2, v3
	s_waitcnt vmcnt(0)
	v_sub_f32_e32 v4, v6, v4
	v_sub_f32_e32 v8, v8, v4
	v_lshlrev_b64 v[4:5], 2, v[0:1]
	v_lshl_add_u64 v[6:7], s[4:5], 0, v[4:5]
	v_lshl_add_u64 v[4:5], s[6:7], 0, v[4:5]
	global_load_dword v6, v[6:7], off
	v_add_u32_e32 v0, s12, v0
	global_load_dword v4, v[4:5], off
	s_waitcnt vmcnt(0)
	v_sub_f32_e32 v4, v6, v4
	v_lshlrev_b64 v[6:7], 2, v[0:1]
	v_sub_f32_e32 v10, v8, v4
	v_lshl_add_u64 v[8:9], s[4:5], 0, v[6:7]
	v_lshl_add_u64 v[6:7], s[6:7], 0, v[6:7]
	global_load_dword v5, v[8:9], off
	v_add_u32_e32 v0, s12, v0
	global_load_dword v6, v[6:7], off
	v_add_f32_e32 v2, v2, v4
	s_waitcnt vmcnt(0)
	v_sub_f32_e32 v5, v5, v6
	v_lshlrev_b64 v[6:7], 2, v[0:1]
	v_lshl_add_u64 v[8:9], s[4:5], 0, v[6:7]
	v_lshl_add_u64 v[6:7], s[6:7], 0, v[6:7]
	global_load_dword v8, v[8:9], off
	v_sub_f32_e32 v10, v10, v5
	global_load_dword v6, v[6:7], off
	v_add_u32_e32 v0, s2, v0
	v_add_f32_e32 v2, v2, v5
	s_waitcnt vmcnt(0)
	v_sub_f32_e32 v6, v8, v6
	v_add_f32_e32 v10, v10, v6
	v_lshlrev_b64 v[6:7], 2, v[0:1]
	v_lshl_add_u64 v[8:9], s[4:5], 0, v[6:7]
	v_lshl_add_u64 v[6:7], s[6:7], 0, v[6:7]
	global_load_dword v8, v[8:9], off
	v_add_u32_e32 v0, s12, v0
	global_load_dword v6, v[6:7], off
	s_waitcnt vmcnt(0)
	v_sub_f32_e32 v6, v8, v6
	v_sub_f32_e32 v10, v10, v6
	v_lshlrev_b64 v[6:7], 2, v[0:1]
	v_lshl_add_u64 v[8:9], s[4:5], 0, v[6:7]
	v_lshl_add_u64 v[6:7], s[6:7], 0, v[6:7]
	global_load_dword v8, v[8:9], off
	v_add_u32_e32 v0, s0, v0
	global_load_dword v6, v[6:7], off
	s_waitcnt vmcnt(0)
	v_sub_f32_e32 v6, v8, v6
	v_lshlrev_b64 v[8:9], 2, v[0:1]
	v_add_f32_e32 v7, v10, v6
	v_lshl_add_u64 v[10:11], s[4:5], 0, v[8:9]
	v_lshl_add_u64 v[8:9], s[6:7], 0, v[8:9]
	global_load_dword v10, v[10:11], off
	v_add_u32_e32 v0, s12, v0
	global_load_dword v8, v[8:9], off
	v_sub_f32_e32 v6, v2, v6
	s_waitcnt vmcnt(0)
	v_sub_f32_e32 v8, v10, v8
	v_add_f32_e32 v7, v7, v8
	v_lshlrev_b64 v[8:9], 2, v[0:1]
	v_lshl_add_u64 v[10:11], s[4:5], 0, v[8:9]
	v_lshl_add_u64 v[8:9], s[6:7], 0, v[8:9]
	global_load_dword v10, v[10:11], off
	v_add_u32_e32 v0, s0, v0
	global_load_dword v8, v[8:9], off
	s_waitcnt vmcnt(0)
	v_sub_f32_e32 v8, v10, v8
	v_add_f32_e32 v7, v7, v8
	v_lshlrev_b64 v[8:9], 2, v[0:1]
	v_lshl_add_u64 v[10:11], s[4:5], 0, v[8:9]
	v_lshl_add_u64 v[8:9], s[6:7], 0, v[8:9]
	global_load_dword v10, v[10:11], off
	v_add_u32_e32 v0, s12, v0
	global_load_dword v8, v[8:9], off
	;; [unrolled: 9-line block ×3, first 2 shown]
	s_waitcnt vmcnt(0)
	v_sub_f32_e32 v8, v10, v8
	v_add_f32_e32 v7, v7, v8
	v_lshlrev_b64 v[8:9], 2, v[0:1]
	v_lshl_add_u64 v[10:11], s[4:5], 0, v[8:9]
	v_lshl_add_u64 v[8:9], s[6:7], 0, v[8:9]
	global_load_dword v10, v[10:11], off
	s_nop 0
	global_load_dword v8, v[8:9], off
	s_waitcnt vmcnt(0)
	v_sub_f32_e32 v8, v10, v8
	v_add_f32_e32 v7, v7, v8
	v_mad_u64_u32 v[8:9], s[14:15], s12, 9, v[0:1]
	v_mov_b32_e32 v9, v1
	v_lshlrev_b64 v[10:11], 2, v[8:9]
	v_lshl_add_u64 v[12:13], s[4:5], 0, v[10:11]
	v_lshl_add_u64 v[10:11], s[6:7], 0, v[10:11]
	global_load_dword v0, v[12:13], off
	global_load_dword v9, v[10:11], off
	s_waitcnt vmcnt(0)
	v_sub_f32_e32 v0, v0, v9
	v_sub_f32_e32 v7, v7, v0
	v_add_u32_e32 v0, s2, v8
	v_lshlrev_b64 v[8:9], 2, v[0:1]
	v_lshl_add_u64 v[10:11], s[4:5], 0, v[8:9]
	v_lshl_add_u64 v[8:9], s[6:7], 0, v[8:9]
	global_load_dword v10, v[10:11], off
	v_add_u32_e32 v0, s1, v0
	global_load_dword v8, v[8:9], off
	s_waitcnt vmcnt(0)
	v_sub_f32_e32 v8, v10, v8
	v_add_f32_e32 v7, v7, v8
	v_lshlrev_b64 v[8:9], 2, v[0:1]
	v_lshl_add_u64 v[10:11], s[4:5], 0, v[8:9]
	v_lshl_add_u64 v[8:9], s[6:7], 0, v[8:9]
	global_load_dword v10, v[10:11], off
	v_add_u32_e32 v0, s12, v0
	global_load_dword v8, v[8:9], off
	s_waitcnt vmcnt(0)
	v_sub_f32_e32 v8, v10, v8
	v_add_f32_e32 v7, v7, v8
	;; [unrolled: 9-line block ×3, first 2 shown]
	v_lshlrev_b64 v[8:9], 2, v[0:1]
	v_lshl_add_u64 v[10:11], s[4:5], 0, v[8:9]
	v_lshl_add_u64 v[8:9], s[6:7], 0, v[8:9]
	global_load_dword v7, v[10:11], off
	s_nop 0
	global_load_dword v8, v[8:9], off
	s_waitcnt vmcnt(0)
	v_sub_f32_e32 v7, v7, v8
	v_mad_u64_u32 v[8:9], s[14:15], s12, 18, v[0:1]
	v_mov_b32_e32 v9, v1
	v_lshlrev_b64 v[10:11], 2, v[8:9]
	v_add_f32_e32 v14, v12, v7
	v_lshl_add_u64 v[12:13], s[4:5], 0, v[10:11]
	v_lshl_add_u64 v[10:11], s[6:7], 0, v[10:11]
	global_load_dword v0, v[12:13], off
	global_load_dword v9, v[10:11], off
	s_waitcnt vmcnt(0)
	v_sub_f32_e32 v0, v0, v9
	v_add_f32_e32 v12, v14, v0
	v_add_u32_e32 v0, s13, v8
	v_lshlrev_b64 v[8:9], 2, v[0:1]
	v_lshl_add_u64 v[10:11], s[4:5], 0, v[8:9]
	v_lshl_add_u64 v[8:9], s[6:7], 0, v[8:9]
	global_load_dword v10, v[10:11], off
	s_nop 0
	global_load_dword v8, v[8:9], off
	s_waitcnt vmcnt(0)
	v_sub_f32_e32 v8, v10, v8
	v_add_f32_e32 v14, v12, v8
	v_mad_u64_u32 v[8:9], s[14:15], s12, 13, v[0:1]
	v_mov_b32_e32 v9, v1
	v_lshlrev_b64 v[10:11], 2, v[8:9]
	v_lshl_add_u64 v[12:13], s[4:5], 0, v[10:11]
	v_lshl_add_u64 v[10:11], s[6:7], 0, v[10:11]
	global_load_dword v0, v[12:13], off
	global_load_dword v9, v[10:11], off
	s_waitcnt vmcnt(0)
	v_sub_f32_e32 v0, v0, v9
	v_add_f32_e32 v12, v14, v0
	v_add_u32_e32 v0, s12, v8
	v_lshlrev_b64 v[8:9], 2, v[0:1]
	v_lshl_add_u64 v[10:11], s[4:5], 0, v[8:9]
	v_lshl_add_u64 v[8:9], s[6:7], 0, v[8:9]
	global_load_dword v10, v[10:11], off
	v_add_u32_e32 v0, s12, v0
	global_load_dword v8, v[8:9], off
	s_waitcnt vmcnt(0)
	v_sub_f32_e32 v8, v10, v8
	v_add_f32_e32 v9, v12, v8
	v_add_f32_e32 v12, v8, v9
	v_lshlrev_b64 v[8:9], 2, v[0:1]
	v_lshl_add_u64 v[10:11], s[4:5], 0, v[8:9]
	v_lshl_add_u64 v[8:9], s[6:7], 0, v[8:9]
	global_load_dword v10, v[10:11], off
	v_add_u32_e32 v0, s12, v0
	global_load_dword v8, v[8:9], off
	s_waitcnt vmcnt(0)
	v_sub_f32_e32 v8, v10, v8
	v_add_f32_e32 v9, v12, v8
	v_add_f32_e32 v12, v8, v9
	v_lshlrev_b64 v[8:9], 2, v[0:1]
	v_lshl_add_u64 v[10:11], s[4:5], 0, v[8:9]
	v_lshl_add_u64 v[8:9], s[6:7], 0, v[8:9]
	global_load_dword v10, v[10:11], off
	v_add_u32_e32 v0, s12, v0
	global_load_dword v8, v[8:9], off
	s_waitcnt vmcnt(0)
	v_sub_f32_e32 v8, v10, v8
	v_add_f32_e32 v12, v12, v8
	v_lshlrev_b64 v[8:9], 2, v[0:1]
	v_lshl_add_u64 v[10:11], s[4:5], 0, v[8:9]
	v_lshl_add_u64 v[8:9], s[6:7], 0, v[8:9]
	global_load_dword v10, v[10:11], off
	v_add_u32_e32 v0, s12, v0
	global_load_dword v8, v[8:9], off
	s_waitcnt vmcnt(0)
	v_sub_f32_e32 v8, v10, v8
	;; [unrolled: 9-line block ×3, first 2 shown]
	v_add_f32_e32 v9, v12, v8
	v_add_f32_e32 v12, v8, v9
	v_lshlrev_b64 v[8:9], 2, v[0:1]
	v_lshl_add_u64 v[10:11], s[4:5], 0, v[8:9]
	v_lshl_add_u64 v[8:9], s[6:7], 0, v[8:9]
	global_load_dword v10, v[10:11], off
	v_add_u32_e32 v0, s0, v0
	global_load_dword v8, v[8:9], off
	s_waitcnt vmcnt(0)
	v_sub_f32_e32 v8, v10, v8
	v_add_f32_e32 v12, v12, v8
	v_lshlrev_b64 v[8:9], 2, v[0:1]
	v_lshl_add_u64 v[10:11], s[4:5], 0, v[8:9]
	v_lshl_add_u64 v[8:9], s[6:7], 0, v[8:9]
	global_load_dword v10, v[10:11], off
	v_add_u32_e32 v0, s12, v0
	global_load_dword v8, v[8:9], off
	s_waitcnt vmcnt(0)
	v_sub_f32_e32 v8, v10, v8
	v_add_f32_e32 v12, v12, v8
	v_lshlrev_b64 v[8:9], 2, v[0:1]
	v_lshl_add_u64 v[10:11], s[4:5], 0, v[8:9]
	v_lshl_add_u64 v[8:9], s[6:7], 0, v[8:9]
	global_load_dword v10, v[10:11], off
	s_nop 0
	global_load_dword v8, v[8:9], off
	s_waitcnt vmcnt(0)
	v_sub_f32_e32 v8, v10, v8
	v_add_f32_e32 v14, v12, v8
	v_mad_u64_u32 v[8:9], s[14:15], s12, 3, v[0:1]
	v_mov_b32_e32 v9, v1
	v_lshlrev_b64 v[10:11], 2, v[8:9]
	v_lshl_add_u64 v[12:13], s[4:5], 0, v[10:11]
	v_lshl_add_u64 v[10:11], s[6:7], 0, v[10:11]
	global_load_dword v0, v[12:13], off
	global_load_dword v9, v[10:11], off
	s_lshl_b32 s14, s12, 3
	s_waitcnt vmcnt(0)
	v_sub_f32_e32 v0, v0, v9
	v_add_f32_e32 v12, v14, v0
	v_add_u32_e32 v0, s2, v8
	v_lshlrev_b64 v[8:9], 2, v[0:1]
	v_lshl_add_u64 v[10:11], s[4:5], 0, v[8:9]
	v_lshl_add_u64 v[8:9], s[6:7], 0, v[8:9]
	global_load_dword v10, v[10:11], off
	v_add_u32_e32 v0, s14, v0
	global_load_dword v8, v[8:9], off
	s_waitcnt vmcnt(0)
	v_sub_f32_e32 v8, v10, v8
	v_add_f32_e32 v12, v12, v8
	v_lshlrev_b64 v[8:9], 2, v[0:1]
	v_lshl_add_u64 v[10:11], s[4:5], 0, v[8:9]
	v_lshl_add_u64 v[8:9], s[6:7], 0, v[8:9]
	global_load_dword v10, v[10:11], off
	v_add_u32_e32 v0, s13, v0
	global_load_dword v8, v[8:9], off
	s_waitcnt vmcnt(0)
	v_sub_f32_e32 v8, v10, v8
	v_add_f32_e32 v12, v12, v8
	;; [unrolled: 9-line block ×3, first 2 shown]
	v_lshlrev_b64 v[8:9], 2, v[0:1]
	v_lshl_add_u64 v[10:11], s[4:5], 0, v[8:9]
	v_lshl_add_u64 v[8:9], s[6:7], 0, v[8:9]
	global_load_dword v10, v[10:11], off
	v_add_u32_e32 v0, s13, v0
	global_load_dword v8, v[8:9], off
	s_mul_i32 s13, s12, 10
	s_waitcnt vmcnt(0)
	v_sub_f32_e32 v8, v10, v8
	v_add_f32_e32 v12, v12, v8
	v_lshlrev_b64 v[8:9], 2, v[0:1]
	v_lshl_add_u64 v[10:11], s[4:5], 0, v[8:9]
	v_lshl_add_u64 v[8:9], s[6:7], 0, v[8:9]
	global_load_dword v10, v[10:11], off
	v_add_u32_e32 v0, s13, v0
	global_load_dword v8, v[8:9], off
	s_waitcnt vmcnt(0)
	v_sub_f32_e32 v8, v10, v8
	v_add_f32_e32 v12, v12, v8
	v_lshlrev_b64 v[8:9], 2, v[0:1]
	v_lshl_add_u64 v[10:11], s[4:5], 0, v[8:9]
	v_lshl_add_u64 v[8:9], s[6:7], 0, v[8:9]
	global_load_dword v10, v[10:11], off
	s_nop 0
	global_load_dword v8, v[8:9], off
	s_waitcnt vmcnt(0)
	v_sub_f32_e32 v8, v10, v8
	v_add_f32_e32 v14, v12, v8
	v_mad_u64_u32 v[8:9], s[0:1], s12, 15, v[0:1]
	v_mov_b32_e32 v9, v1
	v_lshlrev_b64 v[10:11], 2, v[8:9]
	v_lshl_add_u64 v[12:13], s[4:5], 0, v[10:11]
	v_lshl_add_u64 v[10:11], s[6:7], 0, v[10:11]
	global_load_dword v0, v[12:13], off
	global_load_dword v9, v[10:11], off
	s_load_dwordx2 s[0:1], s[10:11], 0x28
	s_waitcnt vmcnt(0)
	v_sub_f32_e32 v0, v0, v9
	v_add_f32_e32 v12, v14, v0
	v_add_u32_e32 v0, s13, v8
	v_lshlrev_b64 v[8:9], 2, v[0:1]
	v_lshl_add_u64 v[10:11], s[4:5], 0, v[8:9]
	v_lshl_add_u64 v[8:9], s[6:7], 0, v[8:9]
	global_load_dword v10, v[10:11], off
	s_nop 0
	global_load_dword v8, v[8:9], off
	s_waitcnt vmcnt(0)
	v_sub_f32_e32 v8, v10, v8
	v_add_f32_e32 v8, v12, v8
	v_mul_f32_e32 v8, s3, v8
	s_waitcnt lgkmcnt(0)
	v_mul_f32_e32 v10, s0, v8
	s_mul_i32 s0, s12, 0xffffff4e
	v_add_u32_e32 v0, s0, v0
	v_mad_u64_u32 v[2:3], s[10:11], s12, 33, v[0:1]
	v_mov_b32_e32 v3, v1
	v_lshl_add_u64 v[8:9], v[0:1], 2, s[8:9]
	v_lshlrev_b64 v[4:5], 2, v[2:3]
	global_store_dword v[8:9], v10, off
	v_lshl_add_u64 v[8:9], s[4:5], 0, v[4:5]
	v_lshl_add_u64 v[4:5], s[6:7], 0, v[4:5]
	global_load_dword v0, v[8:9], off
	global_load_dword v3, v[4:5], off
	s_mul_i32 s0, s12, 0x49
	s_mulk_i32 s12, 0xff8a
	s_waitcnt vmcnt(0)
	v_sub_f32_e32 v0, v0, v3
	v_add_f32_e32 v6, v6, v0
	v_add_u32_e32 v0, s14, v2
	v_lshlrev_b64 v[2:3], 2, v[0:1]
	v_lshl_add_u64 v[4:5], s[4:5], 0, v[2:3]
	v_lshl_add_u64 v[2:3], s[6:7], 0, v[2:3]
	global_load_dword v4, v[4:5], off
	v_add_u32_e32 v0, s0, v0
	global_load_dword v2, v[2:3], off
	s_waitcnt vmcnt(0)
	v_sub_f32_e32 v2, v4, v2
	v_add_f32_e32 v2, v6, v2
	v_sub_f32_e32 v6, v2, v7
	v_lshlrev_b64 v[2:3], 2, v[0:1]
	v_lshl_add_u64 v[4:5], s[4:5], 0, v[2:3]
	v_lshl_add_u64 v[2:3], s[6:7], 0, v[2:3]
	global_load_dword v4, v[4:5], off
	v_add_u32_e32 v0, s2, v0
	global_load_dword v2, v[2:3], off
	s_waitcnt vmcnt(0)
	v_sub_f32_e32 v2, v4, v2
	v_add_f32_e32 v6, v6, v2
	v_lshlrev_b64 v[2:3], 2, v[0:1]
	v_lshl_add_u64 v[4:5], s[4:5], 0, v[2:3]
	v_lshl_add_u64 v[2:3], s[6:7], 0, v[2:3]
	global_load_dword v4, v[4:5], off
	v_add_u32_e32 v0, s12, v0
	global_load_dword v2, v[2:3], off
	v_lshl_add_u64 v[0:1], v[0:1], 2, s[8:9]
	s_waitcnt vmcnt(0)
	v_sub_f32_e32 v2, v4, v2
	v_add_f32_e32 v2, v6, v2
	v_mul_f32_e32 v2, s3, v2
	v_mul_f32_e32 v2, s1, v2
	global_store_dword v[0:1], v2, off
	s_endpgm
	.section	.rodata,"a",@progbits
	.p2align	6, 0x0
	.amdhsa_kernel _Z14rdwdot6_kernelIfEvPKT_S2_PS0_S0_S2_
		.amdhsa_group_segment_fixed_size 0
		.amdhsa_private_segment_fixed_size 0
		.amdhsa_kernarg_size 296
		.amdhsa_user_sgpr_count 2
		.amdhsa_user_sgpr_dispatch_ptr 0
		.amdhsa_user_sgpr_queue_ptr 0
		.amdhsa_user_sgpr_kernarg_segment_ptr 1
		.amdhsa_user_sgpr_dispatch_id 0
		.amdhsa_user_sgpr_kernarg_preload_length 0
		.amdhsa_user_sgpr_kernarg_preload_offset 0
		.amdhsa_user_sgpr_private_segment_size 0
		.amdhsa_uses_dynamic_stack 0
		.amdhsa_enable_private_segment 0
		.amdhsa_system_sgpr_workgroup_id_x 1
		.amdhsa_system_sgpr_workgroup_id_y 0
		.amdhsa_system_sgpr_workgroup_id_z 0
		.amdhsa_system_sgpr_workgroup_info 0
		.amdhsa_system_vgpr_workitem_id 0
		.amdhsa_next_free_vgpr 15
		.amdhsa_next_free_sgpr 16
		.amdhsa_accum_offset 16
		.amdhsa_reserve_vcc 0
		.amdhsa_float_round_mode_32 0
		.amdhsa_float_round_mode_16_64 0
		.amdhsa_float_denorm_mode_32 3
		.amdhsa_float_denorm_mode_16_64 3
		.amdhsa_dx10_clamp 1
		.amdhsa_ieee_mode 1
		.amdhsa_fp16_overflow 0
		.amdhsa_tg_split 0
		.amdhsa_exception_fp_ieee_invalid_op 0
		.amdhsa_exception_fp_denorm_src 0
		.amdhsa_exception_fp_ieee_div_zero 0
		.amdhsa_exception_fp_ieee_overflow 0
		.amdhsa_exception_fp_ieee_underflow 0
		.amdhsa_exception_fp_ieee_inexact 0
		.amdhsa_exception_int_div_zero 0
	.end_amdhsa_kernel
	.section	.text._Z14rdwdot6_kernelIfEvPKT_S2_PS0_S0_S2_,"axG",@progbits,_Z14rdwdot6_kernelIfEvPKT_S2_PS0_S0_S2_,comdat
.Lfunc_end22:
	.size	_Z14rdwdot6_kernelIfEvPKT_S2_PS0_S0_S2_, .Lfunc_end22-_Z14rdwdot6_kernelIfEvPKT_S2_PS0_S0_S2_
                                        ; -- End function
	.set _Z14rdwdot6_kernelIfEvPKT_S2_PS0_S0_S2_.num_vgpr, 15
	.set _Z14rdwdot6_kernelIfEvPKT_S2_PS0_S0_S2_.num_agpr, 0
	.set _Z14rdwdot6_kernelIfEvPKT_S2_PS0_S0_S2_.numbered_sgpr, 16
	.set _Z14rdwdot6_kernelIfEvPKT_S2_PS0_S0_S2_.num_named_barrier, 0
	.set _Z14rdwdot6_kernelIfEvPKT_S2_PS0_S0_S2_.private_seg_size, 0
	.set _Z14rdwdot6_kernelIfEvPKT_S2_PS0_S0_S2_.uses_vcc, 0
	.set _Z14rdwdot6_kernelIfEvPKT_S2_PS0_S0_S2_.uses_flat_scratch, 0
	.set _Z14rdwdot6_kernelIfEvPKT_S2_PS0_S0_S2_.has_dyn_sized_stack, 0
	.set _Z14rdwdot6_kernelIfEvPKT_S2_PS0_S0_S2_.has_recursion, 0
	.set _Z14rdwdot6_kernelIfEvPKT_S2_PS0_S0_S2_.has_indirect_call, 0
	.section	.AMDGPU.csdata,"",@progbits
; Kernel info:
; codeLenInByte = 2652
; TotalNumSgprs: 22
; NumVgprs: 15
; NumAgprs: 0
; TotalNumVgprs: 15
; ScratchSize: 0
; MemoryBound: 0
; FloatMode: 240
; IeeeMode: 1
; LDSByteSize: 0 bytes/workgroup (compile time only)
; SGPRBlocks: 2
; VGPRBlocks: 1
; NumSGPRsForWavesPerEU: 22
; NumVGPRsForWavesPerEU: 15
; AccumOffset: 16
; Occupancy: 8
; WaveLimiterHint : 0
; COMPUTE_PGM_RSRC2:SCRATCH_EN: 0
; COMPUTE_PGM_RSRC2:USER_SGPR: 2
; COMPUTE_PGM_RSRC2:TRAP_HANDLER: 0
; COMPUTE_PGM_RSRC2:TGID_X_EN: 1
; COMPUTE_PGM_RSRC2:TGID_Y_EN: 0
; COMPUTE_PGM_RSRC2:TGID_Z_EN: 0
; COMPUTE_PGM_RSRC2:TIDIG_COMP_CNT: 0
; COMPUTE_PGM_RSRC3_GFX90A:ACCUM_OFFSET: 3
; COMPUTE_PGM_RSRC3_GFX90A:TG_SPLIT: 0
	.section	.text._Z14rdwdot7_kernelIfEvPKT_S2_PS0_S0_S2_,"axG",@progbits,_Z14rdwdot7_kernelIfEvPKT_S2_PS0_S0_S2_,comdat
	.protected	_Z14rdwdot7_kernelIfEvPKT_S2_PS0_S0_S2_ ; -- Begin function _Z14rdwdot7_kernelIfEvPKT_S2_PS0_S0_S2_
	.globl	_Z14rdwdot7_kernelIfEvPKT_S2_PS0_S0_S2_
	.p2align	8
	.type	_Z14rdwdot7_kernelIfEvPKT_S2_PS0_S0_S2_,@function
_Z14rdwdot7_kernelIfEvPKT_S2_PS0_S0_S2_: ; @_Z14rdwdot7_kernelIfEvPKT_S2_PS0_S0_S2_
; %bb.0:
	s_load_dwordx4 s[4:7], s[0:1], 0x0
	s_load_dwordx2 s[8:9], s[0:1], 0x10
	s_load_dword s3, s[0:1], 0x18
	s_load_dwordx2 s[10:11], s[0:1], 0x20
	s_load_dword s12, s[0:1], 0x28
	s_load_dword s13, s[0:1], 0x34
	v_mov_b32_e32 v1, 0
	s_waitcnt lgkmcnt(0)
	s_and_b32 s0, s13, 0xffff
	s_mul_i32 s12, s12, s0
	s_mul_i32 s1, s12, 47
	;; [unrolled: 1-line block ×3, first 2 shown]
	s_add_i32 s1, s1, s2
	v_add_u32_e32 v0, s1, v0
	v_lshlrev_b64 v[2:3], 2, v[0:1]
	v_lshl_add_u64 v[4:5], s[4:5], 0, v[2:3]
	v_lshl_add_u64 v[2:3], s[6:7], 0, v[2:3]
	global_load_dword v4, v[4:5], off
	v_add_u32_e32 v0, s12, v0
	global_load_dword v2, v[2:3], off
	s_mul_i32 s2, s12, 7
	s_lshl_b32 s13, s12, 3
	s_waitcnt vmcnt(0)
	v_sub_f32_e32 v6, v4, v2
	v_lshlrev_b64 v[2:3], 2, v[0:1]
	v_lshl_add_u64 v[4:5], s[4:5], 0, v[2:3]
	v_lshl_add_u64 v[2:3], s[6:7], 0, v[2:3]
	global_load_dword v4, v[4:5], off
	s_nop 0
	global_load_dword v2, v[2:3], off
	s_waitcnt vmcnt(0)
	v_sub_f32_e32 v2, v4, v2
	v_add_f32_e32 v8, v6, v2
	v_mad_u64_u32 v[2:3], s[0:1], s12, 15, v[0:1]
	v_mov_b32_e32 v3, v1
	v_lshlrev_b64 v[4:5], 2, v[2:3]
	v_lshl_add_u64 v[6:7], s[4:5], 0, v[4:5]
	v_lshl_add_u64 v[4:5], s[6:7], 0, v[4:5]
	global_load_dword v3, v[4:5], off
	global_load_dword v0, v[6:7], off
	s_waitcnt vmcnt(1)
	v_mad_u64_u32 v[4:5], s[0:1], s12, 14, v[2:3]
	v_mov_b32_e32 v5, v1
	s_waitcnt vmcnt(0)
	v_sub_f32_e32 v0, v0, v3
	v_lshlrev_b64 v[2:3], 2, v[4:5]
	v_lshl_add_u64 v[6:7], s[4:5], 0, v[2:3]
	v_lshl_add_u64 v[2:3], s[6:7], 0, v[2:3]
	global_load_dword v5, v[6:7], off
	v_add_f32_e32 v0, v8, v0
	global_load_dword v2, v[2:3], off
	s_lshl_b32 s0, s12, 1
	s_mul_i32 s1, s12, 5
	s_waitcnt vmcnt(0)
	v_sub_f32_e32 v2, v5, v2
	v_sub_f32_e32 v3, v0, v2
	v_add_u32_e32 v0, s12, v4
	v_lshlrev_b64 v[4:5], 2, v[0:1]
	v_lshl_add_u64 v[6:7], s[4:5], 0, v[4:5]
	v_lshl_add_u64 v[4:5], s[6:7], 0, v[4:5]
	global_load_dword v6, v[6:7], off
	v_add_u32_e32 v0, s12, v0
	global_load_dword v4, v[4:5], off
	s_waitcnt vmcnt(0)
	v_sub_f32_e32 v4, v6, v4
	v_sub_f32_e32 v3, v3, v4
	v_lshlrev_b64 v[4:5], 2, v[0:1]
	v_lshl_add_u64 v[6:7], s[4:5], 0, v[4:5]
	v_lshl_add_u64 v[4:5], s[6:7], 0, v[4:5]
	global_load_dword v6, v[6:7], off
	v_add_u32_e32 v0, s12, v0
	global_load_dword v4, v[4:5], off
	s_waitcnt vmcnt(0)
	v_sub_f32_e32 v4, v6, v4
	v_sub_f32_e32 v3, v3, v4
	;; [unrolled: 9-line block ×5, first 2 shown]
	v_lshlrev_b64 v[4:5], 2, v[0:1]
	v_lshl_add_u64 v[6:7], s[4:5], 0, v[4:5]
	v_lshl_add_u64 v[4:5], s[6:7], 0, v[4:5]
	global_load_dword v3, v[6:7], off
	v_add_u32_e32 v0, s12, v0
	global_load_dword v4, v[4:5], off
	s_waitcnt vmcnt(0)
	v_sub_f32_e32 v3, v3, v4
	v_lshlrev_b64 v[4:5], 2, v[0:1]
	v_lshl_add_u64 v[6:7], s[4:5], 0, v[4:5]
	v_lshl_add_u64 v[4:5], s[6:7], 0, v[4:5]
	global_load_dword v6, v[6:7], off
	v_sub_f32_e32 v8, v8, v3
	global_load_dword v4, v[4:5], off
	v_add_u32_e32 v0, s12, v0
	v_add_f32_e32 v2, v2, v3
	s_waitcnt vmcnt(0)
	v_sub_f32_e32 v4, v6, v4
	v_sub_f32_e32 v8, v8, v4
	v_lshlrev_b64 v[4:5], 2, v[0:1]
	v_lshl_add_u64 v[6:7], s[4:5], 0, v[4:5]
	v_lshl_add_u64 v[4:5], s[6:7], 0, v[4:5]
	global_load_dword v6, v[6:7], off
	v_add_u32_e32 v0, s12, v0
	global_load_dword v4, v[4:5], off
	s_waitcnt vmcnt(0)
	v_sub_f32_e32 v4, v6, v4
	v_lshlrev_b64 v[6:7], 2, v[0:1]
	v_sub_f32_e32 v5, v8, v4
	v_lshl_add_u64 v[8:9], s[4:5], 0, v[6:7]
	v_lshl_add_u64 v[6:7], s[6:7], 0, v[6:7]
	global_load_dword v8, v[8:9], off
	v_add_u32_e32 v0, s12, v0
	global_load_dword v6, v[6:7], off
	v_add_f32_e32 v2, v2, v4
	s_waitcnt vmcnt(0)
	v_sub_f32_e32 v6, v8, v6
	v_sub_f32_e32 v10, v5, v6
	v_lshlrev_b64 v[6:7], 2, v[0:1]
	v_lshl_add_u64 v[8:9], s[4:5], 0, v[6:7]
	v_lshl_add_u64 v[6:7], s[6:7], 0, v[6:7]
	global_load_dword v5, v[8:9], off
	v_add_u32_e32 v0, s12, v0
	global_load_dword v6, v[6:7], off
	s_waitcnt vmcnt(0)
	v_sub_f32_e32 v5, v5, v6
	v_lshlrev_b64 v[6:7], 2, v[0:1]
	v_lshl_add_u64 v[8:9], s[4:5], 0, v[6:7]
	v_lshl_add_u64 v[6:7], s[6:7], 0, v[6:7]
	global_load_dword v8, v[8:9], off
	v_sub_f32_e32 v10, v10, v5
	global_load_dword v6, v[6:7], off
	v_add_u32_e32 v0, s12, v0
	v_add_f32_e32 v2, v2, v5
	s_waitcnt vmcnt(0)
	v_sub_f32_e32 v6, v8, v6
	v_sub_f32_e32 v10, v10, v6
	v_lshlrev_b64 v[6:7], 2, v[0:1]
	v_lshl_add_u64 v[8:9], s[4:5], 0, v[6:7]
	v_lshl_add_u64 v[6:7], s[6:7], 0, v[6:7]
	global_load_dword v8, v[8:9], off
	v_add_u32_e32 v0, s12, v0
	global_load_dword v6, v[6:7], off
	s_waitcnt vmcnt(0)
	v_sub_f32_e32 v6, v8, v6
	v_lshlrev_b64 v[8:9], 2, v[0:1]
	v_sub_f32_e32 v7, v10, v6
	v_lshl_add_u64 v[10:11], s[4:5], 0, v[8:9]
	v_lshl_add_u64 v[8:9], s[6:7], 0, v[8:9]
	global_load_dword v10, v[10:11], off
	v_add_u32_e32 v0, s12, v0
	global_load_dword v8, v[8:9], off
	v_add_f32_e32 v2, v2, v6
	s_waitcnt vmcnt(0)
	v_sub_f32_e32 v8, v10, v8
	v_sub_f32_e32 v7, v7, v8
	v_lshlrev_b64 v[8:9], 2, v[0:1]
	v_lshl_add_u64 v[10:11], s[4:5], 0, v[8:9]
	v_lshl_add_u64 v[8:9], s[6:7], 0, v[8:9]
	global_load_dword v10, v[10:11], off
	v_add_u32_e32 v0, s12, v0
	global_load_dword v8, v[8:9], off
	s_waitcnt vmcnt(0)
	v_sub_f32_e32 v8, v10, v8
	v_sub_f32_e32 v7, v7, v8
	v_lshlrev_b64 v[8:9], 2, v[0:1]
	v_lshl_add_u64 v[10:11], s[4:5], 0, v[8:9]
	v_lshl_add_u64 v[8:9], s[6:7], 0, v[8:9]
	global_load_dword v10, v[10:11], off
	v_add_u32_e32 v0, s12, v0
	global_load_dword v8, v[8:9], off
	s_waitcnt vmcnt(0)
	v_sub_f32_e32 v8, v10, v8
	v_sub_f32_e32 v7, v7, v8
	v_sub_f32_e32 v7, v7, v8
	v_lshlrev_b64 v[8:9], 2, v[0:1]
	v_lshl_add_u64 v[10:11], s[4:5], 0, v[8:9]
	v_lshl_add_u64 v[8:9], s[6:7], 0, v[8:9]
	global_load_dword v10, v[10:11], off
	v_add_u32_e32 v0, s12, v0
	global_load_dword v8, v[8:9], off
	s_waitcnt vmcnt(0)
	v_sub_f32_e32 v8, v10, v8
	;; [unrolled: 10-line block ×3, first 2 shown]
	v_sub_f32_e32 v7, v7, v8
	v_lshlrev_b64 v[8:9], 2, v[0:1]
	v_lshl_add_u64 v[10:11], s[4:5], 0, v[8:9]
	v_lshl_add_u64 v[8:9], s[6:7], 0, v[8:9]
	global_load_dword v10, v[10:11], off
	v_add_u32_e32 v0, s1, v0
	global_load_dword v8, v[8:9], off
	s_waitcnt vmcnt(0)
	v_sub_f32_e32 v8, v10, v8
	v_add_f32_e32 v12, v7, v8
	v_lshlrev_b64 v[8:9], 2, v[0:1]
	v_lshl_add_u64 v[10:11], s[4:5], 0, v[8:9]
	v_lshl_add_u64 v[8:9], s[6:7], 0, v[8:9]
	global_load_dword v7, v[10:11], off
	v_add_u32_e32 v0, s12, v0
	global_load_dword v8, v[8:9], off
	s_waitcnt vmcnt(0)
	v_sub_f32_e32 v7, v7, v8
	v_lshlrev_b64 v[8:9], 2, v[0:1]
	v_lshl_add_u64 v[10:11], s[4:5], 0, v[8:9]
	v_lshl_add_u64 v[8:9], s[6:7], 0, v[8:9]
	global_load_dword v10, v[10:11], off
	v_add_u32_e32 v0, s12, v0
	global_load_dword v8, v[8:9], off
	v_add_f32_e32 v12, v12, v7
	v_sub_f32_e32 v2, v2, v7
	s_waitcnt vmcnt(0)
	v_sub_f32_e32 v9, v10, v8
	v_lshlrev_b64 v[10:11], 2, v[0:1]
	v_add_f32_e32 v8, v12, v9
	v_lshl_add_u64 v[12:13], s[4:5], 0, v[10:11]
	v_lshl_add_u64 v[10:11], s[6:7], 0, v[10:11]
	global_load_dword v12, v[12:13], off
	v_add_u32_e32 v0, s0, v0
	global_load_dword v10, v[10:11], off
	v_sub_f32_e32 v2, v2, v9
	s_waitcnt vmcnt(0)
	v_sub_f32_e32 v10, v12, v10
	v_lshlrev_b64 v[12:13], 2, v[0:1]
	v_lshl_add_u64 v[14:15], s[4:5], 0, v[12:13]
	v_lshl_add_u64 v[12:13], s[6:7], 0, v[12:13]
	v_add_f32_e32 v11, v8, v10
	global_load_dword v8, v[14:15], off
	v_add_u32_e32 v0, s12, v0
	global_load_dword v12, v[12:13], off
	v_sub_f32_e32 v6, v2, v10
	s_waitcnt vmcnt(0)
	v_sub_f32_e32 v8, v8, v12
	v_lshlrev_b64 v[12:13], 2, v[0:1]
	v_add_f32_e32 v11, v11, v8
	v_lshl_add_u64 v[14:15], s[4:5], 0, v[12:13]
	v_lshl_add_u64 v[12:13], s[6:7], 0, v[12:13]
	v_add_f32_e32 v16, v8, v11
	global_load_dword v11, v[14:15], off
	s_nop 0
	global_load_dword v12, v[12:13], off
	s_waitcnt vmcnt(0)
	v_sub_f32_e32 v11, v11, v12
	v_add_f32_e32 v12, v16, v11
	v_add_f32_e32 v18, v11, v12
	v_mad_u64_u32 v[12:13], s[14:15], s12, 12, v[0:1]
	v_mov_b32_e32 v13, v1
	v_lshlrev_b64 v[14:15], 2, v[12:13]
	v_lshl_add_u64 v[16:17], s[4:5], 0, v[14:15]
	v_lshl_add_u64 v[14:15], s[6:7], 0, v[14:15]
	global_load_dword v0, v[16:17], off
	global_load_dword v13, v[14:15], off
	s_waitcnt vmcnt(0)
	v_sub_f32_e32 v0, v0, v13
	v_add_f32_e32 v16, v18, v0
	v_add_u32_e32 v0, s0, v12
	v_lshlrev_b64 v[12:13], 2, v[0:1]
	v_lshl_add_u64 v[14:15], s[4:5], 0, v[12:13]
	v_lshl_add_u64 v[12:13], s[6:7], 0, v[12:13]
	global_load_dword v14, v[14:15], off
	v_add_u32_e32 v0, s2, v0
	global_load_dword v12, v[12:13], off
	s_waitcnt vmcnt(0)
	v_sub_f32_e32 v12, v14, v12
	v_sub_f32_e32 v16, v16, v12
	v_lshlrev_b64 v[12:13], 2, v[0:1]
	v_lshl_add_u64 v[14:15], s[4:5], 0, v[12:13]
	v_lshl_add_u64 v[12:13], s[6:7], 0, v[12:13]
	global_load_dword v14, v[14:15], off
	v_add_u32_e32 v0, s13, v0
	global_load_dword v12, v[12:13], off
	s_waitcnt vmcnt(0)
	v_sub_f32_e32 v12, v14, v12
	v_add_f32_e32 v16, v16, v12
	v_lshlrev_b64 v[12:13], 2, v[0:1]
	v_lshl_add_u64 v[14:15], s[4:5], 0, v[12:13]
	v_lshl_add_u64 v[12:13], s[6:7], 0, v[12:13]
	global_load_dword v14, v[14:15], off
	v_add_u32_e32 v0, s13, v0
	global_load_dword v12, v[12:13], off
	s_mul_i32 s13, s12, 6
	s_waitcnt vmcnt(0)
	v_sub_f32_e32 v12, v14, v12
	v_add_f32_e32 v16, v16, v12
	v_lshlrev_b64 v[12:13], 2, v[0:1]
	v_lshl_add_u64 v[14:15], s[4:5], 0, v[12:13]
	v_lshl_add_u64 v[12:13], s[6:7], 0, v[12:13]
	global_load_dword v14, v[14:15], off
	v_add_u32_e32 v0, s12, v0
	global_load_dword v12, v[12:13], off
	s_waitcnt vmcnt(0)
	v_sub_f32_e32 v18, v14, v12
	v_lshlrev_b64 v[12:13], 2, v[0:1]
	v_lshl_add_u64 v[14:15], s[4:5], 0, v[12:13]
	v_lshl_add_u64 v[12:13], s[6:7], 0, v[12:13]
	global_load_dword v14, v[14:15], off
	v_sub_f32_e32 v16, v16, v18
	global_load_dword v12, v[12:13], off
	v_add_u32_e32 v0, s12, v0
	s_waitcnt vmcnt(0)
	v_sub_f32_e32 v12, v14, v12
	v_sub_f32_e32 v16, v16, v12
	v_lshlrev_b64 v[12:13], 2, v[0:1]
	v_lshl_add_u64 v[14:15], s[4:5], 0, v[12:13]
	v_lshl_add_u64 v[12:13], s[6:7], 0, v[12:13]
	global_load_dword v14, v[14:15], off
	v_add_u32_e32 v0, s12, v0
	global_load_dword v12, v[12:13], off
	s_waitcnt vmcnt(0)
	v_sub_f32_e32 v12, v14, v12
	v_sub_f32_e32 v16, v16, v12
	v_lshlrev_b64 v[12:13], 2, v[0:1]
	v_lshl_add_u64 v[14:15], s[4:5], 0, v[12:13]
	v_lshl_add_u64 v[12:13], s[6:7], 0, v[12:13]
	global_load_dword v14, v[14:15], off
	v_add_u32_e32 v0, s0, v0
	global_load_dword v12, v[12:13], off
	s_waitcnt vmcnt(0)
	v_sub_f32_e32 v12, v14, v12
	v_add_f32_e32 v16, v16, v12
	v_lshlrev_b64 v[12:13], 2, v[0:1]
	v_lshl_add_u64 v[14:15], s[4:5], 0, v[12:13]
	v_lshl_add_u64 v[12:13], s[6:7], 0, v[12:13]
	global_load_dword v14, v[14:15], off
	s_nop 0
	global_load_dword v12, v[12:13], off
	s_waitcnt vmcnt(0)
	v_sub_f32_e32 v12, v14, v12
	v_add_f32_e32 v19, v16, v12
	v_mad_u64_u32 v[12:13], s[14:15], s12, 10, v[0:1]
	v_mov_b32_e32 v13, v1
	v_lshlrev_b64 v[14:15], 2, v[12:13]
	v_lshl_add_u64 v[16:17], s[4:5], 0, v[14:15]
	v_lshl_add_u64 v[14:15], s[6:7], 0, v[14:15]
	global_load_dword v0, v[16:17], off
	global_load_dword v13, v[14:15], off
	s_waitcnt vmcnt(0)
	v_sub_f32_e32 v0, v0, v13
	v_mad_u64_u32 v[12:13], s[14:15], s12, 9, v[12:13]
	v_mov_b32_e32 v13, v1
	v_lshlrev_b64 v[14:15], 2, v[12:13]
	v_lshl_add_u64 v[16:17], s[4:5], 0, v[14:15]
	v_lshl_add_u64 v[14:15], s[6:7], 0, v[14:15]
	global_load_dword v13, v[16:17], off
	v_add_f32_e32 v0, v19, v0
	global_load_dword v14, v[14:15], off
	s_waitcnt vmcnt(0)
	v_sub_f32_e32 v19, v13, v14
	v_sub_f32_e32 v16, v0, v19
	v_add_u32_e32 v0, s12, v12
	v_lshlrev_b64 v[12:13], 2, v[0:1]
	v_lshl_add_u64 v[14:15], s[4:5], 0, v[12:13]
	v_lshl_add_u64 v[12:13], s[6:7], 0, v[12:13]
	global_load_dword v14, v[14:15], off
	s_nop 0
	global_load_dword v12, v[12:13], off
	s_waitcnt vmcnt(0)
	v_sub_f32_e32 v12, v14, v12
	v_sub_f32_e32 v20, v16, v12
	v_mad_u64_u32 v[12:13], s[14:15], s12, 3, v[0:1]
	v_mov_b32_e32 v13, v1
	v_lshlrev_b64 v[14:15], 2, v[12:13]
	v_lshl_add_u64 v[16:17], s[4:5], 0, v[14:15]
	v_lshl_add_u64 v[14:15], s[6:7], 0, v[14:15]
	global_load_dword v0, v[16:17], off
	global_load_dword v13, v[14:15], off
	s_waitcnt vmcnt(0)
	v_sub_f32_e32 v0, v0, v13
	v_add_f32_e32 v16, v20, v0
	v_add_u32_e32 v0, s1, v12
	v_lshlrev_b64 v[12:13], 2, v[0:1]
	v_lshl_add_u64 v[14:15], s[4:5], 0, v[12:13]
	v_lshl_add_u64 v[12:13], s[6:7], 0, v[12:13]
	global_load_dword v14, v[14:15], off
	v_add_u32_e32 v0, s13, v0
	global_load_dword v12, v[12:13], off
	s_waitcnt vmcnt(0)
	v_sub_f32_e32 v12, v14, v12
	v_add_f32_e32 v16, v16, v12
	v_lshlrev_b64 v[12:13], 2, v[0:1]
	v_lshl_add_u64 v[14:15], s[4:5], 0, v[12:13]
	v_lshl_add_u64 v[12:13], s[6:7], 0, v[12:13]
	global_load_dword v14, v[14:15], off
	v_add_u32_e32 v0, s12, v0
	global_load_dword v12, v[12:13], off
	s_waitcnt vmcnt(0)
	v_sub_f32_e32 v12, v14, v12
	v_add_f32_e32 v16, v16, v12
	v_lshlrev_b64 v[12:13], 2, v[0:1]
	v_lshl_add_u64 v[14:15], s[4:5], 0, v[12:13]
	v_lshl_add_u64 v[12:13], s[6:7], 0, v[12:13]
	global_load_dword v14, v[14:15], off
	v_add_u32_e32 v0, s2, v0
	global_load_dword v12, v[12:13], off
	s_waitcnt vmcnt(0)
	v_sub_f32_e32 v17, v14, v12
	v_lshlrev_b64 v[12:13], 2, v[0:1]
	v_lshl_add_u64 v[14:15], s[4:5], 0, v[12:13]
	v_lshl_add_u64 v[12:13], s[6:7], 0, v[12:13]
	global_load_dword v14, v[14:15], off
	v_sub_f32_e32 v16, v16, v17
	global_load_dword v12, v[12:13], off
	v_add_u32_e32 v0, s0, v0
	s_waitcnt vmcnt(0)
	v_sub_f32_e32 v12, v14, v12
	v_add_f32_e32 v16, v16, v12
	v_lshlrev_b64 v[12:13], 2, v[0:1]
	v_lshl_add_u64 v[14:15], s[4:5], 0, v[12:13]
	v_lshl_add_u64 v[12:13], s[6:7], 0, v[12:13]
	global_load_dword v14, v[14:15], off
	v_add_u32_e32 v0, s1, v0
	global_load_dword v12, v[12:13], off
	s_load_dwordx2 s[0:1], s[10:11], 0x20
	s_waitcnt vmcnt(0)
	v_sub_f32_e32 v12, v14, v12
	v_add_f32_e32 v16, v16, v12
	v_lshlrev_b64 v[12:13], 2, v[0:1]
	v_lshl_add_u64 v[14:15], s[4:5], 0, v[12:13]
	v_lshl_add_u64 v[12:13], s[6:7], 0, v[12:13]
	global_load_dword v14, v[14:15], off
	v_add_u32_e32 v0, s12, v0
	global_load_dword v12, v[12:13], off
	s_waitcnt vmcnt(0)
	v_sub_f32_e32 v20, v14, v12
	v_lshlrev_b64 v[12:13], 2, v[0:1]
	v_lshl_add_u64 v[14:15], s[4:5], 0, v[12:13]
	v_lshl_add_u64 v[12:13], s[6:7], 0, v[12:13]
	global_load_dword v14, v[14:15], off
	v_sub_f32_e32 v16, v16, v20
	global_load_dword v12, v[12:13], off
	v_add_u32_e32 v0, s13, v0
	s_waitcnt vmcnt(0)
	v_sub_f32_e32 v12, v14, v12
	v_add_f32_e32 v16, v16, v12
	v_lshlrev_b64 v[12:13], 2, v[0:1]
	v_lshl_add_u64 v[14:15], s[4:5], 0, v[12:13]
	v_lshl_add_u64 v[12:13], s[6:7], 0, v[12:13]
	global_load_dword v14, v[14:15], off
	v_add_u32_e32 v0, s12, v0
	global_load_dword v12, v[12:13], off
	s_waitcnt vmcnt(0)
	v_sub_f32_e32 v21, v14, v12
	v_lshlrev_b64 v[12:13], 2, v[0:1]
	v_lshl_add_u64 v[14:15], s[4:5], 0, v[12:13]
	v_lshl_add_u64 v[12:13], s[6:7], 0, v[12:13]
	global_load_dword v14, v[14:15], off
	v_sub_f32_e32 v16, v16, v21
	global_load_dword v12, v[12:13], off
	s_waitcnt vmcnt(0)
	v_sub_f32_e32 v12, v14, v12
	v_add_f32_e32 v12, v16, v12
	v_mul_f32_e32 v12, s3, v12
	s_waitcnt lgkmcnt(0)
	v_mul_f32_e32 v14, s0, v12
	s_mul_i32 s0, s12, 0xffffff3b
	v_add_u32_e32 v0, s0, v0
	s_mul_i32 s0, s12, 0x60
	v_lshl_add_u64 v[12:13], v[0:1], 2, s[8:9]
	v_add_u32_e32 v0, s0, v0
	v_lshlrev_b64 v[2:3], 2, v[0:1]
	v_lshl_add_u64 v[4:5], s[4:5], 0, v[2:3]
	v_lshl_add_u64 v[2:3], s[6:7], 0, v[2:3]
	global_load_dword v4, v[4:5], off
	s_nop 0
	global_load_dword v2, v[2:3], off
	s_waitcnt vmcnt(0)
	v_sub_f32_e32 v2, v4, v2
	v_sub_f32_e32 v2, v6, v2
	;; [unrolled: 1-line block ×4, first 2 shown]
	v_add_f32_e32 v8, v18, v2
	v_mad_u64_u32 v[2:3], s[10:11], s12, 61, v[0:1]
	v_mov_b32_e32 v3, v1
	v_lshlrev_b64 v[4:5], 2, v[2:3]
	v_lshl_add_u64 v[6:7], s[4:5], 0, v[4:5]
	v_lshl_add_u64 v[4:5], s[6:7], 0, v[4:5]
	global_load_dword v0, v[6:7], off
	global_load_dword v3, v[4:5], off
	s_waitcnt vmcnt(0)
	v_sub_f32_e32 v0, v0, v3
	v_mad_u64_u32 v[2:3], s[10:11], s12, 20, v[2:3]
	v_mov_b32_e32 v3, v1
	v_lshlrev_b64 v[4:5], 2, v[2:3]
	v_lshl_add_u64 v[6:7], s[4:5], 0, v[4:5]
	v_lshl_add_u64 v[4:5], s[6:7], 0, v[4:5]
	global_load_dword v3, v[6:7], off
	v_add_f32_e32 v0, v0, v8
	global_load_dword v4, v[4:5], off
	v_add_f32_e32 v0, v19, v0
	v_add_f32_e32 v0, v17, v0
	s_mulk_i32 s12, 0xff50
	global_store_dword v[12:13], v14, off
	s_waitcnt vmcnt(1)
	v_sub_f32_e32 v3, v3, v4
	v_add_f32_e32 v0, v3, v0
	v_add_f32_e32 v0, v20, v0
	v_add_f32_e32 v0, v21, v0
	v_mul_f32_e32 v0, s3, v0
	v_mul_f32_e32 v3, s1, v0
	v_add_u32_e32 v0, s12, v2
	v_lshl_add_u64 v[0:1], v[0:1], 2, s[8:9]
	global_store_dword v[0:1], v3, off
	s_endpgm
	.section	.rodata,"a",@progbits
	.p2align	6, 0x0
	.amdhsa_kernel _Z14rdwdot7_kernelIfEvPKT_S2_PS0_S0_S2_
		.amdhsa_group_segment_fixed_size 0
		.amdhsa_private_segment_fixed_size 0
		.amdhsa_kernarg_size 296
		.amdhsa_user_sgpr_count 2
		.amdhsa_user_sgpr_dispatch_ptr 0
		.amdhsa_user_sgpr_queue_ptr 0
		.amdhsa_user_sgpr_kernarg_segment_ptr 1
		.amdhsa_user_sgpr_dispatch_id 0
		.amdhsa_user_sgpr_kernarg_preload_length 0
		.amdhsa_user_sgpr_kernarg_preload_offset 0
		.amdhsa_user_sgpr_private_segment_size 0
		.amdhsa_uses_dynamic_stack 0
		.amdhsa_enable_private_segment 0
		.amdhsa_system_sgpr_workgroup_id_x 1
		.amdhsa_system_sgpr_workgroup_id_y 0
		.amdhsa_system_sgpr_workgroup_id_z 0
		.amdhsa_system_sgpr_workgroup_info 0
		.amdhsa_system_vgpr_workitem_id 0
		.amdhsa_next_free_vgpr 22
		.amdhsa_next_free_sgpr 16
		.amdhsa_accum_offset 24
		.amdhsa_reserve_vcc 0
		.amdhsa_float_round_mode_32 0
		.amdhsa_float_round_mode_16_64 0
		.amdhsa_float_denorm_mode_32 3
		.amdhsa_float_denorm_mode_16_64 3
		.amdhsa_dx10_clamp 1
		.amdhsa_ieee_mode 1
		.amdhsa_fp16_overflow 0
		.amdhsa_tg_split 0
		.amdhsa_exception_fp_ieee_invalid_op 0
		.amdhsa_exception_fp_denorm_src 0
		.amdhsa_exception_fp_ieee_div_zero 0
		.amdhsa_exception_fp_ieee_overflow 0
		.amdhsa_exception_fp_ieee_underflow 0
		.amdhsa_exception_fp_ieee_inexact 0
		.amdhsa_exception_int_div_zero 0
	.end_amdhsa_kernel
	.section	.text._Z14rdwdot7_kernelIfEvPKT_S2_PS0_S0_S2_,"axG",@progbits,_Z14rdwdot7_kernelIfEvPKT_S2_PS0_S0_S2_,comdat
.Lfunc_end23:
	.size	_Z14rdwdot7_kernelIfEvPKT_S2_PS0_S0_S2_, .Lfunc_end23-_Z14rdwdot7_kernelIfEvPKT_S2_PS0_S0_S2_
                                        ; -- End function
	.set _Z14rdwdot7_kernelIfEvPKT_S2_PS0_S0_S2_.num_vgpr, 22
	.set _Z14rdwdot7_kernelIfEvPKT_S2_PS0_S0_S2_.num_agpr, 0
	.set _Z14rdwdot7_kernelIfEvPKT_S2_PS0_S0_S2_.numbered_sgpr, 16
	.set _Z14rdwdot7_kernelIfEvPKT_S2_PS0_S0_S2_.num_named_barrier, 0
	.set _Z14rdwdot7_kernelIfEvPKT_S2_PS0_S0_S2_.private_seg_size, 0
	.set _Z14rdwdot7_kernelIfEvPKT_S2_PS0_S0_S2_.uses_vcc, 0
	.set _Z14rdwdot7_kernelIfEvPKT_S2_PS0_S0_S2_.uses_flat_scratch, 0
	.set _Z14rdwdot7_kernelIfEvPKT_S2_PS0_S0_S2_.has_dyn_sized_stack, 0
	.set _Z14rdwdot7_kernelIfEvPKT_S2_PS0_S0_S2_.has_recursion, 0
	.set _Z14rdwdot7_kernelIfEvPKT_S2_PS0_S0_S2_.has_indirect_call, 0
	.section	.AMDGPU.csdata,"",@progbits
; Kernel info:
; codeLenInByte = 3260
; TotalNumSgprs: 22
; NumVgprs: 22
; NumAgprs: 0
; TotalNumVgprs: 22
; ScratchSize: 0
; MemoryBound: 0
; FloatMode: 240
; IeeeMode: 1
; LDSByteSize: 0 bytes/workgroup (compile time only)
; SGPRBlocks: 2
; VGPRBlocks: 2
; NumSGPRsForWavesPerEU: 22
; NumVGPRsForWavesPerEU: 22
; AccumOffset: 24
; Occupancy: 8
; WaveLimiterHint : 0
; COMPUTE_PGM_RSRC2:SCRATCH_EN: 0
; COMPUTE_PGM_RSRC2:USER_SGPR: 2
; COMPUTE_PGM_RSRC2:TRAP_HANDLER: 0
; COMPUTE_PGM_RSRC2:TGID_X_EN: 1
; COMPUTE_PGM_RSRC2:TGID_Y_EN: 0
; COMPUTE_PGM_RSRC2:TGID_Z_EN: 0
; COMPUTE_PGM_RSRC2:TIDIG_COMP_CNT: 0
; COMPUTE_PGM_RSRC3_GFX90A:ACCUM_OFFSET: 5
; COMPUTE_PGM_RSRC3_GFX90A:TG_SPLIT: 0
	.section	.text._Z14rdwdot8_kernelIfEvPKT_S2_PS0_S0_S2_,"axG",@progbits,_Z14rdwdot8_kernelIfEvPKT_S2_PS0_S0_S2_,comdat
	.protected	_Z14rdwdot8_kernelIfEvPKT_S2_PS0_S0_S2_ ; -- Begin function _Z14rdwdot8_kernelIfEvPKT_S2_PS0_S0_S2_
	.globl	_Z14rdwdot8_kernelIfEvPKT_S2_PS0_S0_S2_
	.p2align	8
	.type	_Z14rdwdot8_kernelIfEvPKT_S2_PS0_S0_S2_,@function
_Z14rdwdot8_kernelIfEvPKT_S2_PS0_S0_S2_: ; @_Z14rdwdot8_kernelIfEvPKT_S2_PS0_S0_S2_
; %bb.0:
	s_load_dwordx4 s[4:7], s[0:1], 0x0
	s_load_dwordx2 s[8:9], s[0:1], 0x10
	s_load_dword s3, s[0:1], 0x18
	s_load_dwordx2 s[10:11], s[0:1], 0x20
	s_load_dword s12, s[0:1], 0x28
	s_load_dword s13, s[0:1], 0x34
	v_mov_b32_e32 v1, 0
	s_waitcnt lgkmcnt(0)
	s_and_b32 s1, s13, 0xffff
	s_mul_i32 s12, s12, s1
	s_mul_i32 s0, s12, 11
	;; [unrolled: 1-line block ×3, first 2 shown]
	s_add_i32 s1, s0, s2
	v_add_u32_e32 v0, s1, v0
	v_lshlrev_b64 v[2:3], 2, v[0:1]
	v_lshl_add_u64 v[4:5], s[4:5], 0, v[2:3]
	v_lshl_add_u64 v[2:3], s[6:7], 0, v[2:3]
	global_load_dword v4, v[4:5], off
	v_add_u32_e32 v0, s12, v0
	global_load_dword v2, v[2:3], off
	s_mul_i32 s1, s12, 7
	s_mul_i32 s2, s12, 3
	s_waitcnt vmcnt(0)
	v_sub_f32_e32 v6, v4, v2
	v_lshlrev_b64 v[2:3], 2, v[0:1]
	v_lshl_add_u64 v[4:5], s[4:5], 0, v[2:3]
	v_lshl_add_u64 v[2:3], s[6:7], 0, v[2:3]
	global_load_dword v4, v[4:5], off
	v_add_u32_e32 v0, s12, v0
	global_load_dword v2, v[2:3], off
	s_waitcnt vmcnt(0)
	v_sub_f32_e32 v2, v4, v2
	v_add_f32_e32 v6, v6, v2
	v_lshlrev_b64 v[2:3], 2, v[0:1]
	v_lshl_add_u64 v[4:5], s[4:5], 0, v[2:3]
	v_lshl_add_u64 v[2:3], s[6:7], 0, v[2:3]
	global_load_dword v4, v[4:5], off
	v_add_u32_e32 v0, s12, v0
	global_load_dword v2, v[2:3], off
	s_waitcnt vmcnt(0)
	v_sub_f32_e32 v2, v4, v2
	v_add_f32_e32 v6, v6, v2
	;; [unrolled: 9-line block ×3, first 2 shown]
	v_lshlrev_b64 v[2:3], 2, v[0:1]
	v_lshl_add_u64 v[4:5], s[4:5], 0, v[2:3]
	v_lshl_add_u64 v[2:3], s[6:7], 0, v[2:3]
	global_load_dword v4, v[4:5], off
	v_add_u32_e32 v0, s12, v0
	global_load_dword v2, v[2:3], off
	s_waitcnt vmcnt(0)
	v_sub_f32_e32 v6, v4, v2
	v_lshlrev_b64 v[2:3], 2, v[0:1]
	v_lshl_add_u64 v[4:5], s[4:5], 0, v[2:3]
	v_lshl_add_u64 v[2:3], s[6:7], 0, v[2:3]
	global_load_dword v4, v[4:5], off
	v_lshl_add_u32 v0, s12, 2, v0
	global_load_dword v2, v[2:3], off
	s_waitcnt vmcnt(0)
	v_sub_f32_e32 v2, v4, v2
	v_lshlrev_b64 v[4:5], 2, v[0:1]
	v_add_f32_e32 v3, v6, v2
	v_lshl_add_u64 v[6:7], s[4:5], 0, v[4:5]
	v_lshl_add_u64 v[4:5], s[6:7], 0, v[4:5]
	global_load_dword v2, v[6:7], off
	v_add_u32_e32 v0, s12, v0
	global_load_dword v4, v[4:5], off
	s_waitcnt vmcnt(0)
	v_sub_f32_e32 v2, v2, v4
	v_lshlrev_b64 v[4:5], 2, v[0:1]
	v_lshl_add_u64 v[6:7], s[4:5], 0, v[4:5]
	v_lshl_add_u64 v[4:5], s[6:7], 0, v[4:5]
	global_load_dword v6, v[6:7], off
	s_nop 0
	global_load_dword v4, v[4:5], off
	s_waitcnt vmcnt(0)
	v_sub_f32_e32 v4, v6, v4
	v_add_f32_e32 v2, v2, v4
	v_mad_u64_u32 v[4:5], s[14:15], s12, -11, v[0:1]
	v_mov_b32_e32 v5, v1
	v_lshlrev_b64 v[6:7], 2, v[4:5]
	v_lshl_add_u64 v[8:9], s[4:5], 0, v[6:7]
	v_lshl_add_u64 v[6:7], s[6:7], 0, v[6:7]
	global_load_dword v0, v[8:9], off
	global_load_dword v5, v[6:7], off
	s_waitcnt vmcnt(0)
	v_sub_f32_e32 v0, v0, v5
	v_sub_f32_e32 v8, v10, v0
	v_add_u32_e32 v0, s12, v4
	v_lshlrev_b64 v[4:5], 2, v[0:1]
	v_lshl_add_u64 v[6:7], s[4:5], 0, v[4:5]
	v_lshl_add_u64 v[4:5], s[6:7], 0, v[4:5]
	global_load_dword v6, v[6:7], off
	v_add_u32_e32 v0, s12, v0
	global_load_dword v4, v[4:5], off
	s_waitcnt vmcnt(0)
	v_sub_f32_e32 v4, v6, v4
	v_sub_f32_e32 v8, v8, v4
	v_lshlrev_b64 v[4:5], 2, v[0:1]
	v_lshl_add_u64 v[6:7], s[4:5], 0, v[4:5]
	v_lshl_add_u64 v[4:5], s[6:7], 0, v[4:5]
	global_load_dword v6, v[6:7], off
	v_add_u32_e32 v0, s12, v0
	global_load_dword v4, v[4:5], off
	s_waitcnt vmcnt(0)
	v_sub_f32_e32 v4, v6, v4
	v_sub_f32_e32 v8, v8, v4
	;; [unrolled: 9-line block ×4, first 2 shown]
	v_sub_f32_e32 v4, v4, v3
	v_sub_f32_e32 v8, v4, v3
	v_lshlrev_b64 v[4:5], 2, v[0:1]
	v_lshl_add_u64 v[6:7], s[4:5], 0, v[4:5]
	v_lshl_add_u64 v[4:5], s[6:7], 0, v[4:5]
	global_load_dword v6, v[6:7], off
	v_lshl_add_u32 v0, s12, 1, v0
	global_load_dword v4, v[4:5], off
	s_waitcnt vmcnt(0)
	v_sub_f32_e32 v6, v6, v4
	v_lshlrev_b64 v[4:5], 2, v[0:1]
	v_add_f32_e32 v7, v6, v8
	v_lshl_add_u64 v[8:9], s[4:5], 0, v[4:5]
	v_lshl_add_u64 v[4:5], s[6:7], 0, v[4:5]
	global_load_dword v8, v[8:9], off
	v_add_u32_e32 v0, s1, v0
	global_load_dword v4, v[4:5], off
	s_lshl_b32 s1, s12, 3
	s_waitcnt vmcnt(0)
	v_sub_f32_e32 v4, v8, v4
	v_lshlrev_b64 v[8:9], 2, v[0:1]
	v_lshl_add_u64 v[10:11], s[4:5], 0, v[8:9]
	v_lshl_add_u64 v[8:9], s[6:7], 0, v[8:9]
	v_add_f32_e32 v5, v7, v4
	global_load_dword v7, v[10:11], off
	v_add_f32_e32 v5, v2, v5
	global_load_dword v8, v[8:9], off
	s_waitcnt vmcnt(0)
	v_sub_f32_e32 v7, v7, v8
	v_mad_u64_u32 v[8:9], s[14:15], s12, 14, v[0:1]
	v_mov_b32_e32 v9, v1
	v_lshlrev_b64 v[10:11], 2, v[8:9]
	v_lshl_add_u64 v[12:13], s[4:5], 0, v[10:11]
	v_lshl_add_u64 v[10:11], s[6:7], 0, v[10:11]
	v_sub_f32_e32 v5, v5, v7
	global_load_dword v0, v[12:13], off
	global_load_dword v7, v[10:11], off
	s_waitcnt vmcnt(0)
	v_sub_f32_e32 v0, v0, v7
	v_add_f32_e32 v5, v5, v0
	v_add_u32_e32 v0, s1, v8
	v_lshlrev_b64 v[8:9], 2, v[0:1]
	v_lshl_add_u64 v[10:11], s[4:5], 0, v[8:9]
	v_lshl_add_u64 v[8:9], s[6:7], 0, v[8:9]
	global_load_dword v7, v[10:11], off
	s_nop 0
	global_load_dword v8, v[8:9], off
	s_waitcnt vmcnt(0)
	v_sub_f32_e32 v7, v7, v8
	v_mad_u64_u32 v[8:9], s[14:15], s12, 20, v[0:1]
	v_mov_b32_e32 v9, v1
	v_lshlrev_b64 v[10:11], 2, v[8:9]
	v_lshl_add_u64 v[12:13], s[4:5], 0, v[10:11]
	v_lshl_add_u64 v[10:11], s[6:7], 0, v[10:11]
	v_sub_f32_e32 v5, v5, v7
	global_load_dword v0, v[12:13], off
	global_load_dword v7, v[10:11], off
	s_waitcnt vmcnt(0)
	v_sub_f32_e32 v0, v0, v7
	v_add_f32_e32 v7, v5, v0
	v_add_u32_e32 v0, s12, v8
	v_lshlrev_b64 v[8:9], 2, v[0:1]
	v_lshl_add_u64 v[10:11], s[4:5], 0, v[8:9]
	v_lshl_add_u64 v[8:9], s[6:7], 0, v[8:9]
	global_load_dword v5, v[10:11], off
	v_add_u32_e32 v0, s1, v0
	global_load_dword v8, v[8:9], off
	s_waitcnt vmcnt(0)
	v_sub_f32_e32 v5, v5, v8
	v_lshlrev_b64 v[8:9], 2, v[0:1]
	v_lshl_add_u64 v[10:11], s[4:5], 0, v[8:9]
	v_lshl_add_u64 v[8:9], s[6:7], 0, v[8:9]
	global_load_dword v10, v[10:11], off
	v_sub_f32_e32 v7, v7, v5
	global_load_dword v8, v[8:9], off
	v_add_u32_e32 v0, s12, v0
	s_waitcnt vmcnt(0)
	v_sub_f32_e32 v8, v10, v8
	v_sub_f32_e32 v7, v7, v8
	v_lshlrev_b64 v[8:9], 2, v[0:1]
	v_lshl_add_u64 v[10:11], s[4:5], 0, v[8:9]
	v_lshl_add_u64 v[8:9], s[6:7], 0, v[8:9]
	global_load_dword v10, v[10:11], off
	v_add_u32_e32 v0, s12, v0
	global_load_dword v8, v[8:9], off
	s_waitcnt vmcnt(0)
	v_sub_f32_e32 v8, v10, v8
	v_sub_f32_e32 v12, v7, v8
	v_lshlrev_b64 v[8:9], 2, v[0:1]
	v_lshl_add_u64 v[10:11], s[4:5], 0, v[8:9]
	v_lshl_add_u64 v[8:9], s[6:7], 0, v[8:9]
	global_load_dword v7, v[10:11], off
	s_nop 0
	global_load_dword v8, v[8:9], off
	s_waitcnt vmcnt(0)
	v_sub_f32_e32 v7, v7, v8
	v_mad_u64_u32 v[8:9], s[14:15], s12, 15, v[0:1]
	v_mov_b32_e32 v9, v1
	v_lshlrev_b64 v[10:11], 2, v[8:9]
	v_add_f32_e32 v14, v12, v7
	v_lshl_add_u64 v[12:13], s[4:5], 0, v[10:11]
	v_lshl_add_u64 v[10:11], s[6:7], 0, v[10:11]
	global_load_dword v0, v[12:13], off
	global_load_dword v9, v[10:11], off
	s_waitcnt vmcnt(0)
	v_sub_f32_e32 v0, v0, v9
	v_mad_u64_u32 v[8:9], s[14:15], s12, 37, v[8:9]
	v_mov_b32_e32 v9, v1
	v_lshlrev_b64 v[10:11], 2, v[8:9]
	v_lshl_add_u64 v[12:13], s[4:5], 0, v[10:11]
	v_lshl_add_u64 v[10:11], s[6:7], 0, v[10:11]
	global_load_dword v9, v[12:13], off
	v_add_f32_e32 v0, v14, v0
	global_load_dword v10, v[10:11], off
	s_waitcnt vmcnt(0)
	v_sub_f32_e32 v9, v9, v10
	v_add_f32_e32 v12, v0, v9
	v_add_u32_e32 v0, s2, v8
	v_lshlrev_b64 v[8:9], 2, v[0:1]
	v_lshl_add_u64 v[10:11], s[4:5], 0, v[8:9]
	v_lshl_add_u64 v[8:9], s[6:7], 0, v[8:9]
	global_load_dword v10, v[10:11], off
	v_add_u32_e32 v0, s12, v0
	global_load_dword v8, v[8:9], off
	s_mul_i32 s2, s12, 9
	s_waitcnt vmcnt(0)
	v_sub_f32_e32 v8, v10, v8
	v_sub_f32_e32 v12, v12, v8
	v_lshlrev_b64 v[8:9], 2, v[0:1]
	v_lshl_add_u64 v[10:11], s[4:5], 0, v[8:9]
	v_lshl_add_u64 v[8:9], s[6:7], 0, v[8:9]
	global_load_dword v10, v[10:11], off
	v_add_u32_e32 v0, s0, v0
	global_load_dword v8, v[8:9], off
	s_waitcnt vmcnt(0)
	v_sub_f32_e32 v8, v10, v8
	v_lshlrev_b64 v[10:11], 2, v[0:1]
	v_add_f32_e32 v9, v12, v8
	v_lshl_add_u64 v[12:13], s[4:5], 0, v[10:11]
	v_lshl_add_u64 v[10:11], s[6:7], 0, v[10:11]
	global_load_dword v12, v[12:13], off
	v_add_u32_e32 v0, s2, v0
	global_load_dword v10, v[10:11], off
	s_waitcnt vmcnt(0)
	v_sub_f32_e32 v10, v12, v10
	v_add_f32_e32 v9, v9, v10
	v_lshlrev_b64 v[10:11], 2, v[0:1]
	v_lshl_add_u64 v[12:13], s[4:5], 0, v[10:11]
	v_lshl_add_u64 v[10:11], s[6:7], 0, v[10:11]
	global_load_dword v12, v[12:13], off
	v_add_u32_e32 v0, s12, v0
	global_load_dword v10, v[10:11], off
	s_waitcnt vmcnt(0)
	v_sub_f32_e32 v10, v12, v10
	v_add_f32_e32 v9, v9, v10
	v_lshlrev_b64 v[10:11], 2, v[0:1]
	v_lshl_add_u64 v[12:13], s[4:5], 0, v[10:11]
	v_lshl_add_u64 v[10:11], s[6:7], 0, v[10:11]
	global_load_dword v12, v[12:13], off
	v_add_u32_e32 v0, s0, v0
	global_load_dword v10, v[10:11], off
	s_waitcnt vmcnt(0)
	v_sub_f32_e32 v10, v12, v10
	v_sub_f32_e32 v9, v9, v10
	v_lshlrev_b64 v[10:11], 2, v[0:1]
	v_lshl_add_u64 v[12:13], s[4:5], 0, v[10:11]
	v_lshl_add_u64 v[10:11], s[6:7], 0, v[10:11]
	global_load_dword v12, v[12:13], off
	v_add_u32_e32 v0, s12, v0
	global_load_dword v10, v[10:11], off
	s_waitcnt vmcnt(0)
	v_sub_f32_e32 v10, v12, v10
	v_add_f32_e32 v9, v9, v10
	v_lshlrev_b64 v[10:11], 2, v[0:1]
	v_lshl_add_u64 v[12:13], s[4:5], 0, v[10:11]
	v_lshl_add_u64 v[10:11], s[6:7], 0, v[10:11]
	global_load_dword v12, v[12:13], off
	v_add_u32_e32 v0, s12, v0
	global_load_dword v10, v[10:11], off
	s_waitcnt vmcnt(0)
	v_sub_f32_e32 v10, v12, v10
	v_sub_f32_e32 v9, v9, v10
	v_lshlrev_b64 v[10:11], 2, v[0:1]
	v_lshl_add_u64 v[12:13], s[4:5], 0, v[10:11]
	v_lshl_add_u64 v[10:11], s[6:7], 0, v[10:11]
	global_load_dword v12, v[12:13], off
	v_add_u32_e32 v0, s12, v0
	global_load_dword v10, v[10:11], off
	s_waitcnt vmcnt(0)
	v_sub_f32_e32 v16, v12, v10
	v_lshlrev_b64 v[10:11], 2, v[0:1]
	v_lshl_add_u64 v[12:13], s[4:5], 0, v[10:11]
	v_lshl_add_u64 v[10:11], s[6:7], 0, v[10:11]
	global_load_dword v12, v[12:13], off
	v_sub_f32_e32 v9, v9, v16
	global_load_dword v10, v[10:11], off
	v_add_u32_e32 v0, s12, v0
	s_waitcnt vmcnt(0)
	v_sub_f32_e32 v10, v12, v10
	v_sub_f32_e32 v9, v9, v10
	v_lshlrev_b64 v[10:11], 2, v[0:1]
	v_lshl_add_u64 v[12:13], s[4:5], 0, v[10:11]
	v_lshl_add_u64 v[10:11], s[6:7], 0, v[10:11]
	global_load_dword v12, v[12:13], off
	v_add_u32_e32 v0, s2, v0
	global_load_dword v10, v[10:11], off
	s_waitcnt vmcnt(0)
	v_sub_f32_e32 v17, v12, v10
	v_lshlrev_b64 v[10:11], 2, v[0:1]
	v_lshl_add_u64 v[12:13], s[4:5], 0, v[10:11]
	v_lshl_add_u64 v[10:11], s[6:7], 0, v[10:11]
	global_load_dword v12, v[12:13], off
	v_add_f32_e32 v9, v9, v17
	global_load_dword v10, v[10:11], off
	v_add_u32_e32 v0, s12, v0
	s_waitcnt vmcnt(0)
	v_sub_f32_e32 v10, v12, v10
	v_sub_f32_e32 v9, v9, v10
	v_lshlrev_b64 v[10:11], 2, v[0:1]
	v_lshl_add_u64 v[12:13], s[4:5], 0, v[10:11]
	v_lshl_add_u64 v[10:11], s[6:7], 0, v[10:11]
	global_load_dword v12, v[12:13], off
	v_add_u32_e32 v0, s2, v0
	global_load_dword v10, v[10:11], off
	s_waitcnt vmcnt(0)
	v_sub_f32_e32 v10, v12, v10
	v_sub_f32_e32 v9, v9, v10
	v_lshlrev_b64 v[10:11], 2, v[0:1]
	v_lshl_add_u64 v[12:13], s[4:5], 0, v[10:11]
	v_lshl_add_u64 v[10:11], s[6:7], 0, v[10:11]
	global_load_dword v12, v[12:13], off
	s_nop 0
	global_load_dword v10, v[10:11], off
	s_waitcnt vmcnt(0)
	v_sub_f32_e32 v18, v12, v10
	v_mad_u64_u32 v[10:11], s[0:1], s12, 6, v[0:1]
	v_mov_b32_e32 v11, v1
	v_lshlrev_b64 v[12:13], 2, v[10:11]
	v_lshl_add_u64 v[14:15], s[4:5], 0, v[12:13]
	v_lshl_add_u64 v[12:13], s[6:7], 0, v[12:13]
	global_load_dword v0, v[14:15], off
	global_load_dword v11, v[12:13], off
	v_sub_f32_e32 v9, v9, v18
	s_load_dwordx2 s[0:1], s[10:11], 0x18
	s_waitcnt vmcnt(0)
	v_sub_f32_e32 v0, v0, v11
	v_add_f32_e32 v9, v9, v0
	v_add_u32_e32 v0, s12, v10
	v_lshlrev_b64 v[10:11], 2, v[0:1]
	v_lshl_add_u64 v[12:13], s[4:5], 0, v[10:11]
	v_lshl_add_u64 v[10:11], s[6:7], 0, v[10:11]
	global_load_dword v12, v[12:13], off
	s_nop 0
	global_load_dword v10, v[10:11], off
	s_waitcnt vmcnt(0)
	v_sub_f32_e32 v10, v12, v10
	v_sub_f32_e32 v9, v9, v10
	v_mul_f32_e32 v9, s3, v9
	s_waitcnt lgkmcnt(0)
	v_mul_f32_e32 v9, s0, v9
	s_mul_i32 s0, s12, 0xffffff3b
	v_add_u32_e32 v0, s0, v0
	v_lshl_add_u64 v[10:11], v[0:1], 2, s[8:9]
	v_add_u32_e32 v0, s2, v0
	global_store_dword v[10:11], v9, off
	v_lshlrev_b64 v[10:11], 2, v[0:1]
	v_lshl_add_u64 v[12:13], s[4:5], 0, v[10:11]
	v_lshl_add_u64 v[10:11], s[6:7], 0, v[10:11]
	global_load_dword v9, v[12:13], off
	v_add_u32_e32 v0, s2, v0
	global_load_dword v10, v[10:11], off
	s_mulk_i32 s12, 0xffef
	s_waitcnt vmcnt(0)
	v_sub_f32_e32 v9, v9, v10
	v_lshlrev_b64 v[10:11], 2, v[0:1]
	v_add_f32_e32 v3, v3, v9
	v_lshl_add_u64 v[12:13], s[4:5], 0, v[10:11]
	v_lshl_add_u64 v[10:11], s[6:7], 0, v[10:11]
	v_sub_f32_e32 v3, v3, v6
	global_load_dword v6, v[12:13], off
	global_load_dword v9, v[10:11], off
	v_add_u32_e32 v0, s12, v0
	v_lshl_add_u64 v[0:1], v[0:1], 2, s[8:9]
	s_waitcnt vmcnt(0)
	v_sub_f32_e32 v6, v6, v9
	v_sub_f32_e32 v3, v3, v6
	;; [unrolled: 1-line block ×4, first 2 shown]
	v_add_f32_e32 v2, v5, v2
	v_sub_f32_e32 v2, v2, v7
	v_sub_f32_e32 v2, v2, v8
	v_add_f32_e32 v2, v16, v2
	v_sub_f32_e32 v2, v2, v17
	v_add_f32_e32 v2, v18, v2
	v_mul_f32_e32 v2, s3, v2
	v_mul_f32_e32 v2, s1, v2
	global_store_dword v[0:1], v2, off
	s_endpgm
	.section	.rodata,"a",@progbits
	.p2align	6, 0x0
	.amdhsa_kernel _Z14rdwdot8_kernelIfEvPKT_S2_PS0_S0_S2_
		.amdhsa_group_segment_fixed_size 0
		.amdhsa_private_segment_fixed_size 0
		.amdhsa_kernarg_size 296
		.amdhsa_user_sgpr_count 2
		.amdhsa_user_sgpr_dispatch_ptr 0
		.amdhsa_user_sgpr_queue_ptr 0
		.amdhsa_user_sgpr_kernarg_segment_ptr 1
		.amdhsa_user_sgpr_dispatch_id 0
		.amdhsa_user_sgpr_kernarg_preload_length 0
		.amdhsa_user_sgpr_kernarg_preload_offset 0
		.amdhsa_user_sgpr_private_segment_size 0
		.amdhsa_uses_dynamic_stack 0
		.amdhsa_enable_private_segment 0
		.amdhsa_system_sgpr_workgroup_id_x 1
		.amdhsa_system_sgpr_workgroup_id_y 0
		.amdhsa_system_sgpr_workgroup_id_z 0
		.amdhsa_system_sgpr_workgroup_info 0
		.amdhsa_system_vgpr_workitem_id 0
		.amdhsa_next_free_vgpr 19
		.amdhsa_next_free_sgpr 16
		.amdhsa_accum_offset 20
		.amdhsa_reserve_vcc 0
		.amdhsa_float_round_mode_32 0
		.amdhsa_float_round_mode_16_64 0
		.amdhsa_float_denorm_mode_32 3
		.amdhsa_float_denorm_mode_16_64 3
		.amdhsa_dx10_clamp 1
		.amdhsa_ieee_mode 1
		.amdhsa_fp16_overflow 0
		.amdhsa_tg_split 0
		.amdhsa_exception_fp_ieee_invalid_op 0
		.amdhsa_exception_fp_denorm_src 0
		.amdhsa_exception_fp_ieee_div_zero 0
		.amdhsa_exception_fp_ieee_overflow 0
		.amdhsa_exception_fp_ieee_underflow 0
		.amdhsa_exception_fp_ieee_inexact 0
		.amdhsa_exception_int_div_zero 0
	.end_amdhsa_kernel
	.section	.text._Z14rdwdot8_kernelIfEvPKT_S2_PS0_S0_S2_,"axG",@progbits,_Z14rdwdot8_kernelIfEvPKT_S2_PS0_S0_S2_,comdat
.Lfunc_end24:
	.size	_Z14rdwdot8_kernelIfEvPKT_S2_PS0_S0_S2_, .Lfunc_end24-_Z14rdwdot8_kernelIfEvPKT_S2_PS0_S0_S2_
                                        ; -- End function
	.set _Z14rdwdot8_kernelIfEvPKT_S2_PS0_S0_S2_.num_vgpr, 19
	.set _Z14rdwdot8_kernelIfEvPKT_S2_PS0_S0_S2_.num_agpr, 0
	.set _Z14rdwdot8_kernelIfEvPKT_S2_PS0_S0_S2_.numbered_sgpr, 16
	.set _Z14rdwdot8_kernelIfEvPKT_S2_PS0_S0_S2_.num_named_barrier, 0
	.set _Z14rdwdot8_kernelIfEvPKT_S2_PS0_S0_S2_.private_seg_size, 0
	.set _Z14rdwdot8_kernelIfEvPKT_S2_PS0_S0_S2_.uses_vcc, 0
	.set _Z14rdwdot8_kernelIfEvPKT_S2_PS0_S0_S2_.uses_flat_scratch, 0
	.set _Z14rdwdot8_kernelIfEvPKT_S2_PS0_S0_S2_.has_dyn_sized_stack, 0
	.set _Z14rdwdot8_kernelIfEvPKT_S2_PS0_S0_S2_.has_recursion, 0
	.set _Z14rdwdot8_kernelIfEvPKT_S2_PS0_S0_S2_.has_indirect_call, 0
	.section	.AMDGPU.csdata,"",@progbits
; Kernel info:
; codeLenInByte = 2644
; TotalNumSgprs: 22
; NumVgprs: 19
; NumAgprs: 0
; TotalNumVgprs: 19
; ScratchSize: 0
; MemoryBound: 0
; FloatMode: 240
; IeeeMode: 1
; LDSByteSize: 0 bytes/workgroup (compile time only)
; SGPRBlocks: 2
; VGPRBlocks: 2
; NumSGPRsForWavesPerEU: 22
; NumVGPRsForWavesPerEU: 19
; AccumOffset: 20
; Occupancy: 8
; WaveLimiterHint : 0
; COMPUTE_PGM_RSRC2:SCRATCH_EN: 0
; COMPUTE_PGM_RSRC2:USER_SGPR: 2
; COMPUTE_PGM_RSRC2:TRAP_HANDLER: 0
; COMPUTE_PGM_RSRC2:TGID_X_EN: 1
; COMPUTE_PGM_RSRC2:TGID_Y_EN: 0
; COMPUTE_PGM_RSRC2:TGID_Z_EN: 0
; COMPUTE_PGM_RSRC2:TIDIG_COMP_CNT: 0
; COMPUTE_PGM_RSRC3_GFX90A:ACCUM_OFFSET: 4
; COMPUTE_PGM_RSRC3_GFX90A:TG_SPLIT: 0
	.section	.text._Z14rdwdot9_kernelIfEvPKT_S2_PS0_S0_S2_,"axG",@progbits,_Z14rdwdot9_kernelIfEvPKT_S2_PS0_S0_S2_,comdat
	.protected	_Z14rdwdot9_kernelIfEvPKT_S2_PS0_S0_S2_ ; -- Begin function _Z14rdwdot9_kernelIfEvPKT_S2_PS0_S0_S2_
	.globl	_Z14rdwdot9_kernelIfEvPKT_S2_PS0_S0_S2_
	.p2align	8
	.type	_Z14rdwdot9_kernelIfEvPKT_S2_PS0_S0_S2_,@function
_Z14rdwdot9_kernelIfEvPKT_S2_PS0_S0_S2_: ; @_Z14rdwdot9_kernelIfEvPKT_S2_PS0_S0_S2_
; %bb.0:
	s_load_dword s3, s[0:1], 0x34
	s_load_dword s10, s[0:1], 0x28
	s_load_dwordx4 s[4:7], s[0:1], 0x0
	s_load_dwordx2 s[8:9], s[0:1], 0x10
	s_waitcnt lgkmcnt(0)
	s_and_b32 s11, s3, 0xffff
	s_mul_i32 s2, s2, s11
	s_mul_i32 s3, s10, s11
	v_add_u32_e32 v14, s2, v0
	v_mad_u64_u32 v[0:1], s[10:11], s3, 26, v[14:15]
	v_mov_b32_e32 v1, 0
	v_lshlrev_b64 v[4:5], 2, v[0:1]
	v_add_u32_e32 v0, s3, v0
	v_lshlrev_b64 v[8:9], 2, v[0:1]
	v_mov_b32_e32 v15, v1
	v_add_u32_e32 v0, s3, v14
	v_lshlrev_b64 v[12:13], 2, v[14:15]
	v_lshlrev_b64 v[14:15], 2, v[0:1]
	v_lshl_add_u64 v[10:11], s[4:5], 0, v[12:13]
	v_lshl_add_u64 v[12:13], s[6:7], 0, v[12:13]
	;; [unrolled: 1-line block ×4, first 2 shown]
	v_add_u32_e32 v0, s3, v0
	global_load_dword v12, v[12:13], off
	v_lshl_add_u64 v[2:3], s[4:5], 0, v[4:5]
	global_load_dword v13, v[14:15], off
	v_lshlrev_b64 v[14:15], 2, v[0:1]
	v_lshl_add_u64 v[4:5], s[6:7], 0, v[4:5]
	global_load_dword v10, v[10:11], off
	v_add_u32_e32 v0, s3, v0
	global_load_dword v11, v[16:17], off
	v_lshl_add_u64 v[16:17], s[4:5], 0, v[14:15]
	v_lshl_add_u64 v[14:15], s[6:7], 0, v[14:15]
	global_load_dword v5, v[4:5], off
	s_mul_i32 s13, s3, 5
	global_load_dword v4, v[14:15], off
	v_lshlrev_b64 v[14:15], 2, v[0:1]
	global_load_dword v3, v[2:3], off
	v_add_u32_e32 v0, s13, v0
	global_load_dword v2, v[16:17], off
	v_lshl_add_u64 v[16:17], s[4:5], 0, v[14:15]
	global_load_dword v26, v[16:17], off
	v_lshlrev_b64 v[16:17], 2, v[0:1]
	v_lshl_add_u64 v[18:19], s[4:5], 0, v[16:17]
	v_lshl_add_u64 v[16:17], s[6:7], 0, v[16:17]
	v_add_u32_e32 v0, s3, v0
	v_lshl_add_u64 v[14:15], s[6:7], 0, v[14:15]
	global_load_dword v28, v[16:17], off
	v_lshlrev_b64 v[16:17], 2, v[0:1]
	s_mul_i32 s2, s3, 6
	global_load_dword v15, v[14:15], off
	v_add_u32_e32 v0, s2, v0
	global_load_dword v27, v[18:19], off
	v_lshl_add_u64 v[18:19], s[4:5], 0, v[16:17]
	v_lshl_add_u64 v[16:17], s[6:7], 0, v[16:17]
	global_load_dword v30, v[16:17], off
	v_lshlrev_b64 v[16:17], 2, v[0:1]
	s_mul_i32 s10, s3, 3
	global_load_dword v29, v[18:19], off
	v_lshl_add_u64 v[18:19], s[4:5], 0, v[16:17]
	v_add_u32_e32 v0, s10, v0
	global_load_dword v31, v[18:19], off
	v_lshl_add_u64 v[16:17], s[6:7], 0, v[16:17]
	v_lshlrev_b64 v[18:19], 2, v[0:1]
	v_add_u32_e32 v0, s3, v0
	global_load_dword v17, v[16:17], off
	v_lshlrev_b64 v[22:23], 2, v[0:1]
	v_lshl_add_u64 v[20:21], s[4:5], 0, v[18:19]
	v_lshl_add_u64 v[18:19], s[6:7], 0, v[18:19]
	;; [unrolled: 1-line block ×4, first 2 shown]
	v_add_u32_e32 v0, s3, v0
	global_load_dword v18, v[18:19], off
	s_lshl_b32 s11, s3, 2
	global_load_dword v19, v[22:23], off
	v_lshlrev_b64 v[22:23], 2, v[0:1]
	global_load_dword v20, v[20:21], off
	v_add_u32_e32 v0, s11, v0
	global_load_dword v21, v[24:25], off
	v_lshl_add_u64 v[24:25], s[4:5], 0, v[22:23]
	v_lshl_add_u64 v[22:23], s[6:7], 0, v[22:23]
	global_load_dword v33, v[22:23], off
	v_lshlrev_b64 v[22:23], 2, v[0:1]
	v_lshl_add_u64 v[6:7], s[4:5], 0, v[8:9]
	v_lshl_add_u64 v[8:9], s[6:7], 0, v[8:9]
	global_load_dword v32, v[24:25], off
	v_lshl_add_u64 v[24:25], s[4:5], 0, v[22:23]
	v_lshl_add_u64 v[22:23], s[6:7], 0, v[22:23]
	v_add_u32_e32 v0, s3, v0
	global_load_dword v9, v[8:9], off
	s_lshl_b32 s12, s3, 1
	global_load_dword v8, v[22:23], off
	v_lshlrev_b64 v[22:23], 2, v[0:1]
	global_load_dword v7, v[6:7], off
	v_add_u32_e32 v0, s11, v0
	global_load_dword v6, v[24:25], off
	v_lshl_add_u64 v[24:25], s[4:5], 0, v[22:23]
	v_lshl_add_u64 v[22:23], s[6:7], 0, v[22:23]
	global_load_dword v24, v[24:25], off
	s_lshl_b32 s14, s3, 3
	global_load_dword v22, v[22:23], off
	s_waitcnt vmcnt(24)
	v_pk_add_f32 v[10:11], v[10:11], v[12:13] neg_lo:[0,1] neg_hi:[0,1]
	s_nop 0
	v_pk_add_f32 v[10:11], v[10:11], v[10:11] op_sel:[0,1] op_sel_hi:[1,0]
	s_waitcnt vmcnt(20)
	v_sub_f32_e32 v14, v2, v4
	s_waitcnt vmcnt(19)
	v_mov_b32_e32 v11, v26
	s_waitcnt vmcnt(17)
	v_pk_add_f32 v[10:11], v[10:11], v[14:15] neg_lo:[0,1] neg_hi:[0,1]
	s_nop 0
	v_pk_add_f32 v[12:13], v[10:11], v[10:11] op_sel:[0,1] op_sel_hi:[1,0] neg_lo:[0,1] neg_hi:[0,1]
	s_waitcnt vmcnt(16)
	v_sub_f32_e32 v16, v27, v28
	v_pk_add_f32 v[10:11], v[12:13], v[10:11] op_sel:[0,1] op_sel_hi:[1,0] neg_lo:[0,1] neg_hi:[0,1]
	s_waitcnt vmcnt(14)
	v_sub_f32_e32 v2, v29, v30
	s_waitcnt vmcnt(13)
	v_mov_b32_e32 v11, v31
	s_waitcnt vmcnt(12)
	v_pk_add_f32 v[10:11], v[10:11], v[16:17] neg_lo:[0,1] neg_hi:[0,1]
	s_nop 0
	v_add_f32_e32 v2, v10, v2
	v_sub_f32_e32 v2, v2, v11
	v_sub_f32_e32 v2, v2, v11
	s_waitcnt vmcnt(8)
	v_pk_add_f32 v[10:11], v[20:21], v[18:19] neg_lo:[0,1] neg_hi:[0,1]
	s_nop 0
	v_add_f32_e32 v2, v2, v10
	v_add_f32_e32 v2, v10, v2
	;; [unrolled: 1-line block ×3, first 2 shown]
	s_waitcnt vmcnt(6)
	v_sub_f32_e32 v4, v32, v33
	v_pk_add_f32 v[2:3], v[2:3], v[4:5] neg_lo:[0,1] neg_hi:[0,1]
	s_waitcnt vmcnt(2)
	v_pk_add_f32 v[4:5], v[6:7], v[8:9] neg_lo:[0,1] neg_hi:[0,1]
	s_nop 0
	v_pk_add_f32 v[2:3], v[2:3], v[4:5]
	s_waitcnt vmcnt(0)
	v_sub_f32_e32 v4, v24, v22
	v_add_f32_e32 v2, v2, v4
	v_lshlrev_b64 v[4:5], 2, v[0:1]
	v_lshl_add_u64 v[6:7], s[4:5], 0, v[4:5]
	v_lshl_add_u64 v[4:5], s[6:7], 0, v[4:5]
	v_add_u32_e32 v0, s10, v0
	global_load_dword v35, v[4:5], off
	v_lshlrev_b64 v[4:5], 2, v[0:1]
	global_load_dword v34, v[6:7], off
	v_lshl_add_u64 v[6:7], s[4:5], 0, v[4:5]
	v_add_u32_e32 v0, s12, v0
	v_sub_f32_e32 v2, v2, v3
	global_load_dword v3, v[6:7], off
	v_lshlrev_b64 v[6:7], 2, v[0:1]
	v_lshl_add_u64 v[8:9], s[4:5], 0, v[6:7]
	v_lshl_add_u64 v[6:7], s[6:7], 0, v[6:7]
	v_add_u32_e32 v0, s14, v0
	global_load_dword v37, v[6:7], off
	v_lshlrev_b64 v[6:7], 2, v[0:1]
	global_load_dword v36, v[8:9], off
	v_lshl_add_u64 v[8:9], s[4:5], 0, v[6:7]
	v_add_u32_e32 v0, s12, v0
	global_load_dword v38, v[8:9], off
	v_lshlrev_b64 v[8:9], 2, v[0:1]
	v_lshl_add_u64 v[10:11], s[4:5], 0, v[8:9]
	v_lshl_add_u64 v[8:9], s[6:7], 0, v[8:9]
	v_add_u32_e32 v0, s2, v0
	global_load_dword v40, v[8:9], off
	v_lshlrev_b64 v[8:9], 2, v[0:1]
	global_load_dword v39, v[10:11], off
	v_lshl_add_u64 v[10:11], s[4:5], 0, v[8:9]
	v_lshl_add_u64 v[8:9], s[6:7], 0, v[8:9]
	v_add_u32_e32 v0, s12, v0
	global_load_dword v42, v[8:9], off
	v_lshlrev_b64 v[8:9], 2, v[0:1]
	global_load_dword v41, v[10:11], off
	v_lshl_add_u64 v[10:11], s[4:5], 0, v[8:9]
	v_add_u32_e32 v0, s3, v0
	global_load_dword v43, v[10:11], off
	v_lshlrev_b64 v[10:11], 2, v[0:1]
	v_lshl_add_u64 v[4:5], s[6:7], 0, v[4:5]
	v_lshl_add_u64 v[12:13], s[4:5], 0, v[10:11]
	v_add_u32_e32 v0, s3, v0
	global_load_dword v5, v[4:5], off
	v_lshl_add_u64 v[10:11], s[6:7], 0, v[10:11]
	global_load_dword v44, v[12:13], off
	v_lshlrev_b64 v[12:13], 2, v[0:1]
	v_add_u32_e32 v0, s14, v0
	v_lshlrev_b64 v[14:15], 2, v[0:1]
	v_lshl_add_u64 v[6:7], s[6:7], 0, v[6:7]
	global_load_dword v45, v[10:11], off
	v_lshl_add_u64 v[10:11], s[4:5], 0, v[12:13]
	v_lshl_add_u64 v[12:13], s[6:7], 0, v[12:13]
	;; [unrolled: 1-line block ×4, first 2 shown]
	v_add_u32_e32 v0, s12, v0
	global_load_dword v7, v[6:7], off
	v_lshl_add_u64 v[8:9], s[6:7], 0, v[8:9]
	global_load_dword v13, v[12:13], off
	s_waitcnt vmcnt(14)
	v_sub_f32_e32 v4, v34, v35
	global_load_dword v47, v[14:15], off
	v_lshlrev_b64 v[14:15], 2, v[0:1]
	global_load_dword v46, v[16:17], off
	v_lshl_add_u64 v[16:17], s[4:5], 0, v[14:15]
	v_lshl_add_u64 v[14:15], s[6:7], 0, v[14:15]
	v_add_u32_e32 v0, s14, v0
	global_load_dword v49, v[14:15], off
	v_lshlrev_b64 v[14:15], 2, v[0:1]
	global_load_dword v9, v[8:9], off
	v_add_u32_e32 v0, s3, v0
	global_load_dword v48, v[16:17], off
	v_lshl_add_u64 v[16:17], s[4:5], 0, v[14:15]
	global_load_dword v50, v[16:17], off
	v_lshlrev_b64 v[16:17], 2, v[0:1]
	v_lshl_add_u64 v[18:19], s[4:5], 0, v[16:17]
	v_lshl_add_u64 v[16:17], s[6:7], 0, v[16:17]
	v_add_u32_e32 v0, s2, v0
	global_load_dword v11, v[10:11], off
	v_lshl_add_u64 v[14:15], s[6:7], 0, v[14:15]
	global_load_dword v52, v[16:17], off
	v_lshlrev_b64 v[16:17], 2, v[0:1]
	v_add_u32_e32 v0, s3, v0
	v_lshlrev_b64 v[20:21], 2, v[0:1]
	v_lshl_add_u64 v[22:23], s[4:5], 0, v[20:21]
	v_lshl_add_u64 v[20:21], s[6:7], 0, v[20:21]
	v_add_u32_e32 v0, s12, v0
	global_load_dword v15, v[14:15], off
	s_waitcnt vmcnt(20)
	v_sub_f32_e32 v6, v36, v37
	global_load_dword v54, v[20:21], off
	v_lshlrev_b64 v[20:21], 2, v[0:1]
	global_load_dword v53, v[22:23], off
	v_lshl_add_u64 v[22:23], s[4:5], 0, v[20:21]
	v_lshl_add_u64 v[20:21], s[6:7], 0, v[20:21]
	v_add_u32_e32 v0, s12, v0
	global_load_dword v51, v[18:19], off
	v_lshl_add_u64 v[18:19], s[4:5], 0, v[16:17]
	v_lshl_add_u64 v[16:17], s[6:7], 0, v[16:17]
	global_load_dword v56, v[20:21], off
	v_lshlrev_b64 v[20:21], 2, v[0:1]
	global_load_dword v19, v[18:19], off
	s_waitcnt vmcnt(18)
	v_pk_add_f32 v[2:3], v[2:3], v[4:5] neg_lo:[0,1] neg_hi:[0,1]
	global_load_dword v17, v[16:17], off
	v_pk_add_f32 v[2:3], v[2:3], v[2:3] op_sel:[0,1] op_sel_hi:[1,0]
	global_load_dword v55, v[22:23], off
	v_lshl_add_u64 v[22:23], s[4:5], 0, v[20:21]
	global_load_dword v57, v[22:23], off
	v_mad_u64_u32 v[22:23], s[16:17], s3, 12, v[0:1]
	v_lshl_add_u64 v[20:21], s[6:7], 0, v[20:21]
	v_mov_b32_e32 v23, v1
	v_add_u32_e32 v0, s12, v22
	global_load_dword v21, v[20:21], off
	v_lshlrev_b64 v[24:25], 2, v[22:23]
	v_lshlrev_b64 v[22:23], 2, v[0:1]
	v_lshl_add_u64 v[26:27], s[4:5], 0, v[24:25]
	v_lshl_add_u64 v[24:25], s[6:7], 0, v[24:25]
	;; [unrolled: 1-line block ×4, first 2 shown]
	global_load_dword v26, v[26:27], off
	v_add_u32_e32 v0, s3, v0
	global_load_dword v24, v[24:25], off
	v_mov_b32_e32 v3, v38
	global_load_dword v27, v[28:29], off
	global_load_dword v25, v[22:23], off
	v_lshlrev_b64 v[22:23], 2, v[0:1]
	v_lshl_add_u64 v[28:29], s[4:5], 0, v[22:23]
	v_lshl_add_u64 v[22:23], s[6:7], 0, v[22:23]
	v_add_u32_e32 v0, s10, v0
	global_load_dword v59, v[22:23], off
	v_lshlrev_b64 v[22:23], 2, v[0:1]
	global_load_dword v58, v[28:29], off
	v_lshl_add_u64 v[28:29], s[4:5], 0, v[22:23]
	v_lshl_add_u64 v[22:23], s[6:7], 0, v[22:23]
	global_load_dword v29, v[28:29], off
	v_add_u32_e32 v0, s3, v0
	global_load_dword v23, v[22:23], off
	v_lshlrev_b64 v[30:31], 2, v[0:1]
	v_lshl_add_u64 v[32:33], s[4:5], 0, v[30:31]
	v_lshl_add_u64 v[30:31], s[6:7], 0, v[30:31]
	global_load_dword v32, v[32:33], off
	s_waitcnt vmcnt(28)
	v_pk_add_f32 v[2:3], v[2:3], v[6:7] neg_lo:[0,1] neg_hi:[0,1]
	global_load_dword v30, v[30:31], off
	v_pk_add_f32 v[2:3], v[2:3], v[2:3] op_sel:[0,1] op_sel_hi:[1,0]
	v_sub_f32_e32 v8, v39, v40
	v_mov_b32_e32 v3, v43
	v_sub_f32_e32 v4, v41, v42
	v_sub_f32_e32 v12, v44, v45
	s_waitcnt vmcnt(26)
	v_sub_f32_e32 v14, v46, v47
	s_waitcnt vmcnt(24)
	v_pk_add_f32 v[2:3], v[2:3], v[8:9] neg_lo:[0,1] neg_hi:[0,1]
	v_add_u32_e32 v0, s2, v0
	v_add_f32_e32 v2, v2, v4
	v_sub_f32_e32 v10, v2, v3
	s_waitcnt vmcnt(23)
	v_sub_f32_e32 v4, v48, v49
	v_lshlrev_b64 v[6:7], 2, v[0:1]
	v_lshl_add_u64 v[8:9], s[4:5], 0, v[6:7]
	v_lshl_add_u64 v[6:7], s[6:7], 0, v[6:7]
	v_add_u32_e32 v0, s14, v0
	s_waitcnt vmcnt(21)
	v_pk_add_f32 v[2:3], v[10:11], v[12:13] neg_lo:[0,1] neg_hi:[0,1]
	global_load_dword v36, v[8:9], off
	v_pk_add_f32 v[2:3], v[2:3], v[2:3] op_sel:[0,1] op_sel_hi:[1,0]
	s_waitcnt vmcnt(18)
	v_sub_f32_e32 v20, v53, v54
	v_mov_b32_e32 v3, v50
	v_pk_add_f32 v[2:3], v[2:3], v[14:15] neg_lo:[0,1] neg_hi:[0,1]
	s_waitcnt vmcnt(17)
	v_sub_f32_e32 v16, v51, v52
	v_add_f32_e32 v2, v2, v4
	v_add_f32_e32 v18, v2, v3
	s_waitcnt vmcnt(14)
	v_pk_add_f32 v[2:3], v[18:19], v[16:17] neg_lo:[0,1] neg_hi:[0,1]
	s_nop 0
	v_pk_add_f32 v[2:3], v[2:3], v[2:3] op_sel:[0,1] op_sel_hi:[1,0] neg_lo:[0,1] neg_hi:[0,1]
	s_waitcnt vmcnt(13)
	v_sub_f32_e32 v4, v55, v56
	s_waitcnt vmcnt(12)
	v_mov_b32_e32 v3, v57
	s_waitcnt vmcnt(11)
	v_pk_add_f32 v[2:3], v[2:3], v[20:21] neg_lo:[0,1] neg_hi:[0,1]
	s_nop 0
	v_add_f32_e32 v2, v2, v4
	v_add_f32_e32 v4, v2, v3
	s_waitcnt vmcnt(7)
	v_pk_add_f32 v[2:3], v[26:27], v[24:25] neg_lo:[0,1] neg_hi:[0,1]
	s_nop 0
	v_add_f32_e32 v2, v4, v2
	v_add_f32_e32 v28, v2, v3
	global_load_dword v3, v[6:7], off
	v_lshlrev_b64 v[6:7], 2, v[0:1]
	v_lshl_add_u64 v[8:9], s[4:5], 0, v[6:7]
	v_lshl_add_u64 v[6:7], s[6:7], 0, v[6:7]
	v_add_u32_e32 v0, s3, v0
	global_load_dword v38, v[6:7], off
	v_lshlrev_b64 v[6:7], 2, v[0:1]
	global_load_dword v37, v[8:9], off
	v_lshl_add_u64 v[8:9], s[4:5], 0, v[6:7]
	v_add_u32_e32 v0, s13, v0
	global_load_dword v39, v[8:9], off
	v_lshlrev_b64 v[8:9], 2, v[0:1]
	v_lshl_add_u64 v[10:11], s[4:5], 0, v[8:9]
	v_lshl_add_u64 v[8:9], s[6:7], 0, v[8:9]
	v_add_u32_e32 v0, s13, v0
	global_load_dword v41, v[8:9], off
	v_lshlrev_b64 v[8:9], 2, v[0:1]
	global_load_dword v40, v[10:11], off
	v_lshl_add_u64 v[10:11], s[4:5], 0, v[8:9]
	v_lshl_add_u64 v[8:9], s[6:7], 0, v[8:9]
	v_add_u32_e32 v0, s12, v0
	global_load_dword v43, v[8:9], off
	v_lshlrev_b64 v[8:9], 2, v[0:1]
	global_load_dword v42, v[10:11], off
	v_lshl_add_u64 v[10:11], s[4:5], 0, v[8:9]
	v_add_u32_e32 v0, s2, v0
	global_load_dword v44, v[10:11], off
	v_lshlrev_b64 v[10:11], 2, v[0:1]
	v_lshl_add_u64 v[12:13], s[4:5], 0, v[10:11]
	v_lshl_add_u64 v[10:11], s[6:7], 0, v[10:11]
	v_add_u32_e32 v0, s11, v0
	global_load_dword v46, v[10:11], off
	v_lshlrev_b64 v[10:11], 2, v[0:1]
	global_load_dword v45, v[12:13], off
	v_lshl_add_u64 v[12:13], s[4:5], 0, v[10:11]
	v_lshl_add_u64 v[10:11], s[6:7], 0, v[10:11]
	global_load_dword v48, v[10:11], off
	v_mad_u64_u32 v[10:11], s[14:15], s3, 10, v[0:1]
	v_mov_b32_e32 v11, v1
	global_load_dword v47, v[12:13], off
	v_lshlrev_b64 v[12:13], 2, v[10:11]
	v_lshl_add_u64 v[14:15], s[4:5], 0, v[12:13]
	v_add_u32_e32 v0, s3, v10
	v_lshl_add_u64 v[6:7], s[6:7], 0, v[6:7]
	global_load_dword v11, v[14:15], off
	v_lshlrev_b64 v[14:15], 2, v[0:1]
	global_load_dword v7, v[6:7], off
	v_lshl_add_u64 v[16:17], s[4:5], 0, v[14:15]
	v_lshl_add_u64 v[14:15], s[6:7], 0, v[14:15]
	v_add_u32_e32 v0, s12, v0
	global_load_dword v50, v[14:15], off
	v_lshlrev_b64 v[14:15], 2, v[0:1]
	v_lshl_add_u64 v[8:9], s[6:7], 0, v[8:9]
	global_load_dword v49, v[16:17], off
	v_lshl_add_u64 v[16:17], s[4:5], 0, v[14:15]
	v_add_u32_e32 v0, s11, v0
	global_load_dword v9, v[8:9], off
	s_waitcnt vmcnt(23)
	v_sub_f32_e32 v22, v58, v59
	global_load_dword v51, v[16:17], off
	v_lshlrev_b64 v[16:17], 2, v[0:1]
	v_add_u32_e32 v0, s10, v0
	v_lshl_add_u64 v[14:15], s[6:7], 0, v[14:15]
	v_lshlrev_b64 v[18:19], 2, v[0:1]
	v_add_u32_e32 v0, s12, v0
	s_waitcnt vmcnt(22)
	v_pk_add_f32 v[4:5], v[28:29], v[22:23] neg_lo:[0,1] neg_hi:[0,1]
	v_lshl_add_u64 v[12:13], s[6:7], 0, v[12:13]
	global_load_dword v52, v[14:15], off
	v_lshl_add_u64 v[14:15], s[4:5], 0, v[16:17]
	v_lshl_add_u64 v[16:17], s[6:7], 0, v[16:17]
	;; [unrolled: 1-line block ×4, first 2 shown]
	v_mad_u64_u32 v[22:23], s[14:15], s3, 14, v[0:1]
	global_load_dword v13, v[12:13], off
	v_mov_b32_e32 v23, v1
	global_load_dword v17, v[16:17], off
	v_lshlrev_b64 v[24:25], 2, v[22:23]
	global_load_dword v54, v[18:19], off
	v_lshlrev_b64 v[18:19], 2, v[0:1]
	v_add_u32_e32 v0, s11, v22
	v_lshlrev_b64 v[22:23], 2, v[0:1]
	v_lshl_add_u64 v[26:27], s[4:5], 0, v[24:25]
	v_lshl_add_u64 v[24:25], s[6:7], 0, v[24:25]
	;; [unrolled: 1-line block ×4, first 2 shown]
	v_add_u32_e32 v0, s3, v0
	global_load_dword v15, v[14:15], off
	s_waitcnt vmcnt(25)
	v_sub_f32_e32 v2, v32, v30
	global_load_dword v24, v[24:25], off
	v_pk_add_f32 v[4:5], v[4:5], v[4:5] op_sel:[0,1] op_sel_hi:[1,0]
	global_load_dword v25, v[22:23], off
	v_lshlrev_b64 v[22:23], 2, v[0:1]
	global_load_dword v26, v[26:27], off
	v_add_u32_e32 v0, s2, v0
	global_load_dword v27, v[28:29], off
	v_lshl_add_u64 v[28:29], s[4:5], 0, v[22:23]
	v_lshl_add_u64 v[22:23], s[6:7], 0, v[22:23]
	global_load_dword v53, v[20:21], off
	v_lshl_add_u64 v[20:21], s[4:5], 0, v[18:19]
	v_lshl_add_u64 v[18:19], s[6:7], 0, v[18:19]
	global_load_dword v56, v[22:23], off
	v_lshlrev_b64 v[22:23], 2, v[0:1]
	global_load_dword v21, v[20:21], off
	s_waitcnt vmcnt(31)
	v_mov_b32_e32 v5, v36
	global_load_dword v19, v[18:19], off
	s_waitcnt vmcnt(31)
	v_pk_add_f32 v[2:3], v[4:5], v[2:3] neg_lo:[0,1] neg_hi:[0,1]
	global_load_dword v55, v[28:29], off
	v_lshl_add_u64 v[28:29], s[4:5], 0, v[22:23]
	global_load_dword v57, v[28:29], off
	v_mad_u64_u32 v[28:29], s[10:11], s3, 7, v[0:1]
	v_mov_b32_e32 v29, v1
	v_add_u32_e32 v0, s3, v28
	v_lshlrev_b64 v[30:31], 2, v[28:29]
	v_lshlrev_b64 v[28:29], 2, v[0:1]
	v_lshl_add_u64 v[22:23], s[6:7], 0, v[22:23]
	v_lshl_add_u64 v[32:33], s[4:5], 0, v[30:31]
	;; [unrolled: 1-line block ×5, first 2 shown]
	v_add_u32_e32 v0, s2, v0
	global_load_dword v23, v[22:23], off
	v_pk_add_f32 v[2:3], v[2:3], v[2:3] op_sel:[0,1] op_sel_hi:[1,0]
	global_load_dword v30, v[30:31], off
	s_waitcnt vmcnt(33)
	v_sub_f32_e32 v6, v37, v38
	global_load_dword v31, v[28:29], off
	v_lshlrev_b64 v[28:29], 2, v[0:1]
	global_load_dword v32, v[32:33], off
	v_add_u32_e32 v0, s12, v0
	global_load_dword v33, v[34:35], off
	v_lshl_add_u64 v[34:35], s[4:5], 0, v[28:29]
	v_lshl_add_u64 v[28:29], s[6:7], 0, v[28:29]
	global_load_dword v59, v[28:29], off
	v_lshlrev_b64 v[28:29], 2, v[0:1]
	global_load_dword v58, v[34:35], off
	v_lshl_add_u64 v[34:35], s[4:5], 0, v[28:29]
	global_load_dword v34, v[34:35], off
	v_lshl_add_u64 v[28:29], s[6:7], 0, v[28:29]
	global_load_dword v29, v[28:29], off
	s_waitcnt vmcnt(39)
	v_mov_b32_e32 v3, v39
	s_waitcnt vmcnt(28)
	v_pk_add_f32 v[2:3], v[2:3], v[6:7] neg_lo:[0,1] neg_hi:[0,1]
	v_sub_f32_e32 v8, v40, v41
	v_pk_add_f32 v[2:3], v[2:3], v[2:3] op_sel:[0,1] op_sel_hi:[1,0] neg_lo:[0,1] neg_hi:[0,1]
	v_sub_f32_e32 v4, v42, v43
	v_mov_b32_e32 v3, v44
	s_waitcnt vmcnt(25)
	v_pk_add_f32 v[2:3], v[2:3], v[8:9] neg_lo:[0,1] neg_hi:[0,1]
	v_sub_f32_e32 v12, v45, v46
	v_add_f32_e32 v2, v2, v4
	v_sub_f32_e32 v10, v2, v3
	v_sub_f32_e32 v4, v47, v48
	;; [unrolled: 1-line block ×3, first 2 shown]
	s_load_dword s2, s[0:1], 0x18
	s_load_dwordx2 s[4:5], s[0:1], 0x20
	s_mulk_i32 s3, 0xff39
	s_waitcnt vmcnt(22)
	v_pk_add_f32 v[2:3], v[10:11], v[12:13] neg_lo:[0,1] neg_hi:[0,1]
	v_add_u32_e32 v0, s3, v0
	v_add_f32_e32 v2, v2, v4
	v_add_f32_e32 v14, v2, v3
	v_sub_f32_e32 v4, v51, v52
	s_waitcnt lgkmcnt(0)
	s_load_dword s0, s[4:5], 0x10
	v_lshl_add_u64 v[0:1], v[0:1], 2, s[8:9]
	s_waitcnt vmcnt(19)
	v_pk_add_f32 v[2:3], v[14:15], v[16:17] neg_lo:[0,1] neg_hi:[0,1]
	s_nop 0
	v_add_f32_e32 v2, v2, v4
	v_add_f32_e32 v20, v2, v3
	s_waitcnt vmcnt(15)
	v_pk_add_f32 v[4:5], v[26:27], v[24:25] neg_lo:[0,1] neg_hi:[0,1]
	s_waitcnt vmcnt(14)
	v_sub_f32_e32 v18, v53, v54
	s_waitcnt vmcnt(11)
	v_pk_add_f32 v[2:3], v[20:21], v[18:19] neg_lo:[0,1] neg_hi:[0,1]
	s_nop 0
	v_pk_add_f32 v[2:3], v[2:3], v[2:3] op_sel:[0,1] op_sel_hi:[1,0]
	s_waitcnt vmcnt(10)
	v_sub_f32_e32 v22, v55, v56
	v_pk_add_f32 v[2:3], v[2:3], v[4:5]
	s_waitcnt vmcnt(2)
	v_sub_f32_e32 v28, v58, v59
	v_pk_add_f32 v[2:3], v[2:3], v[4:5] op_sel:[0,1] op_sel_hi:[1,0]
	v_pk_add_f32 v[4:5], v[32:33], v[30:31] neg_lo:[0,1] neg_hi:[0,1]
	v_mov_b32_e32 v3, v57
	v_pk_add_f32 v[2:3], v[2:3], v[22:23] neg_lo:[0,1] neg_hi:[0,1]
	s_nop 0
	v_pk_add_f32 v[2:3], v[2:3], v[2:3] op_sel:[0,1] op_sel_hi:[1,0]
	s_nop 0
	v_pk_add_f32 v[2:3], v[2:3], v[4:5]
	s_nop 0
	v_pk_add_f32 v[2:3], v[2:3], v[4:5] op_sel:[0,1] op_sel_hi:[1,0] neg_lo:[0,1] neg_hi:[0,1]
	s_waitcnt vmcnt(1)
	v_mov_b32_e32 v3, v34
	s_waitcnt vmcnt(0)
	v_pk_add_f32 v[2:3], v[2:3], v[28:29] neg_lo:[0,1] neg_hi:[0,1]
	s_nop 0
	v_add_f32_e32 v2, v2, v3
	v_mul_f32_e32 v2, s2, v2
	s_waitcnt lgkmcnt(0)
	v_mul_f32_e32 v2, s0, v2
	global_store_dword v[0:1], v2, off
	s_endpgm
	.section	.rodata,"a",@progbits
	.p2align	6, 0x0
	.amdhsa_kernel _Z14rdwdot9_kernelIfEvPKT_S2_PS0_S0_S2_
		.amdhsa_group_segment_fixed_size 0
		.amdhsa_private_segment_fixed_size 0
		.amdhsa_kernarg_size 296
		.amdhsa_user_sgpr_count 2
		.amdhsa_user_sgpr_dispatch_ptr 0
		.amdhsa_user_sgpr_queue_ptr 0
		.amdhsa_user_sgpr_kernarg_segment_ptr 1
		.amdhsa_user_sgpr_dispatch_id 0
		.amdhsa_user_sgpr_kernarg_preload_length 0
		.amdhsa_user_sgpr_kernarg_preload_offset 0
		.amdhsa_user_sgpr_private_segment_size 0
		.amdhsa_uses_dynamic_stack 0
		.amdhsa_enable_private_segment 0
		.amdhsa_system_sgpr_workgroup_id_x 1
		.amdhsa_system_sgpr_workgroup_id_y 0
		.amdhsa_system_sgpr_workgroup_id_z 0
		.amdhsa_system_sgpr_workgroup_info 0
		.amdhsa_system_vgpr_workitem_id 0
		.amdhsa_next_free_vgpr 60
		.amdhsa_next_free_sgpr 18
		.amdhsa_accum_offset 60
		.amdhsa_reserve_vcc 0
		.amdhsa_float_round_mode_32 0
		.amdhsa_float_round_mode_16_64 0
		.amdhsa_float_denorm_mode_32 3
		.amdhsa_float_denorm_mode_16_64 3
		.amdhsa_dx10_clamp 1
		.amdhsa_ieee_mode 1
		.amdhsa_fp16_overflow 0
		.amdhsa_tg_split 0
		.amdhsa_exception_fp_ieee_invalid_op 0
		.amdhsa_exception_fp_denorm_src 0
		.amdhsa_exception_fp_ieee_div_zero 0
		.amdhsa_exception_fp_ieee_overflow 0
		.amdhsa_exception_fp_ieee_underflow 0
		.amdhsa_exception_fp_ieee_inexact 0
		.amdhsa_exception_int_div_zero 0
	.end_amdhsa_kernel
	.section	.text._Z14rdwdot9_kernelIfEvPKT_S2_PS0_S0_S2_,"axG",@progbits,_Z14rdwdot9_kernelIfEvPKT_S2_PS0_S0_S2_,comdat
.Lfunc_end25:
	.size	_Z14rdwdot9_kernelIfEvPKT_S2_PS0_S0_S2_, .Lfunc_end25-_Z14rdwdot9_kernelIfEvPKT_S2_PS0_S0_S2_
                                        ; -- End function
	.set _Z14rdwdot9_kernelIfEvPKT_S2_PS0_S0_S2_.num_vgpr, 60
	.set _Z14rdwdot9_kernelIfEvPKT_S2_PS0_S0_S2_.num_agpr, 0
	.set _Z14rdwdot9_kernelIfEvPKT_S2_PS0_S0_S2_.numbered_sgpr, 18
	.set _Z14rdwdot9_kernelIfEvPKT_S2_PS0_S0_S2_.num_named_barrier, 0
	.set _Z14rdwdot9_kernelIfEvPKT_S2_PS0_S0_S2_.private_seg_size, 0
	.set _Z14rdwdot9_kernelIfEvPKT_S2_PS0_S0_S2_.uses_vcc, 0
	.set _Z14rdwdot9_kernelIfEvPKT_S2_PS0_S0_S2_.uses_flat_scratch, 0
	.set _Z14rdwdot9_kernelIfEvPKT_S2_PS0_S0_S2_.has_dyn_sized_stack, 0
	.set _Z14rdwdot9_kernelIfEvPKT_S2_PS0_S0_S2_.has_recursion, 0
	.set _Z14rdwdot9_kernelIfEvPKT_S2_PS0_S0_S2_.has_indirect_call, 0
	.section	.AMDGPU.csdata,"",@progbits
; Kernel info:
; codeLenInByte = 3556
; TotalNumSgprs: 24
; NumVgprs: 60
; NumAgprs: 0
; TotalNumVgprs: 60
; ScratchSize: 0
; MemoryBound: 0
; FloatMode: 240
; IeeeMode: 1
; LDSByteSize: 0 bytes/workgroup (compile time only)
; SGPRBlocks: 2
; VGPRBlocks: 7
; NumSGPRsForWavesPerEU: 24
; NumVGPRsForWavesPerEU: 60
; AccumOffset: 60
; Occupancy: 8
; WaveLimiterHint : 0
; COMPUTE_PGM_RSRC2:SCRATCH_EN: 0
; COMPUTE_PGM_RSRC2:USER_SGPR: 2
; COMPUTE_PGM_RSRC2:TRAP_HANDLER: 0
; COMPUTE_PGM_RSRC2:TGID_X_EN: 1
; COMPUTE_PGM_RSRC2:TGID_Y_EN: 0
; COMPUTE_PGM_RSRC2:TGID_Z_EN: 0
; COMPUTE_PGM_RSRC2:TIDIG_COMP_CNT: 0
; COMPUTE_PGM_RSRC3_GFX90A:ACCUM_OFFSET: 14
; COMPUTE_PGM_RSRC3_GFX90A:TG_SPLIT: 0
	.section	.text._Z15rdwdot10_kernelIfEvPKT_S2_PS0_S0_S2_,"axG",@progbits,_Z15rdwdot10_kernelIfEvPKT_S2_PS0_S0_S2_,comdat
	.protected	_Z15rdwdot10_kernelIfEvPKT_S2_PS0_S0_S2_ ; -- Begin function _Z15rdwdot10_kernelIfEvPKT_S2_PS0_S0_S2_
	.globl	_Z15rdwdot10_kernelIfEvPKT_S2_PS0_S0_S2_
	.p2align	8
	.type	_Z15rdwdot10_kernelIfEvPKT_S2_PS0_S0_S2_,@function
_Z15rdwdot10_kernelIfEvPKT_S2_PS0_S0_S2_: ; @_Z15rdwdot10_kernelIfEvPKT_S2_PS0_S0_S2_
; %bb.0:
	s_load_dwordx4 s[4:7], s[0:1], 0x0
	s_load_dwordx2 s[8:9], s[0:1], 0x10
	s_load_dword s3, s[0:1], 0x18
	s_load_dwordx2 s[10:11], s[0:1], 0x20
	s_load_dword s12, s[0:1], 0x28
	s_load_dword s13, s[0:1], 0x34
	v_mov_b32_e32 v3, 0
	s_waitcnt lgkmcnt(0)
	s_and_b32 s0, s13, 0xffff
	s_mul_i32 s12, s12, s0
	s_mul_i32 s2, s2, s0
	;; [unrolled: 1-line block ×3, first 2 shown]
	v_add_u32_e32 v8, s2, v0
	v_add_u32_e32 v2, s1, v8
	v_lshlrev_b64 v[0:1], 2, v[2:3]
	v_lshl_add_u64 v[4:5], s[4:5], 0, v[0:1]
	v_lshl_add_u64 v[0:1], s[6:7], 0, v[0:1]
	global_load_dword v4, v[4:5], off
	v_add_u32_e32 v2, s12, v2
	global_load_dword v0, v[0:1], off
	s_mul_i32 s0, s12, 7
	s_lshl_b32 s2, s12, 2
	s_mul_i32 s13, s12, 0xffffffe9
	s_mul_i32 s14, s12, 15
	;; [unrolled: 1-line block ×4, first 2 shown]
	s_lshl_b32 s16, s12, 1
	s_mul_i32 s23, s12, 3
	s_lshl_b32 s18, s12, 3
	s_lshl_b32 s19, s12, 4
	s_mul_i32 s17, s12, 14
	s_waitcnt vmcnt(0)
	v_sub_f32_e32 v6, v4, v0
	v_lshlrev_b64 v[0:1], 2, v[2:3]
	v_lshl_add_u64 v[4:5], s[4:5], 0, v[0:1]
	v_lshl_add_u64 v[0:1], s[6:7], 0, v[0:1]
	global_load_dword v4, v[4:5], off
	v_add_u32_e32 v2, s12, v2
	global_load_dword v0, v[0:1], off
	s_waitcnt vmcnt(0)
	v_sub_f32_e32 v0, v4, v0
	v_add_f32_e32 v6, v6, v0
	v_lshlrev_b64 v[0:1], 2, v[2:3]
	v_lshl_add_u64 v[4:5], s[4:5], 0, v[0:1]
	v_lshl_add_u64 v[0:1], s[6:7], 0, v[0:1]
	global_load_dword v4, v[4:5], off
	v_add_u32_e32 v2, s12, v2
	global_load_dword v0, v[0:1], off
	s_waitcnt vmcnt(0)
	v_sub_f32_e32 v0, v4, v0
	v_add_f32_e32 v6, v6, v0
	;; [unrolled: 9-line block ×3, first 2 shown]
	v_lshlrev_b64 v[0:1], 2, v[2:3]
	v_lshl_add_u64 v[4:5], s[4:5], 0, v[0:1]
	v_lshl_add_u64 v[0:1], s[6:7], 0, v[0:1]
	global_load_dword v4, v[4:5], off
	v_add_u32_e32 v2, s12, v2
	global_load_dword v0, v[0:1], off
	s_waitcnt vmcnt(0)
	v_sub_f32_e32 v6, v4, v0
	v_lshlrev_b64 v[0:1], 2, v[2:3]
	v_lshl_add_u64 v[4:5], s[4:5], 0, v[0:1]
	v_lshl_add_u64 v[0:1], s[6:7], 0, v[0:1]
	global_load_dword v4, v[4:5], off
	v_add_u32_e32 v2, s2, v2
	global_load_dword v0, v[0:1], off
	s_waitcnt vmcnt(0)
	v_sub_f32_e32 v0, v4, v0
	v_add_f32_e32 v39, v6, v0
	v_lshlrev_b64 v[0:1], 2, v[2:3]
	v_lshl_add_u64 v[4:5], s[4:5], 0, v[0:1]
	v_lshl_add_u64 v[0:1], s[6:7], 0, v[0:1]
	global_load_dword v4, v[4:5], off
	v_add_u32_e32 v2, s12, v2
	global_load_dword v0, v[0:1], off
	s_waitcnt vmcnt(0)
	v_sub_f32_e32 v6, v4, v0
	v_lshlrev_b64 v[0:1], 2, v[2:3]
	v_lshl_add_u64 v[4:5], s[4:5], 0, v[0:1]
	v_lshl_add_u64 v[0:1], s[6:7], 0, v[0:1]
	global_load_dword v4, v[4:5], off
	v_add_u32_e32 v2, s13, v2
	global_load_dword v0, v[0:1], off
	s_mul_i32 s13, s12, 6
	s_waitcnt vmcnt(0)
	v_sub_f32_e32 v0, v4, v0
	v_add_f32_e32 v38, v6, v0
	v_lshlrev_b64 v[0:1], 2, v[2:3]
	v_lshl_add_u64 v[4:5], s[4:5], 0, v[0:1]
	v_lshl_add_u64 v[0:1], s[6:7], 0, v[0:1]
	global_load_dword v4, v[4:5], off
	v_add_u32_e32 v2, s12, v2
	global_load_dword v0, v[0:1], off
	s_waitcnt vmcnt(0)
	v_sub_f32_e32 v6, v4, v0
	v_lshlrev_b64 v[0:1], 2, v[2:3]
	v_lshl_add_u64 v[4:5], s[4:5], 0, v[0:1]
	global_load_dword v7, v[4:5], off
	v_lshl_add_u64 v[4:5], s[6:7], 0, v[0:1]
	global_load_dword v4, v[4:5], off
	v_add_u32_e32 v2, s12, v2
	v_lshl_add_u64 v[0:1], s[8:9], 0, v[0:1]
	s_waitcnt vmcnt(0)
	v_sub_f32_e32 v4, v7, v4
	v_add_f32_e32 v9, v6, v4
	v_lshlrev_b64 v[4:5], 2, v[2:3]
	v_lshl_add_u64 v[6:7], s[4:5], 0, v[4:5]
	v_lshl_add_u64 v[4:5], s[6:7], 0, v[4:5]
	global_load_dword v6, v[6:7], off
	v_add_u32_e32 v2, s12, v2
	global_load_dword v4, v[4:5], off
	s_waitcnt vmcnt(0)
	v_sub_f32_e32 v4, v6, v4
	v_add_f32_e32 v9, v9, v4
	v_lshlrev_b64 v[4:5], 2, v[2:3]
	v_lshl_add_u64 v[6:7], s[4:5], 0, v[4:5]
	v_lshl_add_u64 v[4:5], s[6:7], 0, v[4:5]
	global_load_dword v2, v[6:7], off
	s_nop 0
	global_load_dword v4, v[4:5], off
	s_waitcnt vmcnt(0)
	v_sub_f32_e32 v2, v2, v4
	v_add_f32_e32 v9, v9, v2
	v_add_u32_e32 v2, s12, v8
	v_lshlrev_b64 v[4:5], 2, v[2:3]
	v_lshl_add_u64 v[6:7], s[4:5], 0, v[4:5]
	v_lshl_add_u64 v[4:5], s[6:7], 0, v[4:5]
	global_load_dword v6, v[6:7], off
	v_add_u32_e32 v2, s12, v2
	global_load_dword v4, v[4:5], off
	v_lshlrev_b64 v[16:17], 2, v[2:3]
	v_add_u32_e32 v2, s14, v2
	s_waitcnt vmcnt(0)
	v_sub_f32_e32 v10, v6, v4
	v_lshl_add_u64 v[4:5], s[4:5], 0, v[16:17]
	v_lshl_add_u64 v[6:7], s[6:7], 0, v[16:17]
	global_load_dword v11, v[4:5], off
	global_load_dword v12, v[6:7], off
	v_lshl_add_u64 v[16:17], s[8:9], 0, v[16:17]
	s_waitcnt vmcnt(0)
	v_sub_f32_e32 v11, v11, v12
	v_lshlrev_b64 v[12:13], 2, v[2:3]
	v_sub_f32_e64 v11, -v10, v11
	v_lshl_add_u64 v[14:15], s[4:5], 0, v[12:13]
	v_lshl_add_u64 v[12:13], s[6:7], 0, v[12:13]
	v_add_f32_e32 v9, v9, v11
	global_load_dword v11, v[14:15], off
	v_add_u32_e32 v2, s13, v2
	global_load_dword v12, v[12:13], off
	s_waitcnt vmcnt(0)
	v_sub_f32_e32 v19, v11, v12
	v_lshlrev_b64 v[12:13], 2, v[2:3]
	v_lshl_add_u64 v[14:15], s[4:5], 0, v[12:13]
	v_lshl_add_u64 v[12:13], s[6:7], 0, v[12:13]
	global_load_dword v11, v[14:15], off
	v_add_u32_e32 v2, s0, v2
	global_load_dword v12, v[12:13], off
	v_add_f32_e32 v9, v9, v19
	s_waitcnt vmcnt(0)
	v_sub_f32_e32 v11, v11, v12
	v_lshlrev_b64 v[12:13], 2, v[2:3]
	v_lshl_add_u64 v[14:15], s[4:5], 0, v[12:13]
	v_lshl_add_u64 v[12:13], s[6:7], 0, v[12:13]
	v_add_f32_e32 v9, v9, v11
	global_load_dword v11, v[14:15], off
	v_add_u32_e32 v2, s22, v2
	global_load_dword v12, v[12:13], off
	s_waitcnt vmcnt(0)
	v_sub_f32_e32 v11, v11, v12
	v_lshlrev_b64 v[12:13], 2, v[2:3]
	v_lshl_add_u64 v[14:15], s[4:5], 0, v[12:13]
	v_lshl_add_u64 v[12:13], s[6:7], 0, v[12:13]
	v_sub_f32_e32 v9, v9, v11
	global_load_dword v11, v[14:15], off
	v_add_u32_e32 v2, s13, v2
	global_load_dword v12, v[12:13], off
	s_waitcnt vmcnt(0)
	v_sub_f32_e32 v11, v11, v12
	v_lshlrev_b64 v[12:13], 2, v[2:3]
	v_lshl_add_u64 v[14:15], s[4:5], 0, v[12:13]
	v_lshl_add_u64 v[12:13], s[6:7], 0, v[12:13]
	v_sub_f32_e32 v9, v9, v11
	global_load_dword v11, v[14:15], off
	v_add_u32_e32 v2, s0, v2
	global_load_dword v12, v[12:13], off
	s_waitcnt vmcnt(0)
	v_sub_f32_e32 v11, v11, v12
	v_lshlrev_b64 v[12:13], 2, v[2:3]
	v_lshl_add_u64 v[14:15], s[4:5], 0, v[12:13]
	v_lshl_add_u64 v[12:13], s[6:7], 0, v[12:13]
	v_add_f32_e32 v9, v9, v11
	global_load_dword v11, v[14:15], off
	v_add_u32_e32 v2, s15, v2
	global_load_dword v12, v[12:13], off
	s_waitcnt vmcnt(0)
	v_sub_f32_e32 v11, v11, v12
	v_lshlrev_b64 v[12:13], 2, v[2:3]
	v_lshl_add_u64 v[14:15], s[4:5], 0, v[12:13]
	v_lshl_add_u64 v[12:13], s[6:7], 0, v[12:13]
	v_sub_f32_e32 v9, v9, v11
	global_load_dword v11, v[14:15], off
	v_add_u32_e32 v2, s16, v2
	global_load_dword v12, v[12:13], off
	s_waitcnt vmcnt(0)
	v_sub_f32_e32 v11, v11, v12
	v_lshlrev_b64 v[12:13], 2, v[2:3]
	v_lshl_add_u64 v[14:15], s[4:5], 0, v[12:13]
	v_lshl_add_u64 v[12:13], s[6:7], 0, v[12:13]
	v_add_f32_e32 v9, v9, v11
	global_load_dword v11, v[14:15], off
	v_add_u32_e32 v2, s12, v2
	global_load_dword v12, v[12:13], off
	s_waitcnt vmcnt(0)
	v_sub_f32_e32 v11, v11, v12
	v_lshlrev_b64 v[12:13], 2, v[2:3]
	v_lshl_add_u64 v[14:15], s[4:5], 0, v[12:13]
	v_lshl_add_u64 v[12:13], s[6:7], 0, v[12:13]
	v_add_f32_e32 v9, v9, v11
	global_load_dword v11, v[14:15], off
	v_add_u32_e32 v2, s23, v2
	global_load_dword v12, v[12:13], off
	s_waitcnt vmcnt(0)
	v_sub_f32_e32 v28, v11, v12
	v_lshlrev_b64 v[12:13], 2, v[2:3]
	v_lshl_add_u64 v[14:15], s[4:5], 0, v[12:13]
	v_lshl_add_u64 v[12:13], s[6:7], 0, v[12:13]
	global_load_dword v11, v[14:15], off
	v_add_u32_e32 v2, s18, v2
	global_load_dword v12, v[12:13], off
	v_add_f32_e32 v9, v9, v28
	s_waitcnt vmcnt(0)
	v_sub_f32_e32 v11, v11, v12
	v_lshlrev_b64 v[12:13], 2, v[2:3]
	v_lshl_add_u64 v[14:15], s[4:5], 0, v[12:13]
	v_lshl_add_u64 v[12:13], s[6:7], 0, v[12:13]
	v_sub_f32_e32 v9, v9, v11
	global_load_dword v11, v[14:15], off
	s_nop 0
	global_load_dword v12, v[12:13], off
	s_waitcnt vmcnt(0)
	v_sub_f32_e32 v11, v11, v12
	v_mad_u64_u32 v[12:13], s[20:21], s12, 24, v[2:3]
	v_mov_b32_e32 v13, v3
	v_lshlrev_b64 v[14:15], 2, v[12:13]
	v_lshl_add_u64 v[20:21], s[4:5], 0, v[14:15]
	v_lshl_add_u64 v[14:15], s[6:7], 0, v[14:15]
	v_add_f32_e32 v9, v9, v11
	global_load_dword v2, v[20:21], off
	global_load_dword v11, v[14:15], off
	s_waitcnt vmcnt(0)
	v_sub_f32_e32 v2, v2, v11
	v_add_f32_e32 v9, v9, v2
	v_add_u32_e32 v2, s13, v12
	v_lshlrev_b64 v[12:13], 2, v[2:3]
	v_lshl_add_u64 v[14:15], s[4:5], 0, v[12:13]
	v_lshl_add_u64 v[12:13], s[6:7], 0, v[12:13]
	global_load_dword v11, v[14:15], off
	s_nop 0
	global_load_dword v12, v[12:13], off
	s_waitcnt vmcnt(0)
	v_sub_f32_e32 v11, v11, v12
	v_mad_u64_u32 v[12:13], s[20:21], s12, 25, v[2:3]
	v_mov_b32_e32 v13, v3
	v_lshlrev_b64 v[14:15], 2, v[12:13]
	v_lshl_add_u64 v[20:21], s[4:5], 0, v[14:15]
	v_lshl_add_u64 v[14:15], s[6:7], 0, v[14:15]
	v_add_f32_e32 v9, v9, v11
	global_load_dword v2, v[20:21], off
	global_load_dword v11, v[14:15], off
	s_mul_i32 s20, s12, 12
	s_load_dword s21, s[10:11], 0x0
	s_waitcnt vmcnt(0)
	v_sub_f32_e32 v2, v2, v11
	v_add_f32_e32 v9, v9, v2
	v_add_u32_e32 v2, s13, v12
	v_lshlrev_b64 v[12:13], 2, v[2:3]
	v_lshl_add_u64 v[14:15], s[4:5], 0, v[12:13]
	v_lshl_add_u64 v[12:13], s[6:7], 0, v[12:13]
	global_load_dword v11, v[14:15], off
	v_add_u32_e32 v2, s12, v2
	global_load_dword v12, v[12:13], off
	s_waitcnt vmcnt(0)
	v_sub_f32_e32 v11, v11, v12
	v_lshlrev_b64 v[12:13], 2, v[2:3]
	v_lshl_add_u64 v[14:15], s[4:5], 0, v[12:13]
	v_lshl_add_u64 v[12:13], s[6:7], 0, v[12:13]
	v_add_f32_e32 v9, v9, v11
	global_load_dword v11, v[14:15], off
	v_add_u32_e32 v2, s19, v2
	global_load_dword v12, v[12:13], off
	s_waitcnt vmcnt(0)
	v_sub_f32_e32 v11, v11, v12
	v_lshlrev_b64 v[12:13], 2, v[2:3]
	v_lshl_add_u64 v[14:15], s[4:5], 0, v[12:13]
	v_lshl_add_u64 v[12:13], s[6:7], 0, v[12:13]
	v_add_f32_e32 v9, v9, v11
	;; [unrolled: 9-line block ×8, first 2 shown]
	global_load_dword v11, v[14:15], off
	s_nop 0
	global_load_dword v12, v[12:13], off
	s_waitcnt vmcnt(0)
	v_sub_f32_e32 v11, v11, v12
	v_add_f32_e32 v9, v9, v11
	v_mul_f32_e32 v9, s3, v9
	s_waitcnt lgkmcnt(0)
	v_mul_f32_e32 v11, s21, v9
	v_mov_b32_e32 v9, v3
	v_lshlrev_b64 v[8:9], 2, v[8:9]
	v_lshl_add_u64 v[12:13], s[8:9], 0, v[8:9]
	global_store_dword v[12:13], v11, off
	v_lshl_add_u64 v[12:13], s[4:5], 0, v[8:9]
	v_lshl_add_u64 v[8:9], s[6:7], 0, v[8:9]
	global_load_dword v11, v[12:13], off
	s_mul_i32 s21, s12, 0xffffff3c
	global_load_dword v8, v[8:9], off
	v_add_u32_e32 v2, s21, v2
	v_lshlrev_b64 v[24:25], 2, v[2:3]
	v_add_u32_e32 v2, s13, v2
	s_mul_i32 s21, s12, 17
	s_waitcnt vmcnt(0)
	v_sub_f32_e32 v40, v11, v8
	v_sub_f32_e32 v12, v40, v10
	v_lshl_add_u64 v[8:9], s[4:5], 0, v[24:25]
	v_lshl_add_u64 v[10:11], s[6:7], 0, v[24:25]
	global_load_dword v13, v[8:9], off
	global_load_dword v14, v[10:11], off
	v_lshl_add_u64 v[24:25], s[8:9], 0, v[24:25]
	s_waitcnt vmcnt(0)
	v_sub_f32_e32 v13, v13, v14
	v_add_f32_e32 v20, v12, v13
	v_lshlrev_b64 v[12:13], 2, v[2:3]
	v_lshl_add_u64 v[14:15], s[4:5], 0, v[12:13]
	v_lshl_add_u64 v[12:13], s[6:7], 0, v[12:13]
	global_load_dword v14, v[14:15], off
	v_add_u32_e32 v2, s12, v2
	global_load_dword v12, v[12:13], off
	s_waitcnt vmcnt(0)
	v_sub_f32_e32 v12, v14, v12
	v_sub_f32_e32 v20, v20, v12
	v_lshlrev_b64 v[12:13], 2, v[2:3]
	v_lshl_add_u64 v[14:15], s[4:5], 0, v[12:13]
	v_lshl_add_u64 v[12:13], s[6:7], 0, v[12:13]
	global_load_dword v14, v[14:15], off
	v_add_u32_e32 v2, s13, v2
	global_load_dword v12, v[12:13], off
	s_waitcnt vmcnt(0)
	v_sub_f32_e32 v41, v14, v12
	v_sub_f32_e32 v12, v20, v41
	v_lshlrev_b64 v[14:15], 2, v[2:3]
	v_sub_f32_e32 v20, v12, v41
	v_lshl_add_u64 v[12:13], s[4:5], 0, v[14:15]
	v_lshl_add_u64 v[14:15], s[6:7], 0, v[14:15]
	global_load_dword v21, v[12:13], off
	global_load_dword v22, v[14:15], off
	v_add_u32_e32 v2, s23, v2
	s_waitcnt vmcnt(0)
	v_sub_f32_e32 v21, v21, v22
	v_add_f32_e32 v26, v20, v21
	v_lshlrev_b64 v[20:21], 2, v[2:3]
	v_lshl_add_u64 v[22:23], s[4:5], 0, v[20:21]
	v_lshl_add_u64 v[20:21], s[6:7], 0, v[20:21]
	global_load_dword v22, v[22:23], off
	v_add_u32_e32 v2, s13, v2
	global_load_dword v20, v[20:21], off
	s_waitcnt vmcnt(0)
	v_sub_f32_e32 v42, v22, v20
	v_lshlrev_b64 v[20:21], 2, v[2:3]
	v_lshl_add_u64 v[22:23], s[4:5], 0, v[20:21]
	v_lshl_add_u64 v[20:21], s[6:7], 0, v[20:21]
	global_load_dword v22, v[22:23], off
	v_sub_f32_e32 v26, v26, v42
	global_load_dword v20, v[20:21], off
	v_add_u32_e32 v2, s23, v2
	s_waitcnt vmcnt(0)
	v_sub_f32_e32 v20, v22, v20
	v_sub_f32_e32 v26, v26, v20
	v_lshlrev_b64 v[20:21], 2, v[2:3]
	v_lshl_add_u64 v[22:23], s[4:5], 0, v[20:21]
	v_lshl_add_u64 v[20:21], s[6:7], 0, v[20:21]
	global_load_dword v22, v[22:23], off
	v_add_u32_e32 v2, s23, v2
	global_load_dword v20, v[20:21], off
	s_waitcnt vmcnt(0)
	v_sub_f32_e32 v20, v22, v20
	v_lshlrev_b64 v[22:23], 2, v[2:3]
	v_sub_f32_e32 v26, v26, v20
	v_lshl_add_u64 v[20:21], s[4:5], 0, v[22:23]
	v_lshl_add_u64 v[22:23], s[6:7], 0, v[22:23]
	global_load_dword v27, v[20:21], off
	global_load_dword v29, v[22:23], off
	v_add_u32_e32 v2, s16, v2
	s_waitcnt vmcnt(0)
	v_sub_f32_e32 v27, v27, v29
	v_add_f32_e32 v29, v26, v27
	v_lshlrev_b64 v[26:27], 2, v[2:3]
	v_lshl_add_u64 v[30:31], s[4:5], 0, v[26:27]
	v_lshl_add_u64 v[26:27], s[6:7], 0, v[26:27]
	global_load_dword v30, v[30:31], off
	v_add_u32_e32 v2, s2, v2
	global_load_dword v26, v[26:27], off
	s_waitcnt vmcnt(0)
	v_sub_f32_e32 v26, v30, v26
	v_lshlrev_b64 v[30:31], 2, v[2:3]
	v_sub_f32_e32 v29, v29, v26
	v_lshl_add_u64 v[26:27], s[4:5], 0, v[30:31]
	v_lshl_add_u64 v[30:31], s[6:7], 0, v[30:31]
	global_load_dword v32, v[26:27], off
	global_load_dword v33, v[30:31], off
	v_add_u32_e32 v2, s22, v2
	s_waitcnt vmcnt(0)
	v_sub_f32_e32 v32, v32, v33
	v_add_f32_e32 v29, v29, v32
	v_lshlrev_b64 v[32:33], 2, v[2:3]
	v_lshl_add_u64 v[34:35], s[4:5], 0, v[32:33]
	v_lshl_add_u64 v[32:33], s[6:7], 0, v[32:33]
	global_load_dword v34, v[34:35], off
	v_add_u32_e32 v2, s12, v2
	global_load_dword v32, v[32:33], off
	s_waitcnt vmcnt(0)
	v_sub_f32_e32 v32, v34, v32
	v_sub_f32_e32 v29, v29, v32
	v_lshlrev_b64 v[32:33], 2, v[2:3]
	v_lshl_add_u64 v[34:35], s[4:5], 0, v[32:33]
	v_lshl_add_u64 v[32:33], s[6:7], 0, v[32:33]
	global_load_dword v34, v[34:35], off
	v_add_u32_e32 v2, s13, v2
	global_load_dword v32, v[32:33], off
	s_waitcnt vmcnt(0)
	v_sub_f32_e32 v32, v34, v32
	v_sub_f32_e32 v29, v29, v32
	;; [unrolled: 9-line block ×3, first 2 shown]
	v_sub_f32_e32 v34, v29, v28
	v_lshlrev_b64 v[28:29], 2, v[2:3]
	v_lshl_add_u64 v[32:33], s[4:5], 0, v[28:29]
	v_lshl_add_u64 v[28:29], s[6:7], 0, v[28:29]
	global_load_dword v32, v[32:33], off
	v_add_u32_e32 v2, s1, v2
	global_load_dword v28, v[28:29], off
	s_waitcnt vmcnt(0)
	v_sub_f32_e32 v28, v32, v28
	v_sub_f32_e32 v34, v34, v28
	v_lshlrev_b64 v[28:29], 2, v[2:3]
	v_lshl_add_u64 v[32:33], s[4:5], 0, v[28:29]
	v_lshl_add_u64 v[28:29], s[6:7], 0, v[28:29]
	global_load_dword v32, v[32:33], off
	v_add_u32_e32 v2, s13, v2
	global_load_dword v28, v[28:29], off
	s_waitcnt vmcnt(0)
	v_sub_f32_e32 v28, v32, v28
	;; [unrolled: 9-line block ×3, first 2 shown]
	v_lshlrev_b64 v[32:33], 2, v[2:3]
	v_sub_f32_e32 v34, v34, v28
	v_lshl_add_u64 v[28:29], s[4:5], 0, v[32:33]
	v_lshl_add_u64 v[32:33], s[6:7], 0, v[32:33]
	global_load_dword v35, v[28:29], off
	global_load_dword v36, v[32:33], off
	v_add_u32_e32 v2, s21, v2
	s_waitcnt vmcnt(0)
	v_sub_f32_e32 v35, v35, v36
	v_add_f32_e32 v43, v34, v35
	v_lshlrev_b64 v[34:35], 2, v[2:3]
	v_lshl_add_u64 v[36:37], s[4:5], 0, v[34:35]
	v_lshl_add_u64 v[34:35], s[6:7], 0, v[34:35]
	global_load_dword v36, v[36:37], off
	v_add_u32_e32 v2, s2, v2
	global_load_dword v34, v[34:35], off
	s_waitcnt vmcnt(0)
	v_sub_f32_e32 v34, v36, v34
	v_sub_f32_e32 v43, v43, v34
	v_lshlrev_b64 v[34:35], 2, v[2:3]
	v_lshl_add_u64 v[36:37], s[4:5], 0, v[34:35]
	v_lshl_add_u64 v[34:35], s[6:7], 0, v[34:35]
	global_load_dword v36, v[36:37], off
	v_add_u32_e32 v2, s13, v2
	global_load_dword v34, v[34:35], off
	s_waitcnt vmcnt(0)
	v_sub_f32_e32 v34, v36, v34
	v_sub_f32_e32 v43, v43, v34
	v_lshlrev_b64 v[34:35], 2, v[2:3]
	v_lshl_add_u64 v[36:37], s[4:5], 0, v[34:35]
	v_lshl_add_u64 v[34:35], s[6:7], 0, v[34:35]
	global_load_dword v36, v[36:37], off
	v_add_u32_e32 v2, s0, v2
	global_load_dword v34, v[34:35], off
	s_waitcnt vmcnt(0)
	v_sub_f32_e32 v34, v36, v34
	v_sub_f32_e32 v43, v43, v34
	v_lshlrev_b64 v[34:35], 2, v[2:3]
	v_lshl_add_u64 v[36:37], s[4:5], 0, v[34:35]
	v_lshl_add_u64 v[34:35], s[6:7], 0, v[34:35]
	global_load_dword v36, v[36:37], off
	v_add_u32_e32 v2, s12, v2
	global_load_dword v34, v[34:35], off
	s_waitcnt vmcnt(0)
	v_sub_f32_e32 v34, v36, v34
	v_sub_f32_e32 v43, v43, v34
	v_lshlrev_b64 v[34:35], 2, v[2:3]
	v_lshl_add_u64 v[36:37], s[4:5], 0, v[34:35]
	v_lshl_add_u64 v[34:35], s[6:7], 0, v[34:35]
	global_load_dword v36, v[36:37], off
	v_add_u32_e32 v2, s13, v2
	global_load_dword v34, v[34:35], off
	s_waitcnt vmcnt(0)
	v_sub_f32_e32 v34, v36, v34
	v_sub_f32_e32 v43, v43, v34
	v_lshlrev_b64 v[34:35], 2, v[2:3]
	v_lshl_add_u64 v[36:37], s[4:5], 0, v[34:35]
	v_lshl_add_u64 v[34:35], s[6:7], 0, v[34:35]
	global_load_dword v36, v[36:37], off
	v_add_u32_e32 v2, s13, v2
	global_load_dword v34, v[34:35], off
	s_waitcnt vmcnt(0)
	v_sub_f32_e32 v34, v36, v34
	v_sub_f32_e32 v43, v43, v34
	v_lshlrev_b64 v[34:35], 2, v[2:3]
	v_lshl_add_u64 v[36:37], s[4:5], 0, v[34:35]
	v_lshl_add_u64 v[34:35], s[6:7], 0, v[34:35]
	global_load_dword v36, v[36:37], off
	v_add_u32_e32 v2, s12, v2
	global_load_dword v34, v[34:35], off
	s_waitcnt vmcnt(0)
	v_sub_f32_e32 v34, v36, v34
	v_sub_f32_e32 v43, v43, v34
	v_lshlrev_b64 v[34:35], 2, v[2:3]
	v_lshl_add_u64 v[36:37], s[4:5], 0, v[34:35]
	v_lshl_add_u64 v[34:35], s[6:7], 0, v[34:35]
	global_load_dword v36, v[36:37], off
	v_add_u32_e32 v2, s22, v2
	global_load_dword v34, v[34:35], off
	s_waitcnt vmcnt(0)
	v_sub_f32_e32 v34, v36, v34
	v_sub_f32_e32 v43, v43, v34
	v_lshlrev_b64 v[34:35], 2, v[2:3]
	v_lshl_add_u64 v[36:37], s[4:5], 0, v[34:35]
	v_lshl_add_u64 v[34:35], s[6:7], 0, v[34:35]
	global_load_dword v36, v[36:37], off
	v_add_u32_e32 v2, s12, v2
	global_load_dword v34, v[34:35], off
	s_waitcnt vmcnt(0)
	v_sub_f32_e32 v34, v36, v34
	v_sub_f32_e32 v43, v43, v34
	v_lshlrev_b64 v[34:35], 2, v[2:3]
	v_lshl_add_u64 v[36:37], s[4:5], 0, v[34:35]
	v_lshl_add_u64 v[34:35], s[6:7], 0, v[34:35]
	global_load_dword v36, v[36:37], off
	v_add_u32_e32 v2, s23, v2
	global_load_dword v34, v[34:35], off
	s_waitcnt vmcnt(0)
	v_sub_f32_e32 v34, v36, v34
	v_lshlrev_b64 v[36:37], 2, v[2:3]
	v_sub_f32_e32 v43, v43, v34
	v_lshl_add_u64 v[34:35], s[4:5], 0, v[36:37]
	v_lshl_add_u64 v[36:37], s[6:7], 0, v[36:37]
	global_load_dword v44, v[34:35], off
	global_load_dword v45, v[36:37], off
	v_add_u32_e32 v2, s20, v2
	s_waitcnt vmcnt(0)
	v_sub_f32_e32 v44, v44, v45
	v_add_f32_e32 v43, v43, v44
	v_lshlrev_b64 v[44:45], 2, v[2:3]
	v_lshl_add_u64 v[46:47], s[4:5], 0, v[44:45]
	v_lshl_add_u64 v[44:45], s[6:7], 0, v[44:45]
	global_load_dword v46, v[46:47], off
	v_add_u32_e32 v2, s0, v2
	global_load_dword v44, v[44:45], off
	s_load_dwordx2 s[0:1], s[10:11], 0x8
	s_waitcnt vmcnt(0)
	v_sub_f32_e32 v44, v46, v44
	v_sub_f32_e32 v43, v43, v44
	v_lshlrev_b64 v[44:45], 2, v[2:3]
	v_lshl_add_u64 v[46:47], s[4:5], 0, v[44:45]
	v_lshl_add_u64 v[44:45], s[6:7], 0, v[44:45]
	global_load_dword v46, v[46:47], off
	v_add_u32_e32 v2, s12, v2
	global_load_dword v44, v[44:45], off
	s_waitcnt vmcnt(0)
	v_sub_f32_e32 v44, v46, v44
	v_sub_f32_e32 v43, v43, v44
	v_lshlrev_b64 v[44:45], 2, v[2:3]
	v_lshl_add_u64 v[46:47], s[4:5], 0, v[44:45]
	v_lshl_add_u64 v[44:45], s[6:7], 0, v[44:45]
	global_load_dword v46, v[46:47], off
	v_add_u32_e32 v2, s12, v2
	global_load_dword v44, v[44:45], off
	;; [unrolled: 9-line block ×9, first 2 shown]
	s_waitcnt vmcnt(0)
	v_sub_f32_e32 v44, v46, v44
	v_sub_f32_e32 v43, v43, v44
	v_lshlrev_b64 v[44:45], 2, v[2:3]
	v_lshl_add_u64 v[46:47], s[4:5], 0, v[44:45]
	v_lshl_add_u64 v[44:45], s[6:7], 0, v[44:45]
	global_load_dword v46, v[46:47], off
	s_nop 0
	global_load_dword v44, v[44:45], off
	s_waitcnt vmcnt(0)
	v_sub_f32_e32 v44, v46, v44
	v_sub_f32_e32 v43, v43, v44
	v_mul_f32_e32 v43, s3, v43
	s_waitcnt lgkmcnt(0)
	v_mul_f32_e32 v43, s0, v43
	global_store_dword v[16:17], v43, off
	v_sub_f32_e32 v16, v41, v40
	s_mul_i32 s0, s12, 0xffffff4c
	v_sub_f32_e32 v16, v16, v18
	v_add_u32_e32 v2, s0, v2
	v_add_f32_e32 v16, v19, v16
	v_lshlrev_b64 v[18:19], 2, v[2:3]
	v_add_f32_e32 v40, v16, v42
	v_lshl_add_u64 v[16:17], s[4:5], 0, v[18:19]
	v_lshl_add_u64 v[18:19], s[6:7], 0, v[18:19]
	global_load_dword v41, v[16:17], off
	global_load_dword v42, v[18:19], off
	s_mul_i32 s0, s12, 13
	s_waitcnt vmcnt(0)
	v_sub_f32_e32 v41, v41, v42
	v_add_f32_e32 v40, v40, v41
	v_add_f32_e32 v39, v39, v40
	global_load_dword v40, v[20:21], off
	global_load_dword v41, v[22:23], off
	s_nop 0
	global_load_dword v21, v[26:27], off
	global_load_dword v22, v[30:31], off
	s_waitcnt vmcnt(2)
	v_sub_f32_e32 v20, v40, v41
	v_sub_f32_e32 v20, v39, v20
	s_waitcnt vmcnt(0)
	v_sub_f32_e32 v21, v21, v22
	v_sub_f32_e32 v30, v20, v21
	v_mad_u64_u32 v[20:21], s[22:23], s12, 26, v[2:3]
	v_mov_b32_e32 v21, v3
	v_lshlrev_b64 v[22:23], 2, v[20:21]
	v_lshl_add_u64 v[26:27], s[4:5], 0, v[22:23]
	v_lshl_add_u64 v[22:23], s[6:7], 0, v[22:23]
	global_load_dword v2, v[26:27], off
	global_load_dword v21, v[22:23], off
	s_waitcnt vmcnt(0)
	v_sub_f32_e32 v2, v2, v21
	v_sub_f32_e32 v26, v30, v2
	v_add_u32_e32 v2, s2, v20
	v_lshlrev_b64 v[20:21], 2, v[2:3]
	v_lshl_add_u64 v[22:23], s[4:5], 0, v[20:21]
	v_lshl_add_u64 v[20:21], s[6:7], 0, v[20:21]
	global_load_dword v22, v[22:23], off
	v_add_u32_e32 v2, s12, v2
	global_load_dword v20, v[20:21], off
	s_waitcnt vmcnt(0)
	v_sub_f32_e32 v20, v22, v20
	v_sub_f32_e32 v26, v26, v20
	v_lshlrev_b64 v[20:21], 2, v[2:3]
	v_lshl_add_u64 v[22:23], s[4:5], 0, v[20:21]
	v_lshl_add_u64 v[20:21], s[6:7], 0, v[20:21]
	global_load_dword v22, v[22:23], off
	v_add_u32_e32 v2, s0, v2
	global_load_dword v20, v[20:21], off
	s_waitcnt vmcnt(0)
	v_sub_f32_e32 v20, v22, v20
	v_sub_f32_e32 v26, v26, v20
	v_lshlrev_b64 v[20:21], 2, v[2:3]
	v_lshl_add_u64 v[22:23], s[4:5], 0, v[20:21]
	v_lshl_add_u64 v[20:21], s[6:7], 0, v[20:21]
	global_load_dword v22, v[22:23], off
	v_add_u32_e32 v2, s12, v2
	global_load_dword v20, v[20:21], off
	s_waitcnt vmcnt(0)
	v_sub_f32_e32 v20, v22, v20
	v_lshlrev_b64 v[22:23], 2, v[2:3]
	v_sub_f32_e32 v26, v26, v20
	v_lshl_add_u64 v[20:21], s[4:5], 0, v[22:23]
	v_lshl_add_u64 v[22:23], s[6:7], 0, v[22:23]
	global_load_dword v27, v[20:21], off
	global_load_dword v30, v[22:23], off
	v_add_u32_e32 v2, s15, v2
	s_waitcnt vmcnt(0)
	v_sub_f32_e32 v27, v27, v30
	v_sub_f32_e32 v39, v26, v27
	v_lshlrev_b64 v[26:27], 2, v[2:3]
	v_lshl_add_u64 v[30:31], s[4:5], 0, v[26:27]
	v_lshl_add_u64 v[26:27], s[6:7], 0, v[26:27]
	global_load_dword v30, v[30:31], off
	v_add_u32_e32 v2, s18, v2
	global_load_dword v26, v[26:27], off
	s_waitcnt vmcnt(0)
	v_sub_f32_e32 v26, v30, v26
	global_load_dword v27, v[28:29], off
	global_load_dword v30, v[32:33], off
	v_sub_f32_e32 v26, v39, v26
	s_waitcnt vmcnt(0)
	v_sub_f32_e32 v27, v27, v30
	v_sub_f32_e32 v30, v26, v27
	v_lshlrev_b64 v[26:27], 2, v[2:3]
	v_lshl_add_u64 v[28:29], s[4:5], 0, v[26:27]
	v_lshl_add_u64 v[26:27], s[6:7], 0, v[26:27]
	global_load_dword v28, v[28:29], off
	v_add_u32_e32 v2, s12, v2
	global_load_dword v26, v[26:27], off
	s_waitcnt vmcnt(0)
	v_sub_f32_e32 v26, v28, v26
	v_sub_f32_e32 v30, v30, v26
	v_lshlrev_b64 v[26:27], 2, v[2:3]
	v_lshl_add_u64 v[28:29], s[4:5], 0, v[26:27]
	v_lshl_add_u64 v[26:27], s[6:7], 0, v[26:27]
	global_load_dword v28, v[28:29], off
	v_add_u32_e32 v2, s21, v2
	global_load_dword v26, v[26:27], off
	s_waitcnt vmcnt(0)
	v_sub_f32_e32 v26, v28, v26
	v_add_f32_e32 v30, v30, v26
	v_lshlrev_b64 v[26:27], 2, v[2:3]
	v_lshl_add_u64 v[28:29], s[4:5], 0, v[26:27]
	v_lshl_add_u64 v[26:27], s[6:7], 0, v[26:27]
	global_load_dword v28, v[28:29], off
	v_add_u32_e32 v2, s15, v2
	global_load_dword v26, v[26:27], off
	s_waitcnt vmcnt(0)
	v_sub_f32_e32 v26, v28, v26
	v_sub_f32_e32 v30, v30, v26
	v_lshlrev_b64 v[26:27], 2, v[2:3]
	v_lshl_add_u64 v[28:29], s[4:5], 0, v[26:27]
	v_lshl_add_u64 v[26:27], s[6:7], 0, v[26:27]
	global_load_dword v28, v[28:29], off
	v_add_u32_e32 v2, s14, v2
	global_load_dword v26, v[26:27], off
	s_waitcnt vmcnt(0)
	v_sub_f32_e32 v26, v28, v26
	v_sub_f32_e32 v30, v30, v26
	;; [unrolled: 9-line block ×3, first 2 shown]
	v_lshlrev_b64 v[26:27], 2, v[2:3]
	v_lshl_add_u64 v[28:29], s[4:5], 0, v[26:27]
	v_lshl_add_u64 v[26:27], s[6:7], 0, v[26:27]
	global_load_dword v28, v[28:29], off
	v_add_u32_e32 v2, s16, v2
	global_load_dword v26, v[26:27], off
	s_waitcnt vmcnt(0)
	v_sub_f32_e32 v26, v28, v26
	global_load_dword v27, v[34:35], off
	global_load_dword v28, v[36:37], off
	v_sub_f32_e32 v26, v30, v26
	s_waitcnt vmcnt(0)
	v_sub_f32_e32 v27, v27, v28
	v_sub_f32_e32 v30, v26, v27
	v_lshlrev_b64 v[26:27], 2, v[2:3]
	v_lshl_add_u64 v[28:29], s[4:5], 0, v[26:27]
	v_lshl_add_u64 v[26:27], s[6:7], 0, v[26:27]
	global_load_dword v28, v[28:29], off
	v_add_u32_e32 v2, s0, v2
	global_load_dword v26, v[26:27], off
	s_mul_i32 s0, s12, 0xffffff3e
	s_waitcnt vmcnt(0)
	v_sub_f32_e32 v26, v28, v26
	v_sub_f32_e32 v30, v30, v26
	v_lshlrev_b64 v[26:27], 2, v[2:3]
	v_lshl_add_u64 v[28:29], s[4:5], 0, v[26:27]
	v_lshl_add_u64 v[26:27], s[6:7], 0, v[26:27]
	global_load_dword v28, v[28:29], off
	v_add_u32_e32 v2, s12, v2
	global_load_dword v26, v[26:27], off
	s_waitcnt vmcnt(0)
	v_sub_f32_e32 v26, v28, v26
	v_sub_f32_e32 v30, v30, v26
	v_lshlrev_b64 v[26:27], 2, v[2:3]
	v_lshl_add_u64 v[28:29], s[4:5], 0, v[26:27]
	v_lshl_add_u64 v[26:27], s[6:7], 0, v[26:27]
	global_load_dword v28, v[28:29], off
	v_add_u32_e32 v2, s18, v2
	global_load_dword v26, v[26:27], off
	;; [unrolled: 9-line block ×5, first 2 shown]
	s_waitcnt vmcnt(0)
	v_sub_f32_e32 v26, v28, v26
	v_add_f32_e32 v30, v30, v26
	v_lshlrev_b64 v[26:27], 2, v[2:3]
	v_lshl_add_u64 v[28:29], s[4:5], 0, v[26:27]
	v_lshl_add_u64 v[26:27], s[6:7], 0, v[26:27]
	global_load_dword v28, v[28:29], off
	v_add_u32_e32 v2, s19, v2
	global_load_dword v26, v[26:27], off
	s_waitcnt vmcnt(0)
	v_sub_f32_e32 v26, v28, v26
	v_add_f32_e32 v30, v30, v26
	v_lshlrev_b64 v[26:27], 2, v[2:3]
	v_lshl_add_u64 v[28:29], s[4:5], 0, v[26:27]
	v_lshl_add_u64 v[26:27], s[6:7], 0, v[26:27]
	global_load_dword v28, v[28:29], off
	v_add_u32_e32 v2, s0, v2
	global_load_dword v26, v[26:27], off
	s_waitcnt vmcnt(0)
	v_sub_f32_e32 v26, v28, v26
	v_sub_f32_e32 v26, v30, v26
	v_mul_f32_e32 v26, s3, v26
	v_mul_f32_e32 v26, s1, v26
	global_store_dword v[24:25], v26, off
	global_load_dword v24, v[4:5], off
	s_nop 0
	global_load_dword v25, v[6:7], off
	global_load_dword v5, v[8:9], off
	s_nop 0
	global_load_dword v6, v[10:11], off
	s_waitcnt vmcnt(2)
	v_sub_f32_e32 v4, v24, v25
	s_waitcnt vmcnt(0)
	v_sub_f32_e32 v5, v5, v6
	v_add_f32_e32 v8, v4, v5
	v_lshlrev_b64 v[4:5], 2, v[2:3]
	v_lshl_add_u64 v[6:7], s[4:5], 0, v[4:5]
	v_lshl_add_u64 v[4:5], s[6:7], 0, v[4:5]
	global_load_dword v6, v[6:7], off
	v_add_u32_e32 v2, s19, v2
	global_load_dword v4, v[4:5], off
	s_waitcnt vmcnt(0)
	v_sub_f32_e32 v4, v6, v4
	global_load_dword v5, v[12:13], off
	global_load_dword v6, v[14:15], off
	v_add_f32_e32 v4, v8, v4
	s_waitcnt vmcnt(0)
	v_sub_f32_e32 v5, v5, v6
	v_add_f32_e32 v4, v4, v5
	global_load_dword v5, v[16:17], off
	global_load_dword v6, v[18:19], off
	s_waitcnt vmcnt(0)
	v_sub_f32_e32 v5, v5, v6
	v_add_f32_e32 v8, v4, v5
	v_lshlrev_b64 v[4:5], 2, v[2:3]
	v_lshl_add_u64 v[6:7], s[4:5], 0, v[4:5]
	v_lshl_add_u64 v[4:5], s[6:7], 0, v[4:5]
	global_load_dword v6, v[6:7], off
	v_add_u32_e32 v2, s20, v2
	global_load_dword v4, v[4:5], off
	s_waitcnt vmcnt(0)
	v_sub_f32_e32 v4, v6, v4
	v_add_f32_e32 v4, v8, v4
	v_add_f32_e32 v8, v38, v4
	v_lshlrev_b64 v[4:5], 2, v[2:3]
	v_lshl_add_u64 v[6:7], s[4:5], 0, v[4:5]
	v_lshl_add_u64 v[4:5], s[6:7], 0, v[4:5]
	global_load_dword v6, v[6:7], off
	v_add_u32_e32 v2, s18, v2
	global_load_dword v4, v[4:5], off
	s_waitcnt vmcnt(0)
	v_sub_f32_e32 v4, v6, v4
	v_sub_f32_e32 v8, v8, v4
	v_lshlrev_b64 v[4:5], 2, v[2:3]
	v_lshl_add_u64 v[6:7], s[4:5], 0, v[4:5]
	v_lshl_add_u64 v[4:5], s[6:7], 0, v[4:5]
	global_load_dword v6, v[6:7], off
	v_add_u32_e32 v2, s15, v2
	global_load_dword v4, v[4:5], off
	s_waitcnt vmcnt(0)
	v_sub_f32_e32 v4, v6, v4
	v_add_f32_e32 v8, v8, v4
	v_lshlrev_b64 v[4:5], 2, v[2:3]
	v_lshl_add_u64 v[6:7], s[4:5], 0, v[4:5]
	v_lshl_add_u64 v[4:5], s[6:7], 0, v[4:5]
	global_load_dword v6, v[6:7], off
	s_nop 0
	global_load_dword v4, v[4:5], off
	s_waitcnt vmcnt(0)
	v_sub_f32_e32 v4, v6, v4
	global_load_dword v5, v[20:21], off
	global_load_dword v6, v[22:23], off
	v_add_f32_e32 v4, v8, v4
	s_waitcnt vmcnt(0)
	v_sub_f32_e32 v5, v5, v6
	v_add_f32_e32 v10, v4, v5
	v_mad_u64_u32 v[4:5], s[0:1], s12, 20, v[2:3]
	v_mov_b32_e32 v5, v3
	v_lshlrev_b64 v[6:7], 2, v[4:5]
	v_lshl_add_u64 v[8:9], s[4:5], 0, v[6:7]
	v_lshl_add_u64 v[6:7], s[6:7], 0, v[6:7]
	global_load_dword v2, v[8:9], off
	global_load_dword v5, v[6:7], off
	s_waitcnt vmcnt(0)
	v_sub_f32_e32 v2, v2, v5
	v_add_f32_e32 v8, v10, v2
	v_add_u32_e32 v2, s13, v4
	v_lshlrev_b64 v[4:5], 2, v[2:3]
	v_lshl_add_u64 v[6:7], s[4:5], 0, v[4:5]
	v_lshl_add_u64 v[4:5], s[6:7], 0, v[4:5]
	global_load_dword v6, v[6:7], off
	v_add_u32_e32 v2, s12, v2
	global_load_dword v4, v[4:5], off
	s_waitcnt vmcnt(0)
	v_sub_f32_e32 v4, v6, v4
	v_add_f32_e32 v8, v8, v4
	v_lshlrev_b64 v[4:5], 2, v[2:3]
	v_lshl_add_u64 v[6:7], s[4:5], 0, v[4:5]
	v_lshl_add_u64 v[4:5], s[6:7], 0, v[4:5]
	global_load_dword v6, v[6:7], off
	v_add_u32_e32 v2, s21, v2
	global_load_dword v4, v[4:5], off
	s_waitcnt vmcnt(0)
	v_sub_f32_e32 v4, v6, v4
	v_add_f32_e32 v8, v8, v4
	;; [unrolled: 9-line block ×4, first 2 shown]
	v_lshlrev_b64 v[4:5], 2, v[2:3]
	v_lshl_add_u64 v[6:7], s[4:5], 0, v[4:5]
	v_lshl_add_u64 v[4:5], s[6:7], 0, v[4:5]
	global_load_dword v6, v[6:7], off
	s_nop 0
	global_load_dword v4, v[4:5], off
	s_waitcnt vmcnt(0)
	v_sub_f32_e32 v4, v6, v4
	v_add_f32_e32 v10, v8, v4
	v_mad_u64_u32 v[4:5], s[0:1], s12, 27, v[2:3]
	v_mov_b32_e32 v5, v3
	v_lshlrev_b64 v[6:7], 2, v[4:5]
	v_lshl_add_u64 v[8:9], s[4:5], 0, v[6:7]
	v_lshl_add_u64 v[6:7], s[6:7], 0, v[6:7]
	global_load_dword v2, v[8:9], off
	global_load_dword v5, v[6:7], off
	s_waitcnt vmcnt(0)
	v_sub_f32_e32 v2, v2, v5
	v_add_f32_e32 v8, v10, v2
	v_add_u32_e32 v2, s13, v4
	v_lshlrev_b64 v[4:5], 2, v[2:3]
	v_lshl_add_u64 v[6:7], s[4:5], 0, v[4:5]
	v_lshl_add_u64 v[4:5], s[6:7], 0, v[4:5]
	global_load_dword v6, v[6:7], off
	v_add_u32_e32 v2, s14, v2
	global_load_dword v4, v[4:5], off
	s_waitcnt vmcnt(0)
	v_sub_f32_e32 v4, v6, v4
	v_add_f32_e32 v8, v8, v4
	v_lshlrev_b64 v[4:5], 2, v[2:3]
	v_lshl_add_u64 v[6:7], s[4:5], 0, v[4:5]
	v_lshl_add_u64 v[4:5], s[6:7], 0, v[4:5]
	global_load_dword v6, v[6:7], off
	v_add_u32_e32 v2, s15, v2
	global_load_dword v4, v[4:5], off
	s_waitcnt vmcnt(0)
	v_sub_f32_e32 v4, v6, v4
	v_add_f32_e32 v8, v8, v4
	v_lshlrev_b64 v[4:5], 2, v[2:3]
	v_lshl_add_u64 v[6:7], s[4:5], 0, v[4:5]
	v_lshl_add_u64 v[4:5], s[6:7], 0, v[4:5]
	global_load_dword v6, v[6:7], off
	s_nop 0
	global_load_dword v4, v[4:5], off
	s_waitcnt vmcnt(0)
	v_sub_f32_e32 v4, v6, v4
	v_add_f32_e32 v10, v8, v4
	v_mad_u64_u32 v[4:5], s[0:1], s12, 21, v[2:3]
	v_mov_b32_e32 v5, v3
	v_lshlrev_b64 v[6:7], 2, v[4:5]
	v_lshl_add_u64 v[8:9], s[4:5], 0, v[6:7]
	v_lshl_add_u64 v[6:7], s[6:7], 0, v[6:7]
	global_load_dword v2, v[8:9], off
	global_load_dword v5, v[6:7], off
	s_load_dword s0, s[10:11], 0x14
	s_waitcnt vmcnt(0)
	v_sub_f32_e32 v2, v2, v5
	v_add_f32_e32 v8, v10, v2
	v_add_u32_e32 v2, s17, v4
	v_lshlrev_b64 v[4:5], 2, v[2:3]
	v_lshl_add_u64 v[6:7], s[4:5], 0, v[4:5]
	v_lshl_add_u64 v[4:5], s[6:7], 0, v[4:5]
	global_load_dword v6, v[6:7], off
	v_add_u32_e32 v2, s13, v2
	global_load_dword v4, v[4:5], off
	v_lshlrev_b64 v[2:3], 2, v[2:3]
	s_waitcnt vmcnt(0)
	v_sub_f32_e32 v4, v6, v4
	v_add_f32_e32 v6, v8, v4
	v_lshl_add_u64 v[4:5], s[4:5], 0, v[2:3]
	v_lshl_add_u64 v[2:3], s[6:7], 0, v[2:3]
	global_load_dword v4, v[4:5], off
	s_nop 0
	global_load_dword v2, v[2:3], off
	s_waitcnt vmcnt(0)
	v_sub_f32_e32 v2, v4, v2
	v_add_f32_e32 v2, v6, v2
	v_mul_f32_e32 v2, s3, v2
	s_waitcnt lgkmcnt(0)
	v_mul_f32_e32 v2, s0, v2
	global_store_dword v[0:1], v2, off
	s_endpgm
	.section	.rodata,"a",@progbits
	.p2align	6, 0x0
	.amdhsa_kernel _Z15rdwdot10_kernelIfEvPKT_S2_PS0_S0_S2_
		.amdhsa_group_segment_fixed_size 0
		.amdhsa_private_segment_fixed_size 0
		.amdhsa_kernarg_size 296
		.amdhsa_user_sgpr_count 2
		.amdhsa_user_sgpr_dispatch_ptr 0
		.amdhsa_user_sgpr_queue_ptr 0
		.amdhsa_user_sgpr_kernarg_segment_ptr 1
		.amdhsa_user_sgpr_dispatch_id 0
		.amdhsa_user_sgpr_kernarg_preload_length 0
		.amdhsa_user_sgpr_kernarg_preload_offset 0
		.amdhsa_user_sgpr_private_segment_size 0
		.amdhsa_uses_dynamic_stack 0
		.amdhsa_enable_private_segment 0
		.amdhsa_system_sgpr_workgroup_id_x 1
		.amdhsa_system_sgpr_workgroup_id_y 0
		.amdhsa_system_sgpr_workgroup_id_z 0
		.amdhsa_system_sgpr_workgroup_info 0
		.amdhsa_system_vgpr_workitem_id 0
		.amdhsa_next_free_vgpr 48
		.amdhsa_next_free_sgpr 24
		.amdhsa_accum_offset 48
		.amdhsa_reserve_vcc 0
		.amdhsa_float_round_mode_32 0
		.amdhsa_float_round_mode_16_64 0
		.amdhsa_float_denorm_mode_32 3
		.amdhsa_float_denorm_mode_16_64 3
		.amdhsa_dx10_clamp 1
		.amdhsa_ieee_mode 1
		.amdhsa_fp16_overflow 0
		.amdhsa_tg_split 0
		.amdhsa_exception_fp_ieee_invalid_op 0
		.amdhsa_exception_fp_denorm_src 0
		.amdhsa_exception_fp_ieee_div_zero 0
		.amdhsa_exception_fp_ieee_overflow 0
		.amdhsa_exception_fp_ieee_underflow 0
		.amdhsa_exception_fp_ieee_inexact 0
		.amdhsa_exception_int_div_zero 0
	.end_amdhsa_kernel
	.section	.text._Z15rdwdot10_kernelIfEvPKT_S2_PS0_S0_S2_,"axG",@progbits,_Z15rdwdot10_kernelIfEvPKT_S2_PS0_S0_S2_,comdat
.Lfunc_end26:
	.size	_Z15rdwdot10_kernelIfEvPKT_S2_PS0_S0_S2_, .Lfunc_end26-_Z15rdwdot10_kernelIfEvPKT_S2_PS0_S0_S2_
                                        ; -- End function
	.set _Z15rdwdot10_kernelIfEvPKT_S2_PS0_S0_S2_.num_vgpr, 48
	.set _Z15rdwdot10_kernelIfEvPKT_S2_PS0_S0_S2_.num_agpr, 0
	.set _Z15rdwdot10_kernelIfEvPKT_S2_PS0_S0_S2_.numbered_sgpr, 24
	.set _Z15rdwdot10_kernelIfEvPKT_S2_PS0_S0_S2_.num_named_barrier, 0
	.set _Z15rdwdot10_kernelIfEvPKT_S2_PS0_S0_S2_.private_seg_size, 0
	.set _Z15rdwdot10_kernelIfEvPKT_S2_PS0_S0_S2_.uses_vcc, 0
	.set _Z15rdwdot10_kernelIfEvPKT_S2_PS0_S0_S2_.uses_flat_scratch, 0
	.set _Z15rdwdot10_kernelIfEvPKT_S2_PS0_S0_S2_.has_dyn_sized_stack, 0
	.set _Z15rdwdot10_kernelIfEvPKT_S2_PS0_S0_S2_.has_recursion, 0
	.set _Z15rdwdot10_kernelIfEvPKT_S2_PS0_S0_S2_.has_indirect_call, 0
	.section	.AMDGPU.csdata,"",@progbits
; Kernel info:
; codeLenInByte = 7164
; TotalNumSgprs: 30
; NumVgprs: 48
; NumAgprs: 0
; TotalNumVgprs: 48
; ScratchSize: 0
; MemoryBound: 0
; FloatMode: 240
; IeeeMode: 1
; LDSByteSize: 0 bytes/workgroup (compile time only)
; SGPRBlocks: 3
; VGPRBlocks: 5
; NumSGPRsForWavesPerEU: 30
; NumVGPRsForWavesPerEU: 48
; AccumOffset: 48
; Occupancy: 8
; WaveLimiterHint : 0
; COMPUTE_PGM_RSRC2:SCRATCH_EN: 0
; COMPUTE_PGM_RSRC2:USER_SGPR: 2
; COMPUTE_PGM_RSRC2:TRAP_HANDLER: 0
; COMPUTE_PGM_RSRC2:TGID_X_EN: 1
; COMPUTE_PGM_RSRC2:TGID_Y_EN: 0
; COMPUTE_PGM_RSRC2:TGID_Z_EN: 0
; COMPUTE_PGM_RSRC2:TIDIG_COMP_CNT: 0
; COMPUTE_PGM_RSRC3_GFX90A:ACCUM_OFFSET: 11
; COMPUTE_PGM_RSRC3_GFX90A:TG_SPLIT: 0
	.section	.text._Z11ratt_kernelIdEvPKT_PS0_S0_,"axG",@progbits,_Z11ratt_kernelIdEvPKT_PS0_S0_,comdat
	.protected	_Z11ratt_kernelIdEvPKT_PS0_S0_ ; -- Begin function _Z11ratt_kernelIdEvPKT_PS0_S0_
	.globl	_Z11ratt_kernelIdEvPKT_PS0_S0_
	.p2align	8
	.type	_Z11ratt_kernelIdEvPKT_PS0_S0_,@function
_Z11ratt_kernelIdEvPKT_PS0_S0_:         ; @_Z11ratt_kernelIdEvPKT_PS0_S0_
; %bb.0:
	s_load_dwordx4 s[4:7], s[0:1], 0x0
	s_load_dwordx2 s[8:9], s[0:1], 0x10
	s_load_dword s33, s[0:1], 0x18
	s_load_dword s3, s[0:1], 0x24
	v_mov_b32_e32 v1, 0
	s_mov_b32 s0, 0x55555555
	s_mov_b32 s1, 0x3fe55555
	;; [unrolled: 1-line block ×3, first 2 shown]
	s_waitcnt lgkmcnt(0)
	s_and_b32 s36, s3, 0xffff
	s_mul_i32 s2, s2, s36
	v_add_u32_e32 v0, s2, v0
	v_lshlrev_b64 v[10:11], 3, v[0:1]
	v_lshl_add_u64 v[2:3], s[4:5], 0, v[10:11]
	global_load_dwordx2 v[2:3], v[2:3], off
	s_mov_b32 s3, 0x3fe62e42
	s_mov_b32 s2, 0xfefa39ef
	;; [unrolled: 1-line block ×25, first 2 shown]
	v_lshl_add_u64 v[10:11], s[6:7], 0, v[10:11]
	s_mov_b32 s35, 0x40055c28
	s_mov_b32 s34, 0xf5c28f5c
	s_mul_i32 s33, s33, s36
	v_add_u32_e32 v0, s33, v0
	s_mov_b32 s41, 0x3ff828f5
	s_mov_b32 s40, 0xc28f5c29
	;; [unrolled: 1-line block ×10, first 2 shown]
	v_mov_b64_e32 v[24:25], s[44:45]
	s_mov_b32 s57, 0x406f7377
	s_mov_b32 s56, 0x78dd6170
	;; [unrolled: 1-line block ×12, first 2 shown]
	v_mov_b64_e32 v[26:27], s[58:59]
	s_mov_b32 s55, 0x3ffca3d7
	s_mov_b32 s54, 0xa3d70a4
	;; [unrolled: 1-line block ×4, first 2 shown]
	v_mov_b64_e32 v[22:23], s[68:69]
	s_mov_b32 s75, 0x42bd1a94
	s_mov_b32 s74, 0xa2000000
	;; [unrolled: 1-line block ×17, first 2 shown]
	s_waitcnt vmcnt(0)
	v_mul_f64 v[4:5], s[8:9], v[2:3]
	v_frexp_mant_f64_e32 v[2:3], v[4:5]
	v_cmp_gt_f64_e32 vcc, s[0:1], v[2:3]
	v_frexp_exp_i32_f64_e32 v6, v[4:5]
	s_mov_b32 s0, 0xbf559e2b
	v_cndmask_b32_e64 v7, 0, 1, vcc
	v_ldexp_f64 v[2:3], v[2:3], v7
	v_add_f64 v[8:9], v[2:3], 1.0
	v_add_f64 v[12:13], v[8:9], -1.0
	v_subbrev_co_u32_e32 v20, vcc, 0, v6, vcc
	v_add_f64 v[6:7], v[2:3], -1.0
	v_add_f64 v[2:3], v[2:3], -v[12:13]
	v_rcp_f64_e32 v[12:13], v[8:9]
	s_mov_b32 s1, 0x3fc3ab76
	s_mov_b32 s8, 0x652b82fe
	;; [unrolled: 1-line block ×3, first 2 shown]
	v_fma_f64 v[14:15], -v[8:9], v[12:13], 1.0
	v_fmac_f64_e32 v[12:13], v[14:15], v[12:13]
	v_fma_f64 v[14:15], -v[8:9], v[12:13], 1.0
	v_fmac_f64_e32 v[12:13], v[14:15], v[12:13]
	v_mul_f64 v[14:15], v[6:7], v[12:13]
	v_mul_f64 v[16:17], v[8:9], v[14:15]
	v_fma_f64 v[8:9], v[14:15], v[8:9], -v[16:17]
	v_fmac_f64_e32 v[8:9], v[14:15], v[2:3]
	v_add_f64 v[2:3], v[16:17], v[8:9]
	v_add_f64 v[18:19], v[6:7], -v[2:3]
	v_add_f64 v[16:17], v[2:3], -v[16:17]
	;; [unrolled: 1-line block ×5, first 2 shown]
	v_add_f64 v[2:3], v[6:7], v[2:3]
	v_add_f64 v[2:3], v[18:19], v[2:3]
	v_mul_f64 v[2:3], v[12:13], v[2:3]
	v_add_f64 v[6:7], v[14:15], v[2:3]
	v_add_f64 v[8:9], v[6:7], -v[14:15]
	v_add_f64 v[2:3], v[2:3], -v[8:9]
	v_mul_f64 v[8:9], v[6:7], v[6:7]
	v_mov_b32_e32 v12, 0x6b47b09a
	v_mov_b32_e32 v13, 0x3fc38538
	v_fmac_f64_e32 v[12:13], s[0:1], v[8:9]
	v_mov_b32_e32 v14, 0xd7f4df2e
	v_mov_b32_e32 v15, 0x3fc7474d
	v_fmac_f64_e32 v[14:15], v[8:9], v[12:13]
	;; [unrolled: 3-line block ×6, first 2 shown]
	v_ldexp_f64 v[12:13], v[6:7], 1
	v_mul_f64 v[6:7], v[6:7], v[8:9]
	v_mul_f64 v[6:7], v[6:7], v[14:15]
	v_add_f64 v[8:9], v[12:13], v[6:7]
	v_add_f64 v[12:13], v[8:9], -v[12:13]
	v_ldexp_f64 v[2:3], v[2:3], 1
	v_add_f64 v[6:7], v[6:7], -v[12:13]
	v_add_f64 v[2:3], v[2:3], v[6:7]
	v_add_f64 v[6:7], v[8:9], v[2:3]
	v_add_f64 v[8:9], v[6:7], -v[8:9]
	v_add_f64 v[2:3], v[2:3], -v[8:9]
	v_cvt_f64_i32_e32 v[8:9], v20
	v_mul_f64 v[12:13], v[8:9], s[2:3]
	v_fma_f64 v[14:15], v[8:9], s[2:3], -v[12:13]
	v_fmac_f64_e32 v[14:15], s[4:5], v[8:9]
	v_add_f64 v[8:9], v[12:13], v[14:15]
	v_add_f64 v[12:13], v[8:9], -v[12:13]
	v_add_f64 v[12:13], v[14:15], -v[12:13]
	v_add_f64 v[14:15], v[8:9], v[6:7]
	v_add_f64 v[16:17], v[14:15], -v[8:9]
	v_add_f64 v[18:19], v[14:15], -v[16:17]
	;; [unrolled: 1-line block ×4, first 2 shown]
	v_add_f64 v[6:7], v[6:7], v[8:9]
	v_add_f64 v[8:9], v[12:13], v[2:3]
	v_add_f64 v[16:17], v[8:9], -v[12:13]
	v_add_f64 v[18:19], v[8:9], -v[16:17]
	v_add_f64 v[6:7], v[8:9], v[6:7]
	v_add_f64 v[12:13], v[12:13], -v[18:19]
	v_add_f64 v[2:3], v[2:3], -v[16:17]
	v_add_f64 v[8:9], v[14:15], v[6:7]
	v_add_f64 v[2:3], v[2:3], v[12:13]
	v_add_f64 v[12:13], v[8:9], -v[14:15]
	v_add_f64 v[6:7], v[6:7], -v[12:13]
	v_add_f64 v[2:3], v[2:3], v[6:7]
	s_movk_i32 s0, 0x204
	v_add_f64 v[2:3], v[8:9], v[2:3]
	v_cmp_class_f64_e64 vcc, v[4:5], s0
	v_mov_b32_e32 v6, 0x7ff80000
	s_mov_b32 s3, 0xbfe62e42
	v_cndmask_b32_e32 v2, v2, v4, vcc
	v_cndmask_b32_e32 v3, v3, v5, vcc
	v_cmp_ngt_f64_e32 vcc, 0, v[4:5]
	s_mov_b32 s5, 0xbc7abc9e
	v_mov_b32_e32 v20, 0x7ff00000
	v_cndmask_b32_e32 v3, v6, v3, vcc
	v_cmp_nge_f64_e32 vcc, 0, v[4:5]
	v_mov_b32_e32 v6, 0xfff00000
	s_nop 0
	v_cndmask_b32_e32 v2, 0, v2, vcc
	v_cmp_neq_f64_e32 vcc, 0, v[4:5]
	s_nop 1
	v_cndmask_b32_e32 v3, v6, v3, vcc
	v_div_scale_f64 v[6:7], s[0:1], v[4:5], v[4:5], 1.0
	v_rcp_f64_e32 v[8:9], v[6:7]
	s_mov_b32 s0, 0xa0e410b6
	s_mov_b32 s1, 0xc0bc54dc
	v_fma_f64 v[12:13], -v[6:7], v[8:9], 1.0
	v_fmac_f64_e32 v[8:9], v[8:9], v[12:13]
	v_fma_f64 v[12:13], -v[6:7], v[8:9], 1.0
	v_fmac_f64_e32 v[8:9], v[8:9], v[12:13]
	v_div_scale_f64 v[12:13], vcc, 1.0, v[4:5], 1.0
	v_mul_f64 v[14:15], v[12:13], v[8:9]
	v_fma_f64 v[6:7], -v[6:7], v[14:15], v[12:13]
	v_mov_b32_e32 v12, 0xde416957
	s_nop 0
	v_div_fmas_f64 v[6:7], v[6:7], v[8:9], v[14:15]
	v_div_fixup_f64 v[4:5], v[6:7], v[4:5], 1.0
	v_mov_b32_e32 v13, 0x40400661
	v_fmac_f64_e32 v[12:13], s[0:1], v[4:5]
	v_mul_f64 v[6:7], v[12:13], s[8:9]
	v_rndne_f64_e32 v[14:15], v[6:7]
	s_mov_b32 s0, 0xfca7ab0c
	v_fma_f64 v[16:17], s[2:3], v[14:15], v[12:13]
	s_mov_b32 s1, 0x3e928af3
	v_fmac_f64_e32 v[16:17], s[4:5], v[14:15]
	v_mov_b64_e32 v[6:7], s[0:1]
	v_fma_f64 v[18:19], s[10:11], v[16:17], v[6:7]
	v_fma_f64 v[18:19], v[16:17], v[18:19], s[12:13]
	;; [unrolled: 1-line block ×9, first 2 shown]
	v_fma_f64 v[18:19], v[16:17], v[18:19], 1.0
	v_fma_f64 v[16:17], v[16:17], v[18:19], 1.0
	v_cvt_i32_f64_e32 v14, v[14:15]
	v_ldexp_f64 v[14:15], v[16:17], v14
	v_cmp_nlt_f64_e32 vcc, s[28:29], v[12:13]
	v_cmp_ngt_f64_e64 s[0:1], s[30:31], v[12:13]
	v_mul_f64 v[8:9], v[4:5], v[4:5]
	v_cndmask_b32_e32 v15, v20, v15, vcc
	s_and_b64 vcc, s[0:1], vcc
	v_cndmask_b32_e32 v12, 0, v14, vcc
	v_cndmask_b32_e64 v13, 0, v15, s[0:1]
	global_store_dwordx2 v[10:11], v[12:13], off
	v_mov_b32_e32 v10, 0xfb38f0e2
	v_mov_b32_e32 v11, 0x4025a3b9
	s_mov_b32 s0, 0x36cdf267
	v_fmac_f64_e32 v[10:11], s[34:35], v[2:3]
	s_mov_b32 s1, 0xc0a8ba77
	v_fmac_f64_e32 v[10:11], s[0:1], v[4:5]
	v_mul_f64 v[12:13], v[10:11], s[8:9]
	v_rndne_f64_e32 v[12:13], v[12:13]
	v_fma_f64 v[14:15], s[2:3], v[12:13], v[10:11]
	v_fmac_f64_e32 v[14:15], s[4:5], v[12:13]
	v_fma_f64 v[16:17], s[10:11], v[14:15], v[6:7]
	v_fma_f64 v[16:17], v[14:15], v[16:17], s[12:13]
	;; [unrolled: 1-line block ×9, first 2 shown]
	v_fma_f64 v[16:17], v[14:15], v[16:17], 1.0
	v_fma_f64 v[14:15], v[14:15], v[16:17], 1.0
	v_cvt_i32_f64_e32 v12, v[12:13]
	v_ldexp_f64 v[12:13], v[14:15], v12
	v_cmp_nlt_f64_e32 vcc, s[28:29], v[10:11]
	v_cmp_ngt_f64_e64 s[0:1], s[30:31], v[10:11]
	s_lshl_b32 s35, s33, 1
	v_cndmask_b32_e32 v13, v20, v13, vcc
	s_and_b64 vcc, s[0:1], vcc
	v_cndmask_b32_e32 v10, 0, v12, vcc
	v_cndmask_b32_e64 v11, 0, v13, s[0:1]
	v_lshl_add_u64 v[12:13], v[0:1], 3, s[6:7]
	global_store_dwordx2 v[12:13], v[10:11], off
	v_mov_b32_e32 v10, 0x8c436fc1
	v_mov_b32_e32 v11, 0x403330d7
	s_mov_b32 s0, 0xf75104d5
	v_fmac_f64_e32 v[10:11], s[40:41], v[2:3]
	s_mov_b32 s1, 0xc09af821
	v_fmac_f64_e32 v[10:11], s[0:1], v[4:5]
	v_mul_f64 v[12:13], v[10:11], s[8:9]
	v_rndne_f64_e32 v[12:13], v[12:13]
	v_fma_f64 v[14:15], s[2:3], v[12:13], v[10:11]
	v_fmac_f64_e32 v[14:15], s[4:5], v[12:13]
	v_fma_f64 v[16:17], s[10:11], v[14:15], v[6:7]
	v_fma_f64 v[16:17], v[14:15], v[16:17], s[12:13]
	;; [unrolled: 1-line block ×9, first 2 shown]
	v_fma_f64 v[16:17], v[14:15], v[16:17], 1.0
	v_fma_f64 v[14:15], v[14:15], v[16:17], 1.0
	v_cvt_i32_f64_e32 v12, v[12:13]
	v_ldexp_f64 v[12:13], v[14:15], v12
	v_cmp_nlt_f64_e32 vcc, s[28:29], v[10:11]
	v_cmp_ngt_f64_e64 s[0:1], s[30:31], v[10:11]
	v_add_u32_e32 v0, s33, v0
	v_cndmask_b32_e32 v13, v20, v13, vcc
	s_and_b64 vcc, s[0:1], vcc
	v_cndmask_b32_e32 v10, 0, v12, vcc
	v_cndmask_b32_e64 v11, 0, v13, s[0:1]
	v_lshl_add_u64 v[12:13], v[0:1], 3, s[6:7]
	global_store_dwordx2 v[12:13], v[10:11], off
	v_mov_b32_e32 v10, 0x748a1598
	v_mov_b32_e32 v11, 0x4024f73f
	s_mov_b32 s0, 0xfe47992
	v_fmac_f64_e32 v[10:11], s[38:39], v[2:3]
	s_mov_b32 s1, 0x40909726
	v_fmac_f64_e32 v[10:11], s[0:1], v[4:5]
	v_mul_f64 v[12:13], v[10:11], s[8:9]
	v_rndne_f64_e32 v[12:13], v[12:13]
	v_fma_f64 v[14:15], s[2:3], v[12:13], v[10:11]
	v_fmac_f64_e32 v[14:15], s[4:5], v[12:13]
	v_fma_f64 v[16:17], s[10:11], v[14:15], v[6:7]
	v_fma_f64 v[16:17], v[14:15], v[16:17], s[12:13]
	;; [unrolled: 1-line block ×9, first 2 shown]
	v_fma_f64 v[16:17], v[14:15], v[16:17], 1.0
	v_fma_f64 v[14:15], v[14:15], v[16:17], 1.0
	v_cvt_i32_f64_e32 v12, v[12:13]
	v_ldexp_f64 v[12:13], v[14:15], v12
	v_cmp_nlt_f64_e32 vcc, s[28:29], v[10:11]
	v_cmp_ngt_f64_e64 s[0:1], s[30:31], v[10:11]
	v_add_u32_e32 v0, s33, v0
	v_cndmask_b32_e32 v13, v20, v13, vcc
	s_and_b64 vcc, s[0:1], vcc
	v_cndmask_b32_e32 v10, 0, v12, vcc
	v_cndmask_b32_e64 v11, 0, v13, s[0:1]
	v_lshl_add_u64 v[12:13], v[0:1], 3, s[6:7]
	v_add_u32_e32 v0, s33, v0
	global_store_dwordx2 v[12:13], v[10:11], off
	v_mul_f64 v[10:11], v[4:5], s[36:37]
	v_lshl_add_u64 v[12:13], v[0:1], 3, s[6:7]
	global_store_dwordx2 v[12:13], v[10:11], off
	v_mov_b32_e32 v10, 0x63aaca44
	v_mov_b32_e32 v11, 0x404384f0
	s_mov_b32 s39, 0xbfe33333
	v_fmac_f64_e32 v[10:11], s[38:39], v[2:3]
	v_mul_f64 v[12:13], v[10:11], s[8:9]
	v_rndne_f64_e32 v[12:13], v[12:13]
	v_fma_f64 v[14:15], s[2:3], v[12:13], v[10:11]
	v_fmac_f64_e32 v[14:15], s[4:5], v[12:13]
	v_fma_f64 v[16:17], s[10:11], v[14:15], v[6:7]
	v_fma_f64 v[16:17], v[14:15], v[16:17], s[12:13]
	;; [unrolled: 1-line block ×9, first 2 shown]
	v_fma_f64 v[16:17], v[14:15], v[16:17], 1.0
	v_fma_f64 v[14:15], v[14:15], v[16:17], 1.0
	v_cvt_i32_f64_e32 v12, v[12:13]
	v_ldexp_f64 v[12:13], v[14:15], v12
	v_cmp_nlt_f64_e32 vcc, s[28:29], v[10:11]
	v_cmp_ngt_f64_e64 s[0:1], s[30:31], v[10:11]
	v_add_u32_e32 v0, s33, v0
	v_cndmask_b32_e32 v13, v20, v13, vcc
	s_and_b64 vcc, s[0:1], vcc
	v_cndmask_b32_e32 v10, 0, v12, vcc
	v_cndmask_b32_e64 v11, 0, v13, s[0:1]
	v_lshl_add_u64 v[12:13], v[0:1], 3, s[6:7]
	global_store_dwordx2 v[12:13], v[10:11], off
	v_mov_b32_e32 v10, 0x6e6b17a6
	v_mov_b32_e32 v11, 0x4046c53b
	v_fmac_f64_e32 v[10:11], 0xbff40000, v[2:3]
	v_mul_f64 v[12:13], v[10:11], s[8:9]
	v_rndne_f64_e32 v[12:13], v[12:13]
	v_fma_f64 v[14:15], s[2:3], v[12:13], v[10:11]
	v_fmac_f64_e32 v[14:15], s[4:5], v[12:13]
	v_fma_f64 v[16:17], s[10:11], v[14:15], v[6:7]
	v_fma_f64 v[16:17], v[14:15], v[16:17], s[12:13]
	;; [unrolled: 1-line block ×9, first 2 shown]
	v_fma_f64 v[16:17], v[14:15], v[16:17], 1.0
	v_fma_f64 v[14:15], v[14:15], v[16:17], 1.0
	v_cvt_i32_f64_e32 v12, v[12:13]
	v_ldexp_f64 v[12:13], v[14:15], v12
	v_cmp_nlt_f64_e32 vcc, s[28:29], v[10:11]
	v_cmp_ngt_f64_e64 s[0:1], s[30:31], v[10:11]
	v_add_u32_e32 v0, s33, v0
	v_cndmask_b32_e32 v13, v20, v13, vcc
	s_and_b64 vcc, s[0:1], vcc
	v_cndmask_b32_e64 v11, 0, v13, s[0:1]
	s_mov_b32 s0, 0x85f9a0d8
	v_cndmask_b32_e32 v10, 0, v12, vcc
	v_lshl_add_u64 v[12:13], v[0:1], 3, s[6:7]
	s_mov_b32 s1, 0x443dd0c8
	global_store_dwordx2 v[12:13], v[10:11], off
	v_mul_f64 v[10:11], v[8:9], s[0:1]
	v_add_u32_e32 v0, s33, v0
	s_mov_b32 s0, 0x53bc0487
	v_lshl_add_u64 v[12:13], v[0:1], 3, s[6:7]
	s_mov_b32 s1, 0x4492a27d
	v_add_u32_e32 v0, s33, v0
	global_store_dwordx2 v[12:13], v[10:11], off
	v_mul_f64 v[8:9], v[8:9], s[0:1]
	v_lshl_add_u64 v[10:11], v[0:1], 3, s[6:7]
	s_mov_b32 s37, 0x439bc16d
	v_add_u32_e32 v0, s33, v0
	s_mov_b32 s0, 0xd3d0c000
	global_store_dwordx2 v[10:11], v[8:9], off
	v_mul_f64 v[8:9], v[4:5], s[36:37]
	v_lshl_add_u64 v[10:11], v[0:1], 3, s[6:7]
	s_mov_b32 s1, 0x437aa535
	v_add_u32_e32 v0, s33, v0
	global_store_dwordx2 v[10:11], v[8:9], off
	v_mul_f64 v[8:9], v[4:5], s[0:1]
	v_lshl_add_u64 v[10:11], v[0:1], 3, s[6:7]
	global_store_dwordx2 v[10:11], v[8:9], off
	v_mov_b32_e32 v8, 0x84ed3a2b
	v_mov_b32_e32 v9, 0x40453cf2
	s_mov_b32 s37, 0xbfeb851e
	s_mov_b32 s36, 0xb851eb85
	v_fmac_f64_e32 v[8:9], s[36:37], v[2:3]
	v_mul_f64 v[10:11], v[8:9], s[8:9]
	v_rndne_f64_e32 v[10:11], v[10:11]
	v_fma_f64 v[12:13], s[2:3], v[10:11], v[8:9]
	v_fmac_f64_e32 v[12:13], s[4:5], v[10:11]
	v_fma_f64 v[14:15], s[10:11], v[12:13], v[6:7]
	v_fma_f64 v[14:15], v[12:13], v[14:15], s[12:13]
	;; [unrolled: 1-line block ×9, first 2 shown]
	v_fma_f64 v[14:15], v[12:13], v[14:15], 1.0
	v_fma_f64 v[12:13], v[12:13], v[14:15], 1.0
	v_cvt_i32_f64_e32 v10, v[10:11]
	v_ldexp_f64 v[10:11], v[12:13], v10
	v_cmp_nlt_f64_e32 vcc, s[28:29], v[8:9]
	v_cmp_ngt_f64_e64 s[0:1], s[30:31], v[8:9]
	v_add_u32_e32 v0, s33, v0
	v_cndmask_b32_e32 v11, v20, v11, vcc
	s_and_b64 vcc, s[0:1], vcc
	v_cndmask_b32_e32 v8, 0, v10, vcc
	v_cndmask_b32_e64 v9, 0, v11, s[0:1]
	v_lshl_add_u64 v[10:11], v[0:1], 3, s[6:7]
	global_store_dwordx2 v[10:11], v[8:9], off
	v_mov_b32_e32 v8, 0x7e0fd058
	v_mov_b32_e32 v9, 0x4047933d
	s_mov_b32 s37, 0xbffb851e
	v_fmac_f64_e32 v[8:9], s[36:37], v[2:3]
	v_mul_f64 v[10:11], v[8:9], s[8:9]
	v_rndne_f64_e32 v[10:11], v[10:11]
	v_fma_f64 v[12:13], s[2:3], v[10:11], v[8:9]
	v_fmac_f64_e32 v[12:13], s[4:5], v[10:11]
	v_fma_f64 v[14:15], s[10:11], v[12:13], v[6:7]
	v_fma_f64 v[14:15], v[12:13], v[14:15], s[12:13]
	;; [unrolled: 1-line block ×9, first 2 shown]
	v_fma_f64 v[14:15], v[12:13], v[14:15], 1.0
	v_fma_f64 v[12:13], v[12:13], v[14:15], 1.0
	v_cvt_i32_f64_e32 v10, v[10:11]
	v_ldexp_f64 v[10:11], v[12:13], v10
	v_cmp_nlt_f64_e32 vcc, s[28:29], v[8:9]
	v_cmp_ngt_f64_e64 s[0:1], s[30:31], v[8:9]
	v_add_u32_e32 v0, s33, v0
	v_cndmask_b32_e32 v11, v20, v11, vcc
	s_and_b64 vcc, s[0:1], vcc
	v_cndmask_b32_e32 v8, 0, v10, vcc
	v_cndmask_b32_e64 v9, 0, v11, s[0:1]
	v_lshl_add_u64 v[10:11], v[0:1], 3, s[6:7]
	s_mov_b32 s0, 0x851eb852
	global_store_dwordx2 v[10:11], v[8:9], off
	v_mov_b32_e32 v8, 0x27fd750b
	v_mov_b32_e32 v9, 0x40462024
	s_mov_b32 s1, 0xbfe851eb
	v_fmac_f64_e32 v[8:9], s[0:1], v[2:3]
	v_mul_f64 v[10:11], v[8:9], s[8:9]
	v_rndne_f64_e32 v[10:11], v[10:11]
	v_fma_f64 v[12:13], s[2:3], v[10:11], v[8:9]
	v_fmac_f64_e32 v[12:13], s[4:5], v[10:11]
	v_fma_f64 v[14:15], s[10:11], v[12:13], v[6:7]
	v_fma_f64 v[14:15], v[12:13], v[14:15], s[12:13]
	;; [unrolled: 1-line block ×9, first 2 shown]
	v_fma_f64 v[14:15], v[12:13], v[14:15], 1.0
	v_fma_f64 v[12:13], v[12:13], v[14:15], 1.0
	v_cvt_i32_f64_e32 v10, v[10:11]
	v_ldexp_f64 v[10:11], v[12:13], v10
	v_cmp_nlt_f64_e32 vcc, s[28:29], v[8:9]
	v_cmp_ngt_f64_e64 s[0:1], s[30:31], v[8:9]
	v_add_u32_e32 v0, s33, v0
	v_cndmask_b32_e32 v11, v20, v11, vcc
	s_and_b64 vcc, s[0:1], vcc
	v_cndmask_b32_e32 v8, 0, v10, vcc
	v_cndmask_b32_e64 v9, 0, v11, s[0:1]
	v_lshl_add_u64 v[10:11], v[0:1], 3, s[6:7]
	global_store_dwordx2 v[10:11], v[8:9], off
	v_mov_b32_e32 v8, 0x41c16b70
	v_mov_b32_e32 v9, 0x40465a31
	s_mov_b32 s37, 0xbff3d70a
	s_mov_b32 s36, 0x3d70a3d7
	v_fmac_f64_e32 v[8:9], s[36:37], v[2:3]
	v_mul_f64 v[10:11], v[8:9], s[8:9]
	v_rndne_f64_e32 v[10:11], v[10:11]
	v_fma_f64 v[12:13], s[2:3], v[10:11], v[8:9]
	v_fmac_f64_e32 v[12:13], s[4:5], v[10:11]
	v_fma_f64 v[14:15], s[10:11], v[12:13], v[6:7]
	v_fma_f64 v[14:15], v[12:13], v[14:15], s[12:13]
	;; [unrolled: 1-line block ×9, first 2 shown]
	v_fma_f64 v[14:15], v[12:13], v[14:15], 1.0
	v_fma_f64 v[12:13], v[12:13], v[14:15], 1.0
	v_cvt_i32_f64_e32 v10, v[10:11]
	v_ldexp_f64 v[10:11], v[12:13], v10
	v_cmp_nlt_f64_e32 vcc, s[28:29], v[8:9]
	v_cmp_ngt_f64_e64 s[0:1], s[30:31], v[8:9]
	v_add_u32_e32 v0, s33, v0
	v_cndmask_b32_e32 v11, v20, v11, vcc
	s_and_b64 vcc, s[0:1], vcc
	v_cndmask_b32_e32 v8, 0, v10, vcc
	v_cndmask_b32_e64 v9, 0, v11, s[0:1]
	v_lshl_add_u64 v[10:11], v[0:1], 3, s[6:7]
	global_store_dwordx2 v[10:11], v[8:9], off
	v_mov_b32_e32 v8, 0xcf27f0e0
	v_mov_b32_e32 v9, 0x403fef61
	s_mov_b32 s39, 0xbfd7ae14
	s_mov_b32 s38, 0x7ae147ae
	v_fmac_f64_e32 v[8:9], s[38:39], v[2:3]
	v_mul_f64 v[10:11], v[8:9], s[8:9]
	v_rndne_f64_e32 v[10:11], v[10:11]
	v_fma_f64 v[12:13], s[2:3], v[10:11], v[8:9]
	v_fmac_f64_e32 v[12:13], s[4:5], v[10:11]
	v_fma_f64 v[14:15], s[10:11], v[12:13], v[6:7]
	v_fma_f64 v[14:15], v[12:13], v[14:15], s[12:13]
	;; [unrolled: 1-line block ×9, first 2 shown]
	v_fma_f64 v[14:15], v[12:13], v[14:15], 1.0
	v_fma_f64 v[12:13], v[12:13], v[14:15], 1.0
	v_cvt_i32_f64_e32 v10, v[10:11]
	v_ldexp_f64 v[10:11], v[12:13], v10
	v_cmp_nlt_f64_e32 vcc, s[28:29], v[8:9]
	v_cmp_ngt_f64_e64 s[0:1], s[30:31], v[8:9]
	v_add_u32_e32 v0, s33, v0
	v_cndmask_b32_e32 v11, v20, v11, vcc
	s_and_b64 vcc, s[0:1], vcc
	v_cndmask_b32_e32 v8, 0, v10, vcc
	v_cndmask_b32_e64 v9, 0, v11, s[0:1]
	v_lshl_add_u64 v[10:11], v[0:1], 3, s[6:7]
	s_mov_b32 s0, 0xbda9435b
	global_store_dwordx2 v[10:11], v[8:9], off
	v_mov_b32_e32 v8, 0x69f7eb5f
	v_mov_b32_e32 v9, 0x403d0281
	s_mov_b32 s1, 0xc0751a88
	v_fmac_f64_e32 v[8:9], s[0:1], v[4:5]
	v_mul_f64 v[10:11], v[8:9], s[8:9]
	v_rndne_f64_e32 v[10:11], v[10:11]
	v_fma_f64 v[12:13], s[2:3], v[10:11], v[8:9]
	v_fmac_f64_e32 v[12:13], s[4:5], v[10:11]
	v_fma_f64 v[14:15], s[10:11], v[12:13], v[6:7]
	v_fma_f64 v[14:15], v[12:13], v[14:15], s[12:13]
	;; [unrolled: 1-line block ×9, first 2 shown]
	v_fma_f64 v[14:15], v[12:13], v[14:15], 1.0
	v_fma_f64 v[12:13], v[12:13], v[14:15], 1.0
	v_cvt_i32_f64_e32 v10, v[10:11]
	v_ldexp_f64 v[10:11], v[12:13], v10
	v_cmp_nlt_f64_e32 vcc, s[28:29], v[8:9]
	v_cmp_ngt_f64_e64 s[0:1], s[30:31], v[8:9]
	v_add_u32_e32 v0, s33, v0
	v_cndmask_b32_e32 v11, v20, v11, vcc
	s_and_b64 vcc, s[0:1], vcc
	v_cndmask_b32_e32 v8, 0, v10, vcc
	v_cndmask_b32_e64 v9, 0, v11, s[0:1]
	v_lshl_add_u64 v[10:11], v[0:1], 3, s[6:7]
	s_mov_b32 s0, 0xe24febd1
	global_store_dwordx2 v[10:11], v[8:9], off
	v_mov_b32_e32 v8, 0x9d39614b
	v_mov_b32_e32 v9, 0x403e70bf
	s_mov_b32 s1, 0xc079ca33
	v_fmac_f64_e32 v[8:9], s[0:1], v[4:5]
	v_mul_f64 v[10:11], v[8:9], s[8:9]
	v_rndne_f64_e32 v[10:11], v[10:11]
	v_fma_f64 v[12:13], s[2:3], v[10:11], v[8:9]
	v_fmac_f64_e32 v[12:13], s[4:5], v[10:11]
	v_fma_f64 v[14:15], s[10:11], v[12:13], v[6:7]
	v_fma_f64 v[14:15], v[12:13], v[14:15], s[12:13]
	;; [unrolled: 1-line block ×9, first 2 shown]
	v_fma_f64 v[14:15], v[12:13], v[14:15], 1.0
	v_fma_f64 v[12:13], v[12:13], v[14:15], 1.0
	v_cvt_i32_f64_e32 v10, v[10:11]
	v_ldexp_f64 v[10:11], v[12:13], v10
	v_cmp_nlt_f64_e32 vcc, s[28:29], v[8:9]
	v_cmp_ngt_f64_e64 s[0:1], s[30:31], v[8:9]
	v_add_u32_e32 v0, s33, v0
	v_cndmask_b32_e32 v11, v20, v11, vcc
	s_and_b64 vcc, s[0:1], vcc
	v_cndmask_b32_e32 v8, 0, v10, vcc
	v_cndmask_b32_e64 v9, 0, v11, s[0:1]
	v_lshl_add_u64 v[10:11], v[0:1], 3, s[6:7]
	global_store_dwordx2 v[10:11], v[8:9], off
	v_mov_b32_e32 v8, 0xb7de283f
	v_mov_b32_e32 v9, 0x403fe410
	v_fmac_f64_e32 v[8:9], s[60:61], v[4:5]
	v_mul_f64 v[10:11], v[8:9], s[8:9]
	v_rndne_f64_e32 v[10:11], v[10:11]
	v_fma_f64 v[12:13], s[2:3], v[10:11], v[8:9]
	v_fmac_f64_e32 v[12:13], s[4:5], v[10:11]
	v_fma_f64 v[14:15], s[10:11], v[12:13], v[6:7]
	v_fma_f64 v[14:15], v[12:13], v[14:15], s[12:13]
	;; [unrolled: 1-line block ×9, first 2 shown]
	v_fma_f64 v[14:15], v[12:13], v[14:15], 1.0
	v_fma_f64 v[12:13], v[12:13], v[14:15], 1.0
	v_cvt_i32_f64_e32 v10, v[10:11]
	v_ldexp_f64 v[10:11], v[12:13], v10
	v_cmp_nlt_f64_e32 vcc, s[28:29], v[8:9]
	v_cmp_ngt_f64_e64 s[0:1], s[30:31], v[8:9]
	v_add_u32_e32 v0, s33, v0
	v_cndmask_b32_e32 v11, v20, v11, vcc
	s_and_b64 vcc, s[0:1], vcc
	v_cndmask_b32_e32 v8, 0, v10, vcc
	v_cndmask_b32_e64 v9, 0, v11, s[0:1]
	v_lshl_add_u64 v[10:11], v[0:1], 3, s[6:7]
	v_add_u32_e32 v0, s33, v0
	global_store_dwordx2 v[10:11], v[8:9], off
	v_lshl_add_u64 v[8:9], v[0:1], 3, s[6:7]
	global_store_dwordx2 v[8:9], v[24:25], off
	v_mov_b32_e32 v8, 0xdbdd0b08
	v_mov_b32_e32 v9, 0x403f77e3
	v_fmac_f64_e32 v[8:9], s[56:57], v[4:5]
	v_mul_f64 v[10:11], v[8:9], s[8:9]
	v_rndne_f64_e32 v[10:11], v[10:11]
	v_fma_f64 v[12:13], s[2:3], v[10:11], v[8:9]
	v_fmac_f64_e32 v[12:13], s[4:5], v[10:11]
	v_fma_f64 v[14:15], s[10:11], v[12:13], v[6:7]
	v_fma_f64 v[14:15], v[12:13], v[14:15], s[12:13]
	;; [unrolled: 1-line block ×9, first 2 shown]
	v_fma_f64 v[14:15], v[12:13], v[14:15], 1.0
	v_fma_f64 v[12:13], v[12:13], v[14:15], 1.0
	v_cvt_i32_f64_e32 v10, v[10:11]
	v_ldexp_f64 v[10:11], v[12:13], v10
	v_cmp_nlt_f64_e32 vcc, s[28:29], v[8:9]
	v_cmp_ngt_f64_e64 s[0:1], s[30:31], v[8:9]
	v_add_u32_e32 v0, s33, v0
	v_cndmask_b32_e32 v11, v20, v11, vcc
	s_and_b64 vcc, s[0:1], vcc
	v_cndmask_b32_e32 v8, 0, v10, vcc
	v_cndmask_b32_e64 v9, 0, v11, s[0:1]
	v_lshl_add_u64 v[10:11], v[0:1], 3, s[6:7]
	s_mov_b32 s0, 0x2107b78
	global_store_dwordx2 v[10:11], v[8:9], off
	v_mov_b32_e32 v8, 0xb03ef78d
	v_mov_b32_e32 v9, 0x4039973e
	s_mov_b32 s1, 0x4089a1f2
	v_fmac_f64_e32 v[8:9], s[0:1], v[4:5]
	v_mul_f64 v[10:11], v[8:9], s[8:9]
	v_rndne_f64_e32 v[10:11], v[10:11]
	v_fma_f64 v[12:13], s[2:3], v[10:11], v[8:9]
	v_fmac_f64_e32 v[12:13], s[4:5], v[10:11]
	v_fma_f64 v[14:15], s[10:11], v[12:13], v[6:7]
	v_fma_f64 v[14:15], v[12:13], v[14:15], s[12:13]
	;; [unrolled: 1-line block ×9, first 2 shown]
	v_fma_f64 v[14:15], v[12:13], v[14:15], 1.0
	v_fma_f64 v[12:13], v[12:13], v[14:15], 1.0
	v_cvt_i32_f64_e32 v10, v[10:11]
	v_ldexp_f64 v[10:11], v[12:13], v10
	v_cmp_nlt_f64_e32 vcc, s[28:29], v[8:9]
	v_cmp_ngt_f64_e64 s[0:1], s[30:31], v[8:9]
	v_add_u32_e32 v0, s33, v0
	v_cndmask_b32_e32 v11, v20, v11, vcc
	s_and_b64 vcc, s[0:1], vcc
	v_cndmask_b32_e32 v8, 0, v10, vcc
	v_cndmask_b32_e64 v9, 0, v11, s[0:1]
	v_lshl_add_u64 v[10:11], v[0:1], 3, s[6:7]
	s_mov_b32 s0, 0x9a415f46
	global_store_dwordx2 v[10:11], v[8:9], off
	v_mov_b32_e32 v8, 0x5d8bcc51
	v_mov_b32_e32 v9, 0x4040d5ec
	s_mov_b32 s1, 0xc0b79699
	v_fmac_f64_e32 v[8:9], s[0:1], v[4:5]
	v_mul_f64 v[10:11], v[8:9], s[8:9]
	v_rndne_f64_e32 v[10:11], v[10:11]
	v_fma_f64 v[12:13], s[2:3], v[10:11], v[8:9]
	v_fmac_f64_e32 v[12:13], s[4:5], v[10:11]
	v_fma_f64 v[14:15], s[10:11], v[12:13], v[6:7]
	v_fma_f64 v[14:15], v[12:13], v[14:15], s[12:13]
	;; [unrolled: 1-line block ×9, first 2 shown]
	v_fma_f64 v[14:15], v[12:13], v[14:15], 1.0
	v_fma_f64 v[12:13], v[12:13], v[14:15], 1.0
	v_cvt_i32_f64_e32 v10, v[10:11]
	v_ldexp_f64 v[10:11], v[12:13], v10
	v_cmp_nlt_f64_e32 vcc, s[28:29], v[8:9]
	v_cmp_ngt_f64_e64 s[0:1], s[30:31], v[8:9]
	v_add_u32_e32 v0, s33, v0
	v_cndmask_b32_e32 v11, v20, v11, vcc
	s_and_b64 vcc, s[0:1], vcc
	v_cndmask_b32_e32 v8, 0, v10, vcc
	v_cndmask_b32_e64 v9, 0, v11, s[0:1]
	v_lshl_add_u64 v[10:11], v[0:1], 3, s[6:7]
	global_store_dwordx2 v[10:11], v[8:9], off
	v_mov_b32_e32 v8, 0x303c07f
	v_mov_b32_e32 v9, 0x40304f08
	s_mov_b32 s0, 0xe1719f8
	v_fmac_f64_e32 v[8:9], 2.0, v[2:3]
	s_mov_b32 s1, 0xc0a47174
	v_fmac_f64_e32 v[8:9], s[0:1], v[4:5]
	v_mul_f64 v[10:11], v[8:9], s[8:9]
	v_rndne_f64_e32 v[10:11], v[10:11]
	v_fma_f64 v[14:15], s[2:3], v[10:11], v[8:9]
	v_fmac_f64_e32 v[14:15], s[4:5], v[10:11]
	v_fma_f64 v[16:17], s[10:11], v[14:15], v[6:7]
	v_fma_f64 v[16:17], v[14:15], v[16:17], s[12:13]
	;; [unrolled: 1-line block ×9, first 2 shown]
	v_fma_f64 v[16:17], v[14:15], v[16:17], 1.0
	v_fma_f64 v[14:15], v[14:15], v[16:17], 1.0
	v_cvt_i32_f64_e32 v10, v[10:11]
	v_ldexp_f64 v[10:11], v[14:15], v10
	v_cmp_nlt_f64_e32 vcc, s[28:29], v[8:9]
	v_cmp_ngt_f64_e64 s[0:1], s[30:31], v[8:9]
	v_add_u32_e32 v0, s33, v0
	v_cndmask_b32_e32 v11, v20, v11, vcc
	s_and_b64 vcc, s[0:1], vcc
	v_cndmask_b32_e32 v8, 0, v10, vcc
	v_cndmask_b32_e64 v9, 0, v11, s[0:1]
	v_lshl_add_u64 v[10:11], v[0:1], 3, s[6:7]
	global_store_dwordx2 v[10:11], v[8:9], off
	v_mov_b32_e32 v8, 0xd0e057c4
	v_mov_b32_e32 v9, 0x403def00
	v_fmac_f64_e32 v[8:9], s[42:43], v[4:5]
	v_mul_f64 v[10:11], v[8:9], s[8:9]
	v_rndne_f64_e32 v[10:11], v[10:11]
	v_fma_f64 v[14:15], s[2:3], v[10:11], v[8:9]
	v_fmac_f64_e32 v[14:15], s[4:5], v[10:11]
	v_fma_f64 v[16:17], s[10:11], v[14:15], v[6:7]
	v_fma_f64 v[16:17], v[14:15], v[16:17], s[12:13]
	;; [unrolled: 1-line block ×9, first 2 shown]
	v_fma_f64 v[16:17], v[14:15], v[16:17], 1.0
	v_fma_f64 v[14:15], v[14:15], v[16:17], 1.0
	v_cvt_i32_f64_e32 v10, v[10:11]
	v_ldexp_f64 v[10:11], v[14:15], v10
	v_cmp_nlt_f64_e32 vcc, s[28:29], v[8:9]
	v_cmp_ngt_f64_e64 s[0:1], s[30:31], v[8:9]
	v_add_u32_e32 v0, s33, v0
	v_cndmask_b32_e32 v11, v20, v11, vcc
	s_and_b64 vcc, s[0:1], vcc
	v_cndmask_b32_e32 v8, 0, v10, vcc
	v_cndmask_b32_e64 v9, 0, v11, s[0:1]
	v_lshl_add_u64 v[10:11], v[0:1], 3, s[6:7]
	global_store_dwordx2 v[10:11], v[8:9], off
	v_mov_b32_e32 v8, 0xb025cd19
	v_mov_b32_e32 v9, 0x40301494
	v_fmac_f64_e32 v[8:9], 2.0, v[2:3]
	v_fmac_f64_e32 v[8:9], s[50:51], v[4:5]
	v_mul_f64 v[10:11], v[8:9], s[8:9]
	v_rndne_f64_e32 v[10:11], v[10:11]
	v_fma_f64 v[14:15], s[2:3], v[10:11], v[8:9]
	v_fmac_f64_e32 v[14:15], s[4:5], v[10:11]
	v_fma_f64 v[16:17], s[10:11], v[14:15], v[6:7]
	v_fma_f64 v[16:17], v[14:15], v[16:17], s[12:13]
	;; [unrolled: 1-line block ×9, first 2 shown]
	v_fma_f64 v[16:17], v[14:15], v[16:17], 1.0
	v_fma_f64 v[14:15], v[14:15], v[16:17], 1.0
	v_cvt_i32_f64_e32 v10, v[10:11]
	v_ldexp_f64 v[10:11], v[14:15], v10
	v_cmp_nlt_f64_e32 vcc, s[28:29], v[8:9]
	v_cmp_ngt_f64_e64 s[0:1], s[30:31], v[8:9]
	v_add_u32_e32 v0, s33, v0
	v_cndmask_b32_e32 v11, v20, v11, vcc
	s_and_b64 vcc, s[0:1], vcc
	v_cndmask_b32_e64 v9, 0, v11, s[0:1]
	s_mov_b32 s0, 0x9472e92c
	v_cndmask_b32_e32 v8, 0, v10, vcc
	v_lshl_add_u64 v[10:11], v[0:1], 3, s[6:7]
	s_mov_b32 s1, 0x403c30cd
	global_store_dwordx2 v[10:11], v[8:9], off
	v_mov_b64_e32 v[10:11], s[0:1]
	v_fma_f64 v[8:9], s[46:47], v[4:5], v[10:11]
	v_mul_f64 v[14:15], v[8:9], s[8:9]
	v_rndne_f64_e32 v[14:15], v[14:15]
	v_fma_f64 v[16:17], s[2:3], v[14:15], v[8:9]
	v_fmac_f64_e32 v[16:17], s[4:5], v[14:15]
	v_fma_f64 v[18:19], s[10:11], v[16:17], v[6:7]
	v_fma_f64 v[18:19], v[16:17], v[18:19], s[12:13]
	;; [unrolled: 1-line block ×9, first 2 shown]
	v_fma_f64 v[18:19], v[16:17], v[18:19], 1.0
	v_fma_f64 v[16:17], v[16:17], v[18:19], 1.0
	v_cvt_i32_f64_e32 v14, v[14:15]
	v_ldexp_f64 v[14:15], v[16:17], v14
	v_cmp_nlt_f64_e32 vcc, s[28:29], v[8:9]
	v_cmp_ngt_f64_e64 s[0:1], s[30:31], v[8:9]
	v_add_u32_e32 v0, s33, v0
	v_cndmask_b32_e32 v15, v20, v15, vcc
	s_and_b64 vcc, s[0:1], vcc
	v_cndmask_b32_e32 v8, 0, v14, vcc
	v_cndmask_b32_e64 v9, 0, v15, s[0:1]
	v_lshl_add_u64 v[14:15], v[0:1], 3, s[6:7]
	s_mov_b32 s0, 0x57d1782d
	global_store_dwordx2 v[14:15], v[8:9], off
	v_mov_b32_e32 v8, 0x1124eb7
	v_mov_b32_e32 v9, 0x4040ff3d
	s_mov_b32 s1, 0xc0b2cac0
	v_fmac_f64_e32 v[8:9], s[0:1], v[4:5]
	v_mul_f64 v[14:15], v[8:9], s[8:9]
	v_rndne_f64_e32 v[14:15], v[14:15]
	v_fma_f64 v[16:17], s[2:3], v[14:15], v[8:9]
	v_fmac_f64_e32 v[16:17], s[4:5], v[14:15]
	v_fma_f64 v[18:19], s[10:11], v[16:17], v[6:7]
	v_fma_f64 v[18:19], v[16:17], v[18:19], s[12:13]
	;; [unrolled: 1-line block ×9, first 2 shown]
	v_fma_f64 v[18:19], v[16:17], v[18:19], 1.0
	v_fma_f64 v[16:17], v[16:17], v[18:19], 1.0
	v_cvt_i32_f64_e32 v14, v[14:15]
	v_ldexp_f64 v[14:15], v[16:17], v14
	v_cmp_nlt_f64_e32 vcc, s[28:29], v[8:9]
	v_cmp_ngt_f64_e64 s[0:1], s[30:31], v[8:9]
	v_add_u32_e32 v0, s33, v0
	v_cndmask_b32_e32 v15, v20, v15, vcc
	s_and_b64 vcc, s[0:1], vcc
	v_cndmask_b32_e32 v8, 0, v14, vcc
	v_cndmask_b32_e64 v9, 0, v15, s[0:1]
	v_lshl_add_u64 v[14:15], v[0:1], 3, s[6:7]
	global_store_dwordx2 v[14:15], v[8:9], off
	v_mov_b32_e32 v8, 0xefea0847
	v_mov_b32_e32 v9, 0x40410400
	v_fmac_f64_e32 v[8:9], s[66:67], v[4:5]
	v_mul_f64 v[14:15], v[8:9], s[8:9]
	v_rndne_f64_e32 v[14:15], v[14:15]
	v_fma_f64 v[16:17], s[2:3], v[14:15], v[8:9]
	v_fmac_f64_e32 v[16:17], s[4:5], v[14:15]
	v_fma_f64 v[18:19], s[10:11], v[16:17], v[6:7]
	v_fma_f64 v[18:19], v[16:17], v[18:19], s[12:13]
	;; [unrolled: 1-line block ×9, first 2 shown]
	v_fma_f64 v[18:19], v[16:17], v[18:19], 1.0
	v_fma_f64 v[16:17], v[16:17], v[18:19], 1.0
	v_cvt_i32_f64_e32 v14, v[14:15]
	v_ldexp_f64 v[14:15], v[16:17], v14
	v_cmp_nlt_f64_e32 vcc, s[28:29], v[8:9]
	v_cmp_ngt_f64_e64 s[0:1], s[30:31], v[8:9]
	v_add_u32_e32 v0, s33, v0
	v_cndmask_b32_e32 v15, v20, v15, vcc
	s_and_b64 vcc, s[0:1], vcc
	v_cndmask_b32_e32 v8, 0, v14, vcc
	v_cndmask_b32_e64 v9, 0, v15, s[0:1]
	v_lshl_add_u64 v[14:15], v[0:1], 3, s[6:7]
	s_mov_b32 s0, 0x53f7ced9
	global_store_dwordx2 v[14:15], v[8:9], off
	v_mov_b32_e32 v8, 0xe810f5f2
	v_mov_b32_e32 v9, 0x4031ada7
	s_mov_b32 s1, 0x3ff3a5e3
	v_fmac_f64_e32 v[8:9], s[0:1], v[2:3]
	s_mov_b32 s0, 0x432e52fa
	s_mov_b32 s1, 0xc0419cd2
	v_fmac_f64_e32 v[8:9], s[0:1], v[4:5]
	v_mul_f64 v[14:15], v[8:9], s[8:9]
	v_rndne_f64_e32 v[14:15], v[14:15]
	v_fma_f64 v[16:17], s[2:3], v[14:15], v[8:9]
	v_fmac_f64_e32 v[16:17], s[4:5], v[14:15]
	v_fma_f64 v[18:19], s[10:11], v[16:17], v[6:7]
	v_fma_f64 v[18:19], v[16:17], v[18:19], s[12:13]
	;; [unrolled: 1-line block ×9, first 2 shown]
	v_fma_f64 v[18:19], v[16:17], v[18:19], 1.0
	v_fma_f64 v[16:17], v[16:17], v[18:19], 1.0
	v_cvt_i32_f64_e32 v14, v[14:15]
	v_ldexp_f64 v[14:15], v[16:17], v14
	v_cmp_nlt_f64_e32 vcc, s[28:29], v[8:9]
	v_cmp_ngt_f64_e64 s[0:1], s[30:31], v[8:9]
	v_add_u32_e32 v0, s33, v0
	v_cndmask_b32_e32 v15, v20, v15, vcc
	s_and_b64 vcc, s[0:1], vcc
	v_cndmask_b32_e32 v8, 0, v14, vcc
	v_cndmask_b32_e64 v9, 0, v15, s[0:1]
	v_lshl_add_u64 v[14:15], v[0:1], 3, s[6:7]
	global_store_dwordx2 v[14:15], v[8:9], off
	v_mov_b32_e32 v8, 0x4ffbc0d6
	v_mov_b32_e32 v9, 0x403193a3
	s_mov_b32 s0, 0x7e90ff97
	v_fmac_f64_e32 v[8:9], 0x3ff80000, v[2:3]
	s_mov_b32 s1, 0xc0e38f01
	v_fmac_f64_e32 v[8:9], s[0:1], v[4:5]
	v_mul_f64 v[14:15], v[8:9], s[8:9]
	v_rndne_f64_e32 v[14:15], v[14:15]
	v_fma_f64 v[16:17], s[2:3], v[14:15], v[8:9]
	v_fmac_f64_e32 v[16:17], s[4:5], v[14:15]
	v_fma_f64 v[18:19], s[10:11], v[16:17], v[6:7]
	v_fma_f64 v[18:19], v[16:17], v[18:19], s[12:13]
	;; [unrolled: 1-line block ×9, first 2 shown]
	v_fma_f64 v[18:19], v[16:17], v[18:19], 1.0
	v_fma_f64 v[16:17], v[16:17], v[18:19], 1.0
	v_cvt_i32_f64_e32 v14, v[14:15]
	v_ldexp_f64 v[14:15], v[16:17], v14
	v_cmp_nlt_f64_e32 vcc, s[28:29], v[8:9]
	v_cmp_ngt_f64_e64 s[0:1], s[30:31], v[8:9]
	v_add_u32_e32 v0, s33, v0
	v_cndmask_b32_e32 v15, v20, v15, vcc
	s_and_b64 vcc, s[0:1], vcc
	v_cndmask_b32_e32 v8, 0, v14, vcc
	v_cndmask_b32_e64 v9, 0, v15, s[0:1]
	v_lshl_add_u64 v[14:15], v[0:1], 3, s[6:7]
	s_mov_b32 s0, 0x6dc5d639
	global_store_dwordx2 v[14:15], v[8:9], off
	v_mov_b32_e32 v8, 0xa049b703
	v_mov_b32_e32 v9, 0x403c8c1c
	s_mov_b32 s1, 0xc0d77d70
	v_fmac_f64_e32 v[8:9], s[0:1], v[4:5]
	v_mul_f64 v[14:15], v[8:9], s[8:9]
	v_rndne_f64_e32 v[14:15], v[14:15]
	v_fma_f64 v[16:17], s[2:3], v[14:15], v[8:9]
	v_fmac_f64_e32 v[16:17], s[4:5], v[14:15]
	v_fma_f64 v[18:19], s[10:11], v[16:17], v[6:7]
	v_fma_f64 v[18:19], v[16:17], v[18:19], s[12:13]
	;; [unrolled: 1-line block ×9, first 2 shown]
	v_fma_f64 v[18:19], v[16:17], v[18:19], 1.0
	v_fma_f64 v[16:17], v[16:17], v[18:19], 1.0
	v_cvt_i32_f64_e32 v14, v[14:15]
	v_ldexp_f64 v[14:15], v[16:17], v14
	v_cmp_nlt_f64_e32 vcc, s[28:29], v[8:9]
	v_cmp_ngt_f64_e64 s[0:1], s[30:31], v[8:9]
	v_add_u32_e32 v0, s33, v0
	v_cndmask_b32_e32 v15, v20, v15, vcc
	s_and_b64 vcc, s[0:1], vcc
	v_cndmask_b32_e32 v8, 0, v14, vcc
	v_cndmask_b32_e64 v9, 0, v15, s[0:1]
	v_lshl_add_u64 v[14:15], v[0:1], 3, s[6:7]
	s_mov_b32 s0, 0xea4a8c15
	global_store_dwordx2 v[14:15], v[8:9], off
	v_mov_b32_e32 v8, 0xcc02a272
	v_mov_b32_e32 v9, 0x40405221
	s_mov_b32 s1, 0xc0c731f4
	v_fmac_f64_e32 v[8:9], s[0:1], v[4:5]
	v_mul_f64 v[14:15], v[8:9], s[8:9]
	v_rndne_f64_e32 v[14:15], v[14:15]
	v_fma_f64 v[16:17], s[2:3], v[14:15], v[8:9]
	v_fmac_f64_e32 v[16:17], s[4:5], v[14:15]
	v_fma_f64 v[18:19], s[10:11], v[16:17], v[6:7]
	v_fma_f64 v[18:19], v[16:17], v[18:19], s[12:13]
	;; [unrolled: 1-line block ×9, first 2 shown]
	v_fma_f64 v[18:19], v[16:17], v[18:19], 1.0
	v_fma_f64 v[16:17], v[16:17], v[18:19], 1.0
	v_cvt_i32_f64_e32 v14, v[14:15]
	v_ldexp_f64 v[14:15], v[16:17], v14
	v_cmp_nlt_f64_e32 vcc, s[28:29], v[8:9]
	v_cmp_ngt_f64_e64 s[0:1], s[30:31], v[8:9]
	v_add_u32_e32 v0, s33, v0
	v_cndmask_b32_e32 v15, v20, v15, vcc
	s_and_b64 vcc, s[0:1], vcc
	v_cndmask_b32_e32 v8, 0, v14, vcc
	v_cndmask_b32_e64 v9, 0, v15, s[0:1]
	v_lshl_add_u64 v[14:15], v[0:1], 3, s[6:7]
	v_add_u32_e32 v0, s33, v0
	global_store_dwordx2 v[14:15], v[8:9], off
	v_lshl_add_u64 v[8:9], v[0:1], 3, s[6:7]
	v_mov_b32_e32 v14, 0x60480000
	v_mov_b32_e32 v15, 0x42c9ebac
	v_add_u32_e32 v0, s33, v0
	global_store_dwordx2 v[8:9], v[14:15], off
	v_lshl_add_u64 v[8:9], v[0:1], 3, s[6:7]
	global_store_dwordx2 v[8:9], v[26:27], off
	v_mov_b32_e32 v8, 0xb50d9366
	v_mov_b32_e32 v9, 0x403285b7
	s_mov_b32 s0, 0x84a0e411
	v_fmac_f64_e32 v[8:9], s[54:55], v[2:3]
	s_mov_b32 s1, 0xc08a42f9
	v_fmac_f64_e32 v[8:9], s[0:1], v[4:5]
	v_mul_f64 v[14:15], v[8:9], s[8:9]
	v_rndne_f64_e32 v[14:15], v[14:15]
	v_fma_f64 v[16:17], s[2:3], v[14:15], v[8:9]
	v_fmac_f64_e32 v[16:17], s[4:5], v[14:15]
	v_fma_f64 v[18:19], s[10:11], v[16:17], v[6:7]
	v_fma_f64 v[18:19], v[16:17], v[18:19], s[12:13]
	;; [unrolled: 1-line block ×9, first 2 shown]
	v_fma_f64 v[18:19], v[16:17], v[18:19], 1.0
	v_fma_f64 v[16:17], v[16:17], v[18:19], 1.0
	v_cvt_i32_f64_e32 v14, v[14:15]
	v_ldexp_f64 v[14:15], v[16:17], v14
	v_cmp_nlt_f64_e32 vcc, s[28:29], v[8:9]
	v_cmp_ngt_f64_e64 s[0:1], s[30:31], v[8:9]
	v_add_u32_e32 v0, s33, v0
	v_cndmask_b32_e32 v15, v20, v15, vcc
	s_and_b64 vcc, s[0:1], vcc
	v_cndmask_b32_e32 v8, 0, v14, vcc
	v_cndmask_b32_e64 v9, 0, v15, s[0:1]
	v_lshl_add_u64 v[14:15], v[0:1], 3, s[6:7]
	s_mov_b32 s0, 0x7ae5796c
	global_store_dwordx2 v[14:15], v[8:9], off
	v_mov_b32_e32 v8, 0xa9c70e47
	v_mov_b32_e32 v9, 0x403d5f8c
	s_mov_b32 s1, 0x4077bedb
	v_fmac_f64_e32 v[8:9], s[0:1], v[4:5]
	v_mul_f64 v[14:15], v[8:9], s[8:9]
	v_rndne_f64_e32 v[14:15], v[14:15]
	v_fma_f64 v[16:17], s[2:3], v[14:15], v[8:9]
	v_fmac_f64_e32 v[16:17], s[4:5], v[14:15]
	v_fma_f64 v[18:19], s[10:11], v[16:17], v[6:7]
	v_fma_f64 v[18:19], v[16:17], v[18:19], s[12:13]
	v_fma_f64 v[18:19], v[16:17], v[18:19], s[14:15]
	v_fma_f64 v[18:19], v[16:17], v[18:19], s[16:17]
	v_fma_f64 v[18:19], v[16:17], v[18:19], s[18:19]
	v_fma_f64 v[18:19], v[16:17], v[18:19], s[20:21]
	v_fma_f64 v[18:19], v[16:17], v[18:19], s[22:23]
	v_fma_f64 v[18:19], v[16:17], v[18:19], s[24:25]
	v_fma_f64 v[18:19], v[16:17], v[18:19], s[26:27]
	v_fma_f64 v[18:19], v[16:17], v[18:19], 1.0
	v_fma_f64 v[16:17], v[16:17], v[18:19], 1.0
	v_cvt_i32_f64_e32 v14, v[14:15]
	v_ldexp_f64 v[14:15], v[16:17], v14
	v_cmp_nlt_f64_e32 vcc, s[28:29], v[8:9]
	v_cmp_ngt_f64_e64 s[0:1], s[30:31], v[8:9]
	v_add_u32_e32 v0, s33, v0
	v_cndmask_b32_e32 v15, v20, v15, vcc
	s_and_b64 vcc, s[0:1], vcc
	v_cndmask_b32_e32 v8, 0, v14, vcc
	v_cndmask_b32_e64 v9, 0, v15, s[0:1]
	v_lshl_add_u64 v[14:15], v[0:1], 3, s[6:7]
	v_add_u32_e32 v0, s33, v0
	global_store_dwordx2 v[14:15], v[8:9], off
	v_lshl_add_u64 v[8:9], v[0:1], 3, s[6:7]
	v_mov_b32_e32 v14, 0x47100000
	v_mov_b32_e32 v15, 0x42be0369
	v_add_u32_e32 v0, s33, v0
	global_store_dwordx2 v[8:9], v[14:15], off
	v_lshl_add_u64 v[8:9], v[0:1], 3, s[6:7]
	s_mov_b32 s0, 0x137b0707
	global_store_dwordx2 v[8:9], v[22:23], off
	v_mov_b32_e32 v8, 0xf1843c3a
	v_mov_b32_e32 v9, 0x403cdad3
	s_mov_b32 s1, 0xc075b383
	v_fmac_f64_e32 v[8:9], s[0:1], v[4:5]
	v_mul_f64 v[14:15], v[8:9], s[8:9]
	v_rndne_f64_e32 v[14:15], v[14:15]
	v_fma_f64 v[16:17], s[2:3], v[14:15], v[8:9]
	v_fmac_f64_e32 v[16:17], s[4:5], v[14:15]
	v_fma_f64 v[18:19], s[10:11], v[16:17], v[6:7]
	v_fma_f64 v[18:19], v[16:17], v[18:19], s[12:13]
	;; [unrolled: 1-line block ×9, first 2 shown]
	v_fma_f64 v[18:19], v[16:17], v[18:19], 1.0
	v_fma_f64 v[16:17], v[16:17], v[18:19], 1.0
	v_cvt_i32_f64_e32 v14, v[14:15]
	v_ldexp_f64 v[14:15], v[16:17], v14
	v_cmp_nlt_f64_e32 vcc, s[28:29], v[8:9]
	v_cmp_ngt_f64_e64 s[0:1], s[30:31], v[8:9]
	v_add_u32_e32 v0, s33, v0
	v_cndmask_b32_e32 v15, v20, v15, vcc
	s_and_b64 vcc, s[0:1], vcc
	v_cndmask_b32_e32 v8, 0, v14, vcc
	v_cndmask_b32_e64 v9, 0, v15, s[0:1]
	v_lshl_add_u64 v[14:15], v[0:1], 3, s[6:7]
	global_store_dwordx2 v[14:15], v[8:9], off
	v_mov_b32_e32 v8, 0x572ebafe
	v_mov_b32_e32 v9, 0x403bb79a
	s_mov_b32 s43, 0x3fdeb851
	s_mov_b32 s0, 0x3f85510d
	v_fmac_f64_e32 v[8:9], s[42:43], v[2:3]
	s_mov_b32 s1, 0x40605ac3
	v_fmac_f64_e32 v[8:9], s[0:1], v[4:5]
	v_mul_f64 v[14:15], v[8:9], s[8:9]
	v_rndne_f64_e32 v[14:15], v[14:15]
	v_fma_f64 v[16:17], s[2:3], v[14:15], v[8:9]
	v_fmac_f64_e32 v[16:17], s[4:5], v[14:15]
	v_fma_f64 v[18:19], s[10:11], v[16:17], v[6:7]
	v_fma_f64 v[18:19], v[16:17], v[18:19], s[12:13]
	;; [unrolled: 1-line block ×9, first 2 shown]
	v_fma_f64 v[18:19], v[16:17], v[18:19], 1.0
	v_fma_f64 v[16:17], v[16:17], v[18:19], 1.0
	v_cvt_i32_f64_e32 v14, v[14:15]
	v_ldexp_f64 v[14:15], v[16:17], v14
	v_cmp_nlt_f64_e32 vcc, s[28:29], v[8:9]
	v_cmp_ngt_f64_e64 s[0:1], s[30:31], v[8:9]
	v_add_u32_e32 v0, s33, v0
	v_cndmask_b32_e32 v15, v20, v15, vcc
	s_and_b64 vcc, s[0:1], vcc
	v_cndmask_b32_e32 v8, 0, v14, vcc
	v_cndmask_b32_e64 v9, 0, v15, s[0:1]
	v_lshl_add_u64 v[14:15], v[0:1], 3, s[6:7]
	v_add_u32_e32 v0, s33, v0
	global_store_dwordx2 v[14:15], v[8:9], off
	v_lshl_add_u64 v[8:9], v[0:1], 3, s[6:7]
	v_mov_b32_e32 v14, 0x3b4c0000
	v_mov_b32_e32 v15, 0x42d0b071
	v_add_u32_e32 v0, s33, v0
	global_store_dwordx2 v[8:9], v[14:15], off
	v_lshl_add_u64 v[8:9], v[0:1], 3, s[6:7]
	v_add_u32_e32 v0, s33, v0
	global_store_dwordx2 v[8:9], v[26:27], off
	v_lshl_add_u64 v[8:9], v[0:1], 3, s[6:7]
	v_add_u32_e32 v0, s33, v0
	s_mov_b32 s0, 0x9778572a
	global_store_dwordx2 v[8:9], v[26:27], off
	v_lshl_add_u64 v[8:9], v[0:1], 3, s[6:7]
	s_mov_b32 s1, 0x4043e28b
	global_store_dwordx2 v[8:9], v[22:23], off
	v_add_f64 v[8:9], -v[2:3], s[0:1]
	s_mov_b32 s0, 0x780346dc
	s_mov_b32 s1, 0xc0c0b557
	v_fmac_f64_e32 v[8:9], s[0:1], v[4:5]
	v_mul_f64 v[14:15], v[8:9], s[8:9]
	v_rndne_f64_e32 v[14:15], v[14:15]
	v_fma_f64 v[16:17], s[2:3], v[14:15], v[8:9]
	v_fmac_f64_e32 v[16:17], s[4:5], v[14:15]
	v_fma_f64 v[18:19], s[10:11], v[16:17], v[6:7]
	v_fma_f64 v[18:19], v[16:17], v[18:19], s[12:13]
	;; [unrolled: 1-line block ×9, first 2 shown]
	v_fma_f64 v[18:19], v[16:17], v[18:19], 1.0
	v_fma_f64 v[16:17], v[16:17], v[18:19], 1.0
	v_cvt_i32_f64_e32 v14, v[14:15]
	v_ldexp_f64 v[14:15], v[16:17], v14
	v_cmp_nlt_f64_e32 vcc, s[28:29], v[8:9]
	v_cmp_ngt_f64_e64 s[0:1], s[30:31], v[8:9]
	v_add_u32_e32 v0, s33, v0
	v_cndmask_b32_e32 v15, v20, v15, vcc
	s_and_b64 vcc, s[0:1], vcc
	v_cndmask_b32_e32 v8, 0, v14, vcc
	v_cndmask_b32_e64 v9, 0, v15, s[0:1]
	v_lshl_add_u64 v[14:15], v[0:1], 3, s[6:7]
	s_mov_b32 s0, 0x6045baf5
	global_store_dwordx2 v[14:15], v[8:9], off
	v_mov_b32_e32 v8, 0x53678621
	v_mov_b32_e32 v9, 0x403da8bf
	s_mov_b32 s1, 0xc069292c
	v_fmac_f64_e32 v[8:9], s[0:1], v[4:5]
	v_mul_f64 v[14:15], v[8:9], s[8:9]
	v_rndne_f64_e32 v[14:15], v[14:15]
	v_fma_f64 v[16:17], s[2:3], v[14:15], v[8:9]
	v_fmac_f64_e32 v[16:17], s[4:5], v[14:15]
	v_fma_f64 v[18:19], s[10:11], v[16:17], v[6:7]
	v_fma_f64 v[18:19], v[16:17], v[18:19], s[12:13]
	v_fma_f64 v[18:19], v[16:17], v[18:19], s[14:15]
	v_fma_f64 v[18:19], v[16:17], v[18:19], s[16:17]
	v_fma_f64 v[18:19], v[16:17], v[18:19], s[18:19]
	v_fma_f64 v[18:19], v[16:17], v[18:19], s[20:21]
	v_fma_f64 v[18:19], v[16:17], v[18:19], s[22:23]
	v_fma_f64 v[18:19], v[16:17], v[18:19], s[24:25]
	v_fma_f64 v[18:19], v[16:17], v[18:19], s[26:27]
	v_fma_f64 v[18:19], v[16:17], v[18:19], 1.0
	v_fma_f64 v[16:17], v[16:17], v[18:19], 1.0
	v_cvt_i32_f64_e32 v14, v[14:15]
	v_ldexp_f64 v[14:15], v[16:17], v14
	v_cmp_nlt_f64_e32 vcc, s[28:29], v[8:9]
	v_cmp_ngt_f64_e64 s[0:1], s[30:31], v[8:9]
	v_add_u32_e32 v0, s33, v0
	v_cndmask_b32_e32 v15, v20, v15, vcc
	s_and_b64 vcc, s[0:1], vcc
	v_cndmask_b32_e32 v8, 0, v14, vcc
	v_cndmask_b32_e64 v9, 0, v15, s[0:1]
	v_lshl_add_u64 v[14:15], v[0:1], 3, s[6:7]
	global_store_dwordx2 v[14:15], v[8:9], off
	v_mov_b32_e32 v8, 0xbf4e5f09
	v_mov_b32_e32 v9, 0x4042e0fa
	s_mov_b32 s1, 0xbfe99999
	s_mov_b32 s0, s66
	v_fmac_f64_e32 v[8:9], s[0:1], v[2:3]
	v_mul_f64 v[14:15], v[8:9], s[8:9]
	v_rndne_f64_e32 v[14:15], v[14:15]
	v_fma_f64 v[16:17], s[2:3], v[14:15], v[8:9]
	v_fmac_f64_e32 v[16:17], s[4:5], v[14:15]
	v_fma_f64 v[18:19], s[10:11], v[16:17], v[6:7]
	v_fma_f64 v[18:19], v[16:17], v[18:19], s[12:13]
	;; [unrolled: 1-line block ×9, first 2 shown]
	v_fma_f64 v[18:19], v[16:17], v[18:19], 1.0
	v_fma_f64 v[16:17], v[16:17], v[18:19], 1.0
	v_cvt_i32_f64_e32 v14, v[14:15]
	v_ldexp_f64 v[14:15], v[16:17], v14
	v_cmp_nlt_f64_e32 vcc, s[28:29], v[8:9]
	v_cmp_ngt_f64_e64 s[0:1], s[30:31], v[8:9]
	v_add_u32_e32 v0, s33, v0
	v_cndmask_b32_e32 v15, v20, v15, vcc
	s_and_b64 vcc, s[0:1], vcc
	v_cndmask_b32_e32 v8, 0, v14, vcc
	v_cndmask_b32_e64 v9, 0, v15, s[0:1]
	v_lshl_add_u64 v[14:15], v[0:1], 3, s[6:7]
	global_store_dwordx2 v[14:15], v[8:9], off
	v_mov_b32_e32 v8, 0x6a627469
	v_mov_b32_e32 v9, 0x402a3ea6
	s_mov_b32 s0, 0x55475a32
	v_fmac_f64_e32 v[8:9], 2.0, v[2:3]
	s_mov_b32 s1, 0xc0ac6c83
	v_fmac_f64_e32 v[8:9], s[0:1], v[4:5]
	v_mul_f64 v[14:15], v[8:9], s[8:9]
	v_rndne_f64_e32 v[14:15], v[14:15]
	v_fma_f64 v[16:17], s[2:3], v[14:15], v[8:9]
	v_fmac_f64_e32 v[16:17], s[4:5], v[14:15]
	v_fma_f64 v[18:19], s[10:11], v[16:17], v[6:7]
	v_fma_f64 v[18:19], v[16:17], v[18:19], s[12:13]
	;; [unrolled: 1-line block ×9, first 2 shown]
	v_fma_f64 v[18:19], v[16:17], v[18:19], 1.0
	v_fma_f64 v[16:17], v[16:17], v[18:19], 1.0
	v_cvt_i32_f64_e32 v14, v[14:15]
	v_ldexp_f64 v[14:15], v[16:17], v14
	v_cmp_nlt_f64_e32 vcc, s[28:29], v[8:9]
	v_cmp_ngt_f64_e64 s[0:1], s[30:31], v[8:9]
	v_add_u32_e32 v0, s33, v0
	v_cndmask_b32_e32 v15, v20, v15, vcc
	s_and_b64 vcc, s[0:1], vcc
	v_cndmask_b32_e32 v8, 0, v14, vcc
	v_cndmask_b32_e64 v9, 0, v15, s[0:1]
	v_lshl_add_u64 v[14:15], v[0:1], 3, s[6:7]
	v_add_u32_e32 v0, s33, v0
	s_mov_b32 s0, 0x9a1fd157
	global_store_dwordx2 v[14:15], v[8:9], off
	v_lshl_add_u64 v[8:9], v[0:1], 3, s[6:7]
	v_mov_b32_e32 v16, 0xe5400000
	v_mov_b32_e32 v17, 0x42d2309c
	s_mov_b32 s1, 0xc0879699
	global_store_dwordx2 v[8:9], v[16:17], off
	v_mul_f64 v[8:9], v[4:5], s[0:1]
	v_mul_f64 v[14:15], v[8:9], s[8:9]
	v_rndne_f64_e32 v[14:15], v[14:15]
	v_fma_f64 v[18:19], s[2:3], v[14:15], v[8:9]
	v_fmac_f64_e32 v[18:19], s[4:5], v[14:15]
	v_fma_f64 v[28:29], s[10:11], v[18:19], v[6:7]
	v_fma_f64 v[28:29], v[18:19], v[28:29], s[12:13]
	;; [unrolled: 1-line block ×9, first 2 shown]
	v_fma_f64 v[28:29], v[18:19], v[28:29], 1.0
	v_fma_f64 v[18:19], v[18:19], v[28:29], 1.0
	v_cvt_i32_f64_e32 v14, v[14:15]
	v_ldexp_f64 v[14:15], v[18:19], v14
	v_cmp_nlt_f64_e32 vcc, s[28:29], v[8:9]
	v_cmp_ngt_f64_e64 s[0:1], s[30:31], v[8:9]
	v_add_u32_e32 v0, s33, v0
	v_cndmask_b32_e32 v15, v20, v15, vcc
	s_and_b64 vcc, s[0:1], vcc
	v_cndmask_b32_e32 v8, 0, v14, vcc
	v_cndmask_b32_e64 v9, 0, v15, s[0:1]
	s_mov_b32 s1, 0x42a33562
	s_mov_b32 s0, 0x19000000
	v_mul_f64 v[14:15], v[8:9], s[0:1]
	v_lshl_add_u64 v[18:19], v[0:1], 3, s[6:7]
	s_mov_b32 s1, 0x42833562
	v_add_u32_e32 v0, s33, v0
	global_store_dwordx2 v[18:19], v[14:15], off
	v_mul_f64 v[8:9], v[8:9], s[0:1]
	v_lshl_add_u64 v[14:15], v[0:1], 3, s[6:7]
	v_add_u32_e32 v0, s33, v0
	global_store_dwordx2 v[14:15], v[8:9], off
	v_lshl_add_u64 v[8:9], v[0:1], 3, s[6:7]
	global_store_dwordx2 v[8:9], v[24:25], off
	v_mov_b32_e32 v8, 0x2c244b39
	v_mov_b32_e32 v9, 0x40303d85
	v_fmac_f64_e32 v[8:9], 2.0, v[2:3]
	v_fmac_f64_e32 v[8:9], s[66:67], v[4:5]
	v_mul_f64 v[14:15], v[8:9], s[8:9]
	v_rndne_f64_e32 v[14:15], v[14:15]
	v_fma_f64 v[18:19], s[2:3], v[14:15], v[8:9]
	v_fmac_f64_e32 v[18:19], s[4:5], v[14:15]
	v_fma_f64 v[28:29], s[10:11], v[18:19], v[6:7]
	v_fma_f64 v[28:29], v[18:19], v[28:29], s[12:13]
	;; [unrolled: 1-line block ×9, first 2 shown]
	v_fma_f64 v[28:29], v[18:19], v[28:29], 1.0
	v_fma_f64 v[18:19], v[18:19], v[28:29], 1.0
	v_cvt_i32_f64_e32 v14, v[14:15]
	v_ldexp_f64 v[14:15], v[18:19], v14
	v_cmp_nlt_f64_e32 vcc, s[28:29], v[8:9]
	v_cmp_ngt_f64_e64 s[0:1], s[30:31], v[8:9]
	v_add_u32_e32 v0, s33, v0
	v_cndmask_b32_e32 v15, v20, v15, vcc
	s_and_b64 vcc, s[0:1], vcc
	v_cndmask_b32_e32 v8, 0, v14, vcc
	v_cndmask_b32_e64 v9, 0, v15, s[0:1]
	v_lshl_add_u64 v[14:15], v[0:1], 3, s[6:7]
	v_add_u32_e32 v0, s33, v0
	global_store_dwordx2 v[14:15], v[8:9], off
	v_lshl_add_u64 v[8:9], v[0:1], 3, s[6:7]
	global_store_dwordx2 v[8:9], v[24:25], off
	v_mov_b32_e32 v8, 0xc990016a
	v_mov_b32_e32 v9, 0x403b6b98
	s_mov_b32 s0, 0xabc94706
	v_fmac_f64_e32 v[8:9], 0.5, v[2:3]
	s_mov_b32 s1, 0xc0a1bb03
	v_fmac_f64_e32 v[8:9], s[0:1], v[4:5]
	v_mul_f64 v[14:15], v[8:9], s[8:9]
	v_rndne_f64_e32 v[14:15], v[14:15]
	v_fma_f64 v[18:19], s[2:3], v[14:15], v[8:9]
	v_fmac_f64_e32 v[18:19], s[4:5], v[14:15]
	v_fma_f64 v[28:29], s[10:11], v[18:19], v[6:7]
	v_fma_f64 v[28:29], v[18:19], v[28:29], s[12:13]
	v_fma_f64 v[28:29], v[18:19], v[28:29], s[14:15]
	v_fma_f64 v[28:29], v[18:19], v[28:29], s[16:17]
	v_fma_f64 v[28:29], v[18:19], v[28:29], s[18:19]
	v_fma_f64 v[28:29], v[18:19], v[28:29], s[20:21]
	v_fma_f64 v[28:29], v[18:19], v[28:29], s[22:23]
	v_fma_f64 v[28:29], v[18:19], v[28:29], s[24:25]
	v_fma_f64 v[28:29], v[18:19], v[28:29], s[26:27]
	v_fma_f64 v[28:29], v[18:19], v[28:29], 1.0
	v_fma_f64 v[18:19], v[18:19], v[28:29], 1.0
	v_cvt_i32_f64_e32 v14, v[14:15]
	v_ldexp_f64 v[14:15], v[18:19], v14
	v_cmp_nlt_f64_e32 vcc, s[28:29], v[8:9]
	v_cmp_ngt_f64_e64 s[0:1], s[30:31], v[8:9]
	v_add_u32_e32 v0, s33, v0
	v_cndmask_b32_e32 v15, v20, v15, vcc
	s_and_b64 vcc, s[0:1], vcc
	v_cndmask_b32_e32 v8, 0, v14, vcc
	v_cndmask_b32_e64 v9, 0, v15, s[0:1]
	v_lshl_add_u64 v[14:15], v[0:1], 3, s[6:7]
	v_add_u32_e32 v0, s33, v0
	s_mov_b32 s1, 0x42c2309c
	s_mov_b32 s0, s44
	global_store_dwordx2 v[14:15], v[8:9], off
	v_lshl_add_u64 v[8:9], v[0:1], 3, s[6:7]
	v_mov_b64_e32 v[30:31], s[0:1]
	v_add_u32_e32 v0, s33, v0
	global_store_dwordx2 v[8:9], v[30:31], off
	v_lshl_add_u64 v[8:9], v[0:1], 3, s[6:7]
	v_mov_b64_e32 v[28:29], s[74:75]
	s_mov_b32 s0, 0x48ba83f5
	global_store_dwordx2 v[8:9], v[28:29], off
	v_mov_b32_e32 v8, 0x60708320
	v_mov_b32_e32 v9, 0x403e56cd
	s_mov_b32 s1, 0xc072dee1
	v_fmac_f64_e32 v[8:9], s[0:1], v[4:5]
	v_mul_f64 v[14:15], v[8:9], s[8:9]
	v_rndne_f64_e32 v[14:15], v[14:15]
	v_fma_f64 v[18:19], s[2:3], v[14:15], v[8:9]
	v_fmac_f64_e32 v[18:19], s[4:5], v[14:15]
	v_fma_f64 v[32:33], s[10:11], v[18:19], v[6:7]
	v_fma_f64 v[32:33], v[18:19], v[32:33], s[12:13]
	;; [unrolled: 1-line block ×9, first 2 shown]
	v_fma_f64 v[32:33], v[18:19], v[32:33], 1.0
	v_fma_f64 v[18:19], v[18:19], v[32:33], 1.0
	v_cvt_i32_f64_e32 v14, v[14:15]
	v_ldexp_f64 v[14:15], v[18:19], v14
	v_cmp_nlt_f64_e32 vcc, s[28:29], v[8:9]
	v_cmp_ngt_f64_e64 s[0:1], s[30:31], v[8:9]
	v_add_u32_e32 v0, s33, v0
	v_cndmask_b32_e32 v15, v20, v15, vcc
	s_and_b64 vcc, s[0:1], vcc
	v_cndmask_b32_e32 v8, 0, v14, vcc
	v_cndmask_b32_e64 v9, 0, v15, s[0:1]
	v_lshl_add_u64 v[14:15], v[0:1], 3, s[6:7]
	v_add_u32_e32 v0, s33, v0
	global_store_dwordx2 v[14:15], v[8:9], off
	v_lshl_add_u64 v[8:9], v[0:1], 3, s[6:7]
	v_add_u32_e32 v0, s33, v0
	global_store_dwordx2 v[8:9], v[26:27], off
	v_lshl_add_u64 v[8:9], v[0:1], 3, s[6:7]
	v_mov_b64_e32 v[14:15], s[58:59]
	v_add_u32_e32 v0, s33, v0
	global_store_dwordx2 v[8:9], v[14:15], off
	v_lshl_add_u64 v[8:9], v[0:1], 3, s[6:7]
	v_add_u32_e32 v0, s33, v0
	global_store_dwordx2 v[8:9], v[14:15], off
	v_lshl_add_u64 v[8:9], v[0:1], 3, s[6:7]
	;; [unrolled: 3-line block ×3, first 2 shown]
	v_mov_b32_e32 v14, 0x91300000
	v_mov_b32_e32 v15, 0x42cfd512
	v_add_u32_e32 v0, s33, v0
	global_store_dwordx2 v[8:9], v[14:15], off
	v_lshl_add_u64 v[8:9], v[0:1], 3, s[6:7]
	v_mov_b32_e32 v14, 0xdc00000
	v_mov_b32_e32 v15, 0x42b97742
	v_add_u32_e32 v0, s33, v0
	global_store_dwordx2 v[8:9], v[14:15], off
	v_lshl_add_u64 v[18:19], v[0:1], 3, s[6:7]
	;; [unrolled: 5-line block ×3, first 2 shown]
	v_add_u32_e32 v0, s33, v0
	global_store_dwordx2 v[18:19], v[26:27], off
	v_lshl_add_u64 v[32:33], v[0:1], 3, s[6:7]
	v_mov_b32_e32 v18, 0x9b200000
	v_mov_b32_e32 v19, 0x42a05ef3
	v_add_u32_e32 v0, s33, v0
	global_store_dwordx2 v[32:33], v[18:19], off
	v_lshl_add_u64 v[32:33], v[0:1], 3, s[6:7]
	v_mov_b32_e32 v15, 0x42997742
	v_add_u32_e32 v0, s33, v0
	global_store_dwordx2 v[32:33], v[14:15], off
	v_lshl_add_u64 v[32:33], v[0:1], 3, s[6:7]
	v_mov_b32_e32 v15, 0x42a97742
	global_store_dwordx2 v[32:33], v[14:15], off
	v_mov_b32_e32 v14, 0x39ffd60f
	v_mov_b32_e32 v15, 0x403b03cc
	s_mov_b32 s0, 0xf66a551
	v_fmac_f64_e32 v[14:15], s[64:65], v[2:3]
	s_mov_b32 s1, 0xc0947174
	v_fmac_f64_e32 v[14:15], s[0:1], v[4:5]
	v_mul_f64 v[32:33], v[14:15], s[8:9]
	v_rndne_f64_e32 v[32:33], v[32:33]
	v_fma_f64 v[34:35], s[2:3], v[32:33], v[14:15]
	v_fmac_f64_e32 v[34:35], s[4:5], v[32:33]
	v_fma_f64 v[36:37], s[10:11], v[34:35], v[6:7]
	v_fma_f64 v[36:37], v[34:35], v[36:37], s[12:13]
	;; [unrolled: 1-line block ×9, first 2 shown]
	v_fma_f64 v[36:37], v[34:35], v[36:37], 1.0
	v_fma_f64 v[34:35], v[34:35], v[36:37], 1.0
	v_cvt_i32_f64_e32 v9, v[32:33]
	v_ldexp_f64 v[32:33], v[34:35], v9
	v_cmp_nlt_f64_e32 vcc, s[28:29], v[14:15]
	v_cmp_ngt_f64_e64 s[0:1], s[30:31], v[14:15]
	v_add_u32_e32 v0, s33, v0
	v_cndmask_b32_e32 v9, v20, v33, vcc
	s_and_b64 vcc, s[0:1], vcc
	v_cndmask_b32_e32 v14, 0, v32, vcc
	v_cndmask_b32_e64 v15, 0, v9, s[0:1]
	v_lshl_add_u64 v[32:33], v[0:1], 3, s[6:7]
	global_store_dwordx2 v[32:33], v[14:15], off
	v_mov_b32_e32 v14, 0xb3b09c15
	v_mov_b32_e32 v15, 0x4037dbd7
	s_mov_b32 s0, 0x6b8f9b13
	v_fmac_f64_e32 v[14:15], s[48:49], v[2:3]
	s_mov_b32 s1, 0xc099c023
	v_fmac_f64_e32 v[14:15], s[0:1], v[4:5]
	v_mul_f64 v[32:33], v[14:15], s[8:9]
	v_rndne_f64_e32 v[32:33], v[32:33]
	v_fma_f64 v[34:35], s[2:3], v[32:33], v[14:15]
	v_fmac_f64_e32 v[34:35], s[4:5], v[32:33]
	v_fma_f64 v[36:37], s[10:11], v[34:35], v[6:7]
	v_fma_f64 v[36:37], v[34:35], v[36:37], s[12:13]
	;; [unrolled: 1-line block ×9, first 2 shown]
	v_fma_f64 v[36:37], v[34:35], v[36:37], 1.0
	v_fma_f64 v[34:35], v[34:35], v[36:37], 1.0
	v_cvt_i32_f64_e32 v9, v[32:33]
	v_ldexp_f64 v[32:33], v[34:35], v9
	v_cmp_nlt_f64_e32 vcc, s[28:29], v[14:15]
	v_cmp_ngt_f64_e64 s[0:1], s[30:31], v[14:15]
	v_add_u32_e32 v0, s33, v0
	v_cndmask_b32_e32 v9, v20, v33, vcc
	s_and_b64 vcc, s[0:1], vcc
	v_cndmask_b32_e32 v14, 0, v32, vcc
	v_cndmask_b32_e64 v15, 0, v9, s[0:1]
	v_lshl_add_u64 v[32:33], v[0:1], 3, s[6:7]
	s_mov_b32 s0, 0x49ba5e35
	global_store_dwordx2 v[32:33], v[14:15], off
	v_mov_b32_e32 v14, 0xc743f6d0
	v_mov_b32_e32 v15, 0x403f4b69
	s_mov_b32 s1, 0xc09bd58c
	v_fmac_f64_e32 v[14:15], s[0:1], v[4:5]
	v_mul_f64 v[32:33], v[14:15], s[8:9]
	v_rndne_f64_e32 v[32:33], v[32:33]
	v_fma_f64 v[34:35], s[2:3], v[32:33], v[14:15]
	v_fmac_f64_e32 v[34:35], s[4:5], v[32:33]
	v_fma_f64 v[36:37], s[10:11], v[34:35], v[6:7]
	v_fma_f64 v[36:37], v[34:35], v[36:37], s[12:13]
	;; [unrolled: 1-line block ×9, first 2 shown]
	v_fma_f64 v[36:37], v[34:35], v[36:37], 1.0
	v_fma_f64 v[34:35], v[34:35], v[36:37], 1.0
	v_cvt_i32_f64_e32 v9, v[32:33]
	v_ldexp_f64 v[32:33], v[34:35], v9
	v_cmp_nlt_f64_e32 vcc, s[28:29], v[14:15]
	v_cmp_ngt_f64_e64 s[0:1], s[30:31], v[14:15]
	v_add_u32_e32 v0, s33, v0
	v_cndmask_b32_e32 v9, v20, v33, vcc
	s_and_b64 vcc, s[0:1], vcc
	v_cndmask_b32_e32 v14, 0, v32, vcc
	v_cndmask_b32_e64 v15, 0, v9, s[0:1]
	v_lshl_add_u64 v[32:33], v[0:1], 3, s[6:7]
	global_store_dwordx2 v[32:33], v[14:15], off
	v_mov_b32_e32 v14, 0x4f029c9
	v_mov_b32_e32 v15, 0x4035f4b1
	s_mov_b32 s47, 0x3ff2e147
	s_mov_b32 s46, 0xae147ae1
	;; [unrolled: 1-line block ×3, first 2 shown]
	v_fmac_f64_e32 v[14:15], s[46:47], v[2:3]
	s_mov_b32 s1, 0x406c1e02
	v_fmac_f64_e32 v[14:15], s[0:1], v[4:5]
	v_mul_f64 v[32:33], v[14:15], s[8:9]
	v_rndne_f64_e32 v[32:33], v[32:33]
	v_fma_f64 v[34:35], s[2:3], v[32:33], v[14:15]
	v_fmac_f64_e32 v[34:35], s[4:5], v[32:33]
	v_fma_f64 v[36:37], s[10:11], v[34:35], v[6:7]
	v_fma_f64 v[36:37], v[34:35], v[36:37], s[12:13]
	;; [unrolled: 1-line block ×9, first 2 shown]
	v_fma_f64 v[36:37], v[34:35], v[36:37], 1.0
	v_fma_f64 v[34:35], v[34:35], v[36:37], 1.0
	v_cvt_i32_f64_e32 v9, v[32:33]
	v_ldexp_f64 v[32:33], v[34:35], v9
	v_cmp_nlt_f64_e32 vcc, s[28:29], v[14:15]
	v_cmp_ngt_f64_e64 s[0:1], s[30:31], v[14:15]
	v_add_u32_e32 v0, s33, v0
	v_cndmask_b32_e32 v9, v20, v33, vcc
	s_and_b64 vcc, s[0:1], vcc
	v_cndmask_b32_e32 v14, 0, v32, vcc
	v_cndmask_b32_e64 v15, 0, v9, s[0:1]
	v_lshl_add_u64 v[32:33], v[0:1], 3, s[6:7]
	s_mov_b32 s0, 0xab367a10
	global_store_dwordx2 v[32:33], v[14:15], off
	v_mov_b32_e32 v14, 0x843a8cc4
	v_mov_b32_e32 v15, 0x40401e3b
	s_mov_b32 s1, 0xc0d3a82a
	v_fmac_f64_e32 v[14:15], s[0:1], v[4:5]
	v_mul_f64 v[32:33], v[14:15], s[8:9]
	v_rndne_f64_e32 v[32:33], v[32:33]
	v_fma_f64 v[34:35], s[2:3], v[32:33], v[14:15]
	v_fmac_f64_e32 v[34:35], s[4:5], v[32:33]
	v_fma_f64 v[36:37], s[10:11], v[34:35], v[6:7]
	v_fma_f64 v[36:37], v[34:35], v[36:37], s[12:13]
	;; [unrolled: 1-line block ×9, first 2 shown]
	v_fma_f64 v[36:37], v[34:35], v[36:37], 1.0
	v_fma_f64 v[34:35], v[34:35], v[36:37], 1.0
	v_cvt_i32_f64_e32 v9, v[32:33]
	v_ldexp_f64 v[32:33], v[34:35], v9
	v_cmp_nlt_f64_e32 vcc, s[28:29], v[14:15]
	v_cmp_ngt_f64_e64 s[0:1], s[30:31], v[14:15]
	v_add_u32_e32 v0, s33, v0
	v_cndmask_b32_e32 v9, v20, v33, vcc
	s_and_b64 vcc, s[0:1], vcc
	v_cndmask_b32_e32 v14, 0, v32, vcc
	v_cndmask_b32_e64 v15, 0, v9, s[0:1]
	v_lshl_add_u64 v[32:33], v[0:1], 3, s[6:7]
	global_store_dwordx2 v[32:33], v[14:15], off
	v_mul_f64 v[14:15], v[4:5], s[62:63]
	v_mul_f64 v[32:33], v[14:15], s[8:9]
	v_rndne_f64_e32 v[32:33], v[32:33]
	v_fma_f64 v[34:35], s[2:3], v[32:33], v[14:15]
	v_fmac_f64_e32 v[34:35], s[4:5], v[32:33]
	v_fma_f64 v[36:37], s[10:11], v[34:35], v[6:7]
	v_fma_f64 v[36:37], v[34:35], v[36:37], s[12:13]
	;; [unrolled: 1-line block ×9, first 2 shown]
	v_fma_f64 v[36:37], v[34:35], v[36:37], 1.0
	v_fma_f64 v[34:35], v[34:35], v[36:37], 1.0
	v_cvt_i32_f64_e32 v9, v[32:33]
	v_ldexp_f64 v[32:33], v[34:35], v9
	v_cmp_nlt_f64_e32 vcc, s[28:29], v[14:15]
	v_cmp_ngt_f64_e64 s[0:1], s[30:31], v[14:15]
	s_mov_b32 s75, 0x426d1a94
	v_cndmask_b32_e32 v9, v20, v33, vcc
	s_and_b64 vcc, s[0:1], vcc
	v_cndmask_b32_e32 v14, 0, v32, vcc
	v_cndmask_b32_e64 v15, 0, v9, s[0:1]
	v_add_u32_e32 v0, s33, v0
	v_mul_f64 v[32:33], v[14:15], s[74:75]
	v_lshl_add_u64 v[34:35], v[0:1], 3, s[6:7]
	global_store_dwordx2 v[34:35], v[32:33], off
	v_mad_u64_u32 v[34:35], s[0:1], s33, 51, v[0:1]
	v_mov_b32_e32 v35, v1
	v_mul_f64 v[32:33], v[14:15], s[68:69]
	v_lshl_add_u64 v[36:37], v[34:35], 3, s[6:7]
	v_add_u32_e32 v0, s35, v34
	global_store_dwordx2 v[36:37], v[32:33], off
	v_mul_f64 v[14:15], v[14:15], s[70:71]
	v_lshl_add_u64 v[32:33], v[0:1], 3, s[6:7]
	s_mov_b32 s0, 0x5e39713b
	global_store_dwordx2 v[32:33], v[14:15], off
	v_mov_b32_e32 v14, 0x79f30b25
	v_mov_b32_e32 v15, 0x40401720
	s_mov_b32 s1, 0x40703281
	v_fmac_f64_e32 v[14:15], s[0:1], v[4:5]
	v_mul_f64 v[32:33], v[14:15], s[8:9]
	v_rndne_f64_e32 v[32:33], v[32:33]
	v_fma_f64 v[34:35], s[2:3], v[32:33], v[14:15]
	v_fmac_f64_e32 v[34:35], s[4:5], v[32:33]
	v_fma_f64 v[36:37], s[10:11], v[34:35], v[6:7]
	v_fma_f64 v[36:37], v[34:35], v[36:37], s[12:13]
	;; [unrolled: 1-line block ×9, first 2 shown]
	v_fma_f64 v[36:37], v[34:35], v[36:37], 1.0
	v_fma_f64 v[34:35], v[34:35], v[36:37], 1.0
	v_cvt_i32_f64_e32 v9, v[32:33]
	v_ldexp_f64 v[32:33], v[34:35], v9
	v_cmp_nlt_f64_e32 vcc, s[28:29], v[14:15]
	v_cmp_ngt_f64_e64 s[0:1], s[30:31], v[14:15]
	s_mov_b32 s41, 0xbfe428f5
	v_cndmask_b32_e32 v9, v20, v33, vcc
	s_and_b64 vcc, s[0:1], vcc
	v_cndmask_b32_e64 v15, 0, v9, s[0:1]
	s_mul_i32 s0, s33, 0xffffffcc
	v_add_u32_e32 v0, s0, v0
	v_cndmask_b32_e32 v14, 0, v32, vcc
	v_lshl_add_u64 v[32:33], v[0:1], 3, s[6:7]
	global_store_dwordx2 v[32:33], v[14:15], off
	v_mov_b32_e32 v14, 0xd6e3a704
	v_mov_b32_e32 v15, 0x40428a49
	s_mov_b32 s0, 0x69b5a640
	v_fmac_f64_e32 v[14:15], s[40:41], v[2:3]
	s_mov_b32 s1, 0xc068176c
	v_fmac_f64_e32 v[14:15], s[0:1], v[4:5]
	v_mul_f64 v[32:33], v[14:15], s[8:9]
	v_rndne_f64_e32 v[32:33], v[32:33]
	v_fma_f64 v[34:35], s[2:3], v[32:33], v[14:15]
	v_fmac_f64_e32 v[34:35], s[4:5], v[32:33]
	v_fma_f64 v[36:37], s[10:11], v[34:35], v[6:7]
	v_fma_f64 v[36:37], v[34:35], v[36:37], s[12:13]
	;; [unrolled: 1-line block ×9, first 2 shown]
	v_fma_f64 v[36:37], v[34:35], v[36:37], 1.0
	v_fma_f64 v[34:35], v[34:35], v[36:37], 1.0
	v_cvt_i32_f64_e32 v9, v[32:33]
	v_ldexp_f64 v[32:33], v[34:35], v9
	v_cmp_nlt_f64_e32 vcc, s[28:29], v[14:15]
	v_cmp_ngt_f64_e64 s[0:1], s[30:31], v[14:15]
	v_add_u32_e32 v0, s33, v0
	v_cndmask_b32_e32 v9, v20, v33, vcc
	s_and_b64 vcc, s[0:1], vcc
	v_cndmask_b32_e32 v14, 0, v32, vcc
	v_cndmask_b32_e64 v15, 0, v9, s[0:1]
	v_lshl_add_u64 v[32:33], v[0:1], 3, s[6:7]
	v_add_u32_e32 v0, s33, v0
	global_store_dwordx2 v[32:33], v[14:15], off
	v_lshl_add_u64 v[14:15], v[0:1], 3, s[6:7]
	v_mov_b32_e32 v32, 0xe37e0000
	v_mov_b32_e32 v33, 0x42d32ae7
	global_store_dwordx2 v[14:15], v[32:33], off
	v_mov_b32_e32 v14, 0xbec1714f
	v_mov_b32_e32 v15, 0x4031d742
	s_mov_b32 s67, 0x3ff99999
	v_fmac_f64_e32 v[14:15], s[66:67], v[2:3]
	v_fmac_f64_e32 v[14:15], s[76:77], v[4:5]
	v_mul_f64 v[32:33], v[14:15], s[8:9]
	v_rndne_f64_e32 v[32:33], v[32:33]
	v_fma_f64 v[34:35], s[2:3], v[32:33], v[14:15]
	v_fmac_f64_e32 v[34:35], s[4:5], v[32:33]
	v_fma_f64 v[36:37], s[10:11], v[34:35], v[6:7]
	v_fma_f64 v[36:37], v[34:35], v[36:37], s[12:13]
	;; [unrolled: 1-line block ×9, first 2 shown]
	v_fma_f64 v[36:37], v[34:35], v[36:37], 1.0
	v_fma_f64 v[34:35], v[34:35], v[36:37], 1.0
	v_cvt_i32_f64_e32 v9, v[32:33]
	v_ldexp_f64 v[32:33], v[34:35], v9
	v_cmp_nlt_f64_e32 vcc, s[28:29], v[14:15]
	v_cmp_ngt_f64_e64 s[0:1], s[30:31], v[14:15]
	v_add_u32_e32 v0, s33, v0
	v_cndmask_b32_e32 v9, v20, v33, vcc
	s_and_b64 vcc, s[0:1], vcc
	v_cndmask_b32_e32 v14, 0, v32, vcc
	v_cndmask_b32_e64 v15, 0, v9, s[0:1]
	v_lshl_add_u64 v[32:33], v[0:1], 3, s[6:7]
	v_add_u32_e32 v0, s33, v0
	global_store_dwordx2 v[32:33], v[14:15], off
	v_lshl_add_u64 v[14:15], v[0:1], 3, s[6:7]
	v_mov_b32_e32 v32, 0x2a740000
	v_mov_b32_e32 v33, 0x42b6bf18
	global_store_dwordx2 v[14:15], v[32:33], off
	v_mov_b32_e32 v14, 0x20ecdf9
	v_mov_b32_e32 v15, 0x403f0f3c
	s_mov_b32 s43, 0xc0cc4e51
	v_fmac_f64_e32 v[14:15], s[42:43], v[4:5]
	v_mul_f64 v[32:33], v[14:15], s[8:9]
	v_rndne_f64_e32 v[32:33], v[32:33]
	v_fma_f64 v[34:35], s[2:3], v[32:33], v[14:15]
	v_fmac_f64_e32 v[34:35], s[4:5], v[32:33]
	v_fma_f64 v[36:37], s[10:11], v[34:35], v[6:7]
	v_fma_f64 v[36:37], v[34:35], v[36:37], s[12:13]
	;; [unrolled: 1-line block ×9, first 2 shown]
	v_fma_f64 v[36:37], v[34:35], v[36:37], 1.0
	v_fma_f64 v[34:35], v[34:35], v[36:37], 1.0
	v_cvt_i32_f64_e32 v9, v[32:33]
	v_ldexp_f64 v[32:33], v[34:35], v9
	v_cmp_nlt_f64_e32 vcc, s[28:29], v[14:15]
	v_cmp_ngt_f64_e64 s[0:1], s[30:31], v[14:15]
	v_add_u32_e32 v0, s33, v0
	v_cndmask_b32_e32 v9, v20, v33, vcc
	s_and_b64 vcc, s[0:1], vcc
	v_cndmask_b32_e32 v14, 0, v32, vcc
	v_cndmask_b32_e64 v15, 0, v9, s[0:1]
	v_lshl_add_u64 v[32:33], v[0:1], 3, s[6:7]
	s_mov_b32 s0, 0xcb6848bf
	global_store_dwordx2 v[32:33], v[14:15], off
	v_mov_b32_e32 v14, 0x72dae8ef
	v_mov_b32_e32 v15, 0x40384e89
	s_mov_b32 s1, 0xc0b192c1
	v_fmac_f64_e32 v[14:15], s[0:1], v[4:5]
	v_mul_f64 v[32:33], v[14:15], s[8:9]
	v_rndne_f64_e32 v[32:33], v[32:33]
	v_fma_f64 v[34:35], s[2:3], v[32:33], v[14:15]
	v_fmac_f64_e32 v[34:35], s[4:5], v[32:33]
	v_fma_f64 v[36:37], s[10:11], v[34:35], v[6:7]
	v_fma_f64 v[36:37], v[34:35], v[36:37], s[12:13]
	;; [unrolled: 1-line block ×9, first 2 shown]
	v_fma_f64 v[36:37], v[34:35], v[36:37], 1.0
	v_fma_f64 v[34:35], v[34:35], v[36:37], 1.0
	v_cvt_i32_f64_e32 v9, v[32:33]
	v_ldexp_f64 v[32:33], v[34:35], v9
	v_cmp_nlt_f64_e32 vcc, s[28:29], v[14:15]
	v_cmp_ngt_f64_e64 s[0:1], s[30:31], v[14:15]
	v_add_u32_e32 v0, s33, v0
	v_cndmask_b32_e32 v9, v20, v33, vcc
	s_and_b64 vcc, s[0:1], vcc
	v_cndmask_b32_e32 v14, 0, v32, vcc
	v_cndmask_b32_e64 v15, 0, v9, s[0:1]
	v_lshl_add_u64 v[32:33], v[0:1], 3, s[6:7]
	v_add_u32_e32 v0, s33, v0
	global_store_dwordx2 v[32:33], v[14:15], off
	v_lshl_add_u64 v[32:33], v[0:1], 3, s[6:7]
	v_mov_b32_e32 v14, 0xa2000000
	v_mov_b32_e32 v15, 0x426d1a94
	v_add_u32_e32 v0, s33, v0
	global_store_dwordx2 v[32:33], v[14:15], off
	v_lshl_add_u64 v[32:33], v[0:1], 3, s[6:7]
	v_mov_b32_e32 v34, 0x7ae00000
	v_mov_b32_e32 v35, 0x42a85fdc
	global_store_dwordx2 v[32:33], v[34:35], off
	v_mov_b32_e32 v32, 0xc882bb31
	v_mov_b32_e32 v33, 0x4024367d
	s_mov_b32 s0, 0x1e3a7daa
	v_fmac_f64_e32 v[32:33], s[72:73], v[2:3]
	s_mov_b32 s1, 0xc0a45d53
	v_fmac_f64_e32 v[32:33], s[0:1], v[4:5]
	v_mul_f64 v[34:35], v[32:33], s[8:9]
	v_rndne_f64_e32 v[34:35], v[34:35]
	v_fma_f64 v[36:37], s[2:3], v[34:35], v[32:33]
	v_fmac_f64_e32 v[36:37], s[4:5], v[34:35]
	v_fma_f64 v[38:39], s[10:11], v[36:37], v[6:7]
	v_fma_f64 v[38:39], v[36:37], v[38:39], s[12:13]
	;; [unrolled: 1-line block ×9, first 2 shown]
	v_fma_f64 v[38:39], v[36:37], v[38:39], 1.0
	v_fma_f64 v[36:37], v[36:37], v[38:39], 1.0
	v_cvt_i32_f64_e32 v9, v[34:35]
	v_ldexp_f64 v[34:35], v[36:37], v9
	v_cmp_nlt_f64_e32 vcc, s[28:29], v[32:33]
	v_cmp_ngt_f64_e64 s[0:1], s[30:31], v[32:33]
	v_add_u32_e32 v0, s33, v0
	v_cndmask_b32_e32 v9, v20, v35, vcc
	s_and_b64 vcc, s[0:1], vcc
	v_cndmask_b32_e32 v32, 0, v34, vcc
	v_cndmask_b32_e64 v33, 0, v9, s[0:1]
	v_lshl_add_u64 v[34:35], v[0:1], 3, s[6:7]
	v_add_u32_e32 v0, s33, v0
	global_store_dwordx2 v[34:35], v[32:33], off
	v_lshl_add_u64 v[32:33], v[0:1], 3, s[6:7]
	v_add_u32_e32 v0, s33, v0
	global_store_dwordx2 v[32:33], v[26:27], off
	v_lshl_add_u64 v[32:33], v[0:1], 3, s[6:7]
	v_mov_b32_e32 v34, 0x8d000000
	v_mov_b32_e32 v35, 0x429ed99d
	v_add_u32_e32 v0, s33, v0
	global_store_dwordx2 v[32:33], v[34:35], off
	v_lshl_add_u64 v[32:33], v[0:1], 3, s[6:7]
	v_mov_b32_e32 v19, 0x42b05ef3
	global_store_dwordx2 v[32:33], v[18:19], off
	v_mov_b32_e32 v18, 0x156da575
	v_mov_b32_e32 v19, 0x40203727
	s_mov_b32 s61, 0x40067ae1
	s_mov_b32 s0, 0x7f23cc9
	v_fmac_f64_e32 v[18:19], s[60:61], v[2:3]
	s_mov_b32 s1, 0xc0a709b3
	v_fmac_f64_e32 v[18:19], s[0:1], v[4:5]
	v_mul_f64 v[32:33], v[18:19], s[8:9]
	v_rndne_f64_e32 v[32:33], v[32:33]
	v_fma_f64 v[34:35], s[2:3], v[32:33], v[18:19]
	v_fmac_f64_e32 v[34:35], s[4:5], v[32:33]
	v_fma_f64 v[36:37], s[10:11], v[34:35], v[6:7]
	v_fma_f64 v[36:37], v[34:35], v[36:37], s[12:13]
	;; [unrolled: 1-line block ×9, first 2 shown]
	v_fma_f64 v[36:37], v[34:35], v[36:37], 1.0
	v_fma_f64 v[34:35], v[34:35], v[36:37], 1.0
	v_cvt_i32_f64_e32 v9, v[32:33]
	v_ldexp_f64 v[32:33], v[34:35], v9
	v_cmp_nlt_f64_e32 vcc, s[28:29], v[18:19]
	v_cmp_ngt_f64_e64 s[0:1], s[30:31], v[18:19]
	v_add_u32_e32 v0, s33, v0
	v_cndmask_b32_e32 v9, v20, v33, vcc
	s_and_b64 vcc, s[0:1], vcc
	v_cndmask_b32_e32 v18, 0, v32, vcc
	v_cndmask_b32_e64 v19, 0, v9, s[0:1]
	v_lshl_add_u64 v[32:33], v[0:1], 3, s[6:7]
	v_add_u32_e32 v0, s33, v0
	s_mov_b32 s0, 0x52502ef
	global_store_dwordx2 v[32:33], v[18:19], off
	v_lshl_add_u64 v[18:19], v[0:1], 3, s[6:7]
	s_mov_b32 s1, 0x4071ed56
	global_store_dwordx2 v[18:19], v[30:31], off
	v_mul_f64 v[18:19], v[4:5], s[0:1]
	v_mul_f64 v[30:31], v[18:19], s[8:9]
	v_rndne_f64_e32 v[30:31], v[30:31]
	v_fma_f64 v[32:33], s[2:3], v[30:31], v[18:19]
	v_fmac_f64_e32 v[32:33], s[4:5], v[30:31]
	v_fma_f64 v[34:35], s[10:11], v[32:33], v[6:7]
	v_fma_f64 v[34:35], v[32:33], v[34:35], s[12:13]
	;; [unrolled: 1-line block ×9, first 2 shown]
	v_fma_f64 v[34:35], v[32:33], v[34:35], 1.0
	v_fma_f64 v[32:33], v[32:33], v[34:35], 1.0
	v_cvt_i32_f64_e32 v9, v[30:31]
	v_ldexp_f64 v[30:31], v[32:33], v9
	v_cmp_nlt_f64_e32 vcc, s[28:29], v[18:19]
	v_cmp_ngt_f64_e64 s[0:1], s[30:31], v[18:19]
	v_add_u32_e32 v0, s33, v0
	v_cndmask_b32_e32 v9, v20, v31, vcc
	s_and_b64 vcc, s[0:1], vcc
	v_cndmask_b32_e32 v18, 0, v30, vcc
	v_cndmask_b32_e64 v19, 0, v9, s[0:1]
	v_mul_f64 v[30:31], v[18:19], s[52:53]
	v_lshl_add_u64 v[32:33], v[0:1], 3, s[6:7]
	global_store_dwordx2 v[32:33], v[30:31], off
	v_mad_u64_u32 v[30:31], s[0:1], s33, 15, v[0:1]
	s_mov_b32 s75, 0x42ad1a94
	v_mov_b32_e32 v31, v1
	v_mul_f64 v[18:19], v[18:19], s[74:75]
	v_lshl_add_u64 v[32:33], v[30:31], 3, s[6:7]
	s_mov_b32 s0, 0x70a3d70a
	global_store_dwordx2 v[32:33], v[18:19], off
	v_mov_b32_e32 v18, 0x22eae693
	v_mov_b32_e32 v19, 0x4042cbe0
	s_mov_b32 s1, 0xbfef0a3d
	v_fmac_f64_e32 v[18:19], s[0:1], v[2:3]
	s_mov_b32 s0, 0xcac4b4d0
	s_mov_b32 s1, 0xc0737fe8
	v_fmac_f64_e32 v[18:19], s[0:1], v[4:5]
	v_mul_f64 v[32:33], v[18:19], s[8:9]
	v_rndne_f64_e32 v[32:33], v[32:33]
	v_fma_f64 v[34:35], s[2:3], v[32:33], v[18:19]
	v_fmac_f64_e32 v[34:35], s[4:5], v[32:33]
	v_fma_f64 v[36:37], s[10:11], v[34:35], v[6:7]
	v_fma_f64 v[36:37], v[34:35], v[36:37], s[12:13]
	;; [unrolled: 1-line block ×9, first 2 shown]
	v_fma_f64 v[36:37], v[34:35], v[36:37], 1.0
	v_fma_f64 v[34:35], v[34:35], v[36:37], 1.0
	v_cvt_i32_f64_e32 v0, v[32:33]
	v_ldexp_f64 v[32:33], v[34:35], v0
	v_cmp_nlt_f64_e32 vcc, s[28:29], v[18:19]
	v_cmp_ngt_f64_e64 s[0:1], s[30:31], v[18:19]
	v_mov_b32_e32 v15, 0x42ad1a94
	v_cndmask_b32_e32 v0, v20, v33, vcc
	s_and_b64 vcc, s[0:1], vcc
	v_cndmask_b32_e64 v19, 0, v0, s[0:1]
	v_mad_u64_u32 v[30:31], s[0:1], s33, -14, v[30:31]
	v_mov_b32_e32 v31, v1
	v_cndmask_b32_e32 v18, 0, v32, vcc
	v_lshl_add_u64 v[32:33], v[30:31], 3, s[6:7]
	global_store_dwordx2 v[32:33], v[18:19], off
	v_mov_b32_e32 v18, 0x84988095
	v_mov_b32_e32 v19, 0x403d3d0b
	s_mov_b32 s1, 0x3fb99999
	s_mov_b32 s0, s66
	v_fmac_f64_e32 v[18:19], s[0:1], v[2:3]
	s_mov_b32 s0, 0xc0053e2d
	s_mov_b32 s1, 0xc0b4d618
	v_fmac_f64_e32 v[18:19], s[0:1], v[4:5]
	v_mul_f64 v[32:33], v[18:19], s[8:9]
	v_rndne_f64_e32 v[32:33], v[32:33]
	v_fma_f64 v[34:35], s[2:3], v[32:33], v[18:19]
	v_fmac_f64_e32 v[34:35], s[4:5], v[32:33]
	v_fma_f64 v[36:37], s[10:11], v[34:35], v[6:7]
	v_fma_f64 v[36:37], v[34:35], v[36:37], s[12:13]
	v_fma_f64 v[36:37], v[34:35], v[36:37], s[14:15]
	v_fma_f64 v[36:37], v[34:35], v[36:37], s[16:17]
	v_fma_f64 v[36:37], v[34:35], v[36:37], s[18:19]
	v_fma_f64 v[36:37], v[34:35], v[36:37], s[20:21]
	v_fma_f64 v[36:37], v[34:35], v[36:37], s[22:23]
	v_fma_f64 v[36:37], v[34:35], v[36:37], s[24:25]
	v_fma_f64 v[36:37], v[34:35], v[36:37], s[26:27]
	v_fma_f64 v[36:37], v[34:35], v[36:37], 1.0
	v_fma_f64 v[34:35], v[34:35], v[36:37], 1.0
	v_cvt_i32_f64_e32 v0, v[32:33]
	v_ldexp_f64 v[32:33], v[34:35], v0
	v_cmp_nlt_f64_e32 vcc, s[28:29], v[18:19]
	v_cmp_ngt_f64_e64 s[0:1], s[30:31], v[18:19]
	v_mov_b32_e32 v17, 0x4292309c
	v_cndmask_b32_e32 v0, v20, v33, vcc
	s_and_b64 vcc, s[0:1], vcc
	v_cndmask_b32_e64 v19, 0, v0, s[0:1]
	v_add_u32_e32 v0, s33, v30
	v_cndmask_b32_e32 v18, 0, v32, vcc
	v_lshl_add_u64 v[30:31], v[0:1], 3, s[6:7]
	v_add_u32_e32 v0, s33, v0
	global_store_dwordx2 v[30:31], v[18:19], off
	v_lshl_add_u64 v[18:19], v[0:1], 3, s[6:7]
	v_add_u32_e32 v0, s33, v0
	global_store_dwordx2 v[18:19], v[22:23], off
	;; [unrolled: 3-line block ×5, first 2 shown]
	v_lshl_add_u64 v[28:29], v[0:1], 3, s[6:7]
	v_mov_b64_e32 v[18:19], s[70:71]
	v_add_u32_e32 v0, s33, v0
	global_store_dwordx2 v[28:29], v[18:19], off
	v_lshl_add_u64 v[28:29], v[0:1], 3, s[6:7]
	global_store_dwordx2 v[28:29], v[16:17], off
	v_mov_b32_e32 v16, 0x8d576bf8
	v_mov_b32_e32 v17, 0xc03c7aca
	s_mov_b32 s61, 0x401e6666
	s_mov_b32 s60, 0x66666666
	;; [unrolled: 1-line block ×3, first 2 shown]
	v_fmac_f64_e32 v[16:17], s[60:61], v[2:3]
	s_mov_b32 s1, 0x409bc16b
	v_fmac_f64_e32 v[16:17], s[0:1], v[4:5]
	v_mul_f64 v[28:29], v[16:17], s[8:9]
	v_rndne_f64_e32 v[28:29], v[28:29]
	v_fma_f64 v[30:31], s[2:3], v[28:29], v[16:17]
	v_fmac_f64_e32 v[30:31], s[4:5], v[28:29]
	v_fma_f64 v[32:33], s[10:11], v[30:31], v[6:7]
	v_fma_f64 v[32:33], v[30:31], v[32:33], s[12:13]
	;; [unrolled: 1-line block ×9, first 2 shown]
	v_fma_f64 v[32:33], v[30:31], v[32:33], 1.0
	v_fma_f64 v[30:31], v[30:31], v[32:33], 1.0
	v_cvt_i32_f64_e32 v9, v[28:29]
	v_ldexp_f64 v[28:29], v[30:31], v9
	v_cmp_nlt_f64_e32 vcc, s[28:29], v[16:17]
	v_cmp_ngt_f64_e64 s[0:1], s[30:31], v[16:17]
	v_add_u32_e32 v0, s33, v0
	v_cndmask_b32_e32 v9, v20, v29, vcc
	s_and_b64 vcc, s[0:1], vcc
	v_cndmask_b32_e32 v16, 0, v28, vcc
	v_cndmask_b32_e64 v17, 0, v9, s[0:1]
	v_lshl_add_u64 v[28:29], v[0:1], 3, s[6:7]
	s_mov_b32 s74, 0x1eb851ec
	global_store_dwordx2 v[28:29], v[16:17], off
	v_mov_b32_e32 v16, 0xbaef54b7
	v_mov_b32_e32 v17, 0x40344ec8
	s_mov_b32 s75, 0x3ff9eb85
	v_fmac_f64_e32 v[16:17], s[74:75], v[2:3]
	s_mov_b32 s77, 0xc0b54ede
	v_fmac_f64_e32 v[16:17], s[76:77], v[4:5]
	v_mul_f64 v[28:29], v[16:17], s[8:9]
	v_rndne_f64_e32 v[28:29], v[28:29]
	v_fma_f64 v[30:31], s[2:3], v[28:29], v[16:17]
	v_fmac_f64_e32 v[30:31], s[4:5], v[28:29]
	v_fma_f64 v[32:33], s[10:11], v[30:31], v[6:7]
	v_fma_f64 v[32:33], v[30:31], v[32:33], s[12:13]
	v_fma_f64 v[32:33], v[30:31], v[32:33], s[14:15]
	v_fma_f64 v[32:33], v[30:31], v[32:33], s[16:17]
	v_fma_f64 v[32:33], v[30:31], v[32:33], s[18:19]
	v_fma_f64 v[32:33], v[30:31], v[32:33], s[20:21]
	v_fma_f64 v[32:33], v[30:31], v[32:33], s[22:23]
	v_fma_f64 v[32:33], v[30:31], v[32:33], s[24:25]
	v_fma_f64 v[32:33], v[30:31], v[32:33], s[26:27]
	v_fma_f64 v[32:33], v[30:31], v[32:33], 1.0
	v_fma_f64 v[30:31], v[30:31], v[32:33], 1.0
	v_cvt_i32_f64_e32 v9, v[28:29]
	v_ldexp_f64 v[28:29], v[30:31], v9
	v_cmp_nlt_f64_e32 vcc, s[28:29], v[16:17]
	v_cmp_ngt_f64_e64 s[0:1], s[30:31], v[16:17]
	v_add_u32_e32 v0, s33, v0
	v_cndmask_b32_e32 v9, v20, v29, vcc
	s_and_b64 vcc, s[0:1], vcc
	v_cndmask_b32_e32 v16, 0, v28, vcc
	v_cndmask_b32_e64 v17, 0, v9, s[0:1]
	v_lshl_add_u64 v[28:29], v[0:1], 3, s[6:7]
	global_store_dwordx2 v[28:29], v[16:17], off
	v_mov_b32_e32 v16, 0xbcba3012
	v_mov_b32_e32 v17, 0x4034be39
	s_mov_b32 s0, 0xd0a67621
	v_fmac_f64_e32 v[16:17], 0x3ff80000, v[2:3]
	s_mov_b32 s1, 0xc0b0e7a9
	v_fmac_f64_e32 v[16:17], s[0:1], v[4:5]
	v_mul_f64 v[28:29], v[16:17], s[8:9]
	v_rndne_f64_e32 v[28:29], v[28:29]
	v_fma_f64 v[30:31], s[2:3], v[28:29], v[16:17]
	v_fmac_f64_e32 v[30:31], s[4:5], v[28:29]
	v_fma_f64 v[32:33], s[10:11], v[30:31], v[6:7]
	v_fma_f64 v[32:33], v[30:31], v[32:33], s[12:13]
	v_fma_f64 v[32:33], v[30:31], v[32:33], s[14:15]
	v_fma_f64 v[32:33], v[30:31], v[32:33], s[16:17]
	v_fma_f64 v[32:33], v[30:31], v[32:33], s[18:19]
	v_fma_f64 v[32:33], v[30:31], v[32:33], s[20:21]
	v_fma_f64 v[32:33], v[30:31], v[32:33], s[22:23]
	v_fma_f64 v[32:33], v[30:31], v[32:33], s[24:25]
	v_fma_f64 v[32:33], v[30:31], v[32:33], s[26:27]
	v_fma_f64 v[32:33], v[30:31], v[32:33], 1.0
	v_fma_f64 v[30:31], v[30:31], v[32:33], 1.0
	v_cvt_i32_f64_e32 v9, v[28:29]
	v_ldexp_f64 v[28:29], v[30:31], v9
	v_cmp_nlt_f64_e32 vcc, s[28:29], v[16:17]
	v_cmp_ngt_f64_e64 s[0:1], s[30:31], v[16:17]
	v_add_u32_e32 v0, s33, v0
	v_cndmask_b32_e32 v9, v20, v29, vcc
	s_and_b64 vcc, s[0:1], vcc
	v_cndmask_b32_e32 v16, 0, v28, vcc
	v_cndmask_b32_e64 v17, 0, v9, s[0:1]
	v_lshl_add_u64 v[28:29], v[0:1], 3, s[6:7]
	;; [unrolled: 32-line block ×3, first 2 shown]
	v_add_u32_e32 v0, s33, v0
	s_mov_b32 s59, 0x42cb48eb
	global_store_dwordx2 v[28:29], v[16:17], off
	v_lshl_add_u64 v[28:29], v[0:1], 3, s[6:7]
	v_mov_b64_e32 v[16:17], s[58:59]
	global_store_dwordx2 v[28:29], v[16:17], off
	v_mov_b32_e32 v28, 0x8c1a5516
	v_mov_b32_e32 v29, 0x402d6e6c
	s_mov_b32 s0, 0x122fad6d
	v_fmac_f64_e32 v[28:29], 2.0, v[2:3]
	s_mov_b32 s1, 0xc0b0419a
	v_fmac_f64_e32 v[28:29], s[0:1], v[4:5]
	v_mul_f64 v[30:31], v[28:29], s[8:9]
	v_rndne_f64_e32 v[30:31], v[30:31]
	v_fma_f64 v[32:33], s[2:3], v[30:31], v[28:29]
	v_fmac_f64_e32 v[32:33], s[4:5], v[30:31]
	v_fma_f64 v[34:35], s[10:11], v[32:33], v[6:7]
	v_fma_f64 v[34:35], v[32:33], v[34:35], s[12:13]
	;; [unrolled: 1-line block ×9, first 2 shown]
	v_fma_f64 v[34:35], v[32:33], v[34:35], 1.0
	v_fma_f64 v[32:33], v[32:33], v[34:35], 1.0
	v_cvt_i32_f64_e32 v9, v[30:31]
	v_ldexp_f64 v[30:31], v[32:33], v9
	v_cmp_nlt_f64_e32 vcc, s[28:29], v[28:29]
	v_cmp_ngt_f64_e64 s[0:1], s[30:31], v[28:29]
	v_add_u32_e32 v0, s33, v0
	v_cndmask_b32_e32 v9, v20, v31, vcc
	s_and_b64 vcc, s[0:1], vcc
	v_cndmask_b32_e32 v28, 0, v30, vcc
	v_cndmask_b32_e64 v29, 0, v9, s[0:1]
	v_lshl_add_u64 v[30:31], v[0:1], 3, s[6:7]
	v_add_u32_e32 v0, s35, v0
	s_mov_b32 s69, 0x42d6bcc4
	global_store_dwordx2 v[30:31], v[28:29], off
	v_lshl_add_u64 v[30:31], v[0:1], 3, s[6:7]
	v_mov_b64_e32 v[28:29], s[68:69]
	v_add_u32_e32 v0, s33, v0
	global_store_dwordx2 v[30:31], v[28:29], off
	v_lshl_add_u64 v[30:31], v[0:1], 3, s[6:7]
	s_mov_b32 s0, 0xd9ec7000
	global_store_dwordx2 v[30:31], v[28:29], off
	v_mov_b32_e32 v30, 0xc1369695
	v_mov_b32_e32 v31, 0x403c19dc
	s_mov_b32 s1, 0xc07adbf3
	v_fmac_f64_e32 v[30:31], s[0:1], v[4:5]
	v_mul_f64 v[32:33], v[30:31], s[8:9]
	v_rndne_f64_e32 v[32:33], v[32:33]
	v_fma_f64 v[34:35], s[2:3], v[32:33], v[30:31]
	v_fmac_f64_e32 v[34:35], s[4:5], v[32:33]
	v_fma_f64 v[36:37], s[10:11], v[34:35], v[6:7]
	v_fma_f64 v[36:37], v[34:35], v[36:37], s[12:13]
	;; [unrolled: 1-line block ×9, first 2 shown]
	v_fma_f64 v[36:37], v[34:35], v[36:37], 1.0
	v_fma_f64 v[34:35], v[34:35], v[36:37], 1.0
	v_cvt_i32_f64_e32 v9, v[32:33]
	v_ldexp_f64 v[32:33], v[34:35], v9
	v_cmp_nlt_f64_e32 vcc, s[28:29], v[30:31]
	v_cmp_ngt_f64_e64 s[0:1], s[30:31], v[30:31]
	v_add_u32_e32 v0, s33, v0
	v_cndmask_b32_e32 v9, v20, v33, vcc
	s_and_b64 vcc, s[0:1], vcc
	v_cndmask_b32_e32 v30, 0, v32, vcc
	v_cndmask_b32_e64 v31, 0, v9, s[0:1]
	v_lshl_add_u64 v[32:33], v[0:1], 3, s[6:7]
	v_add_u32_e32 v0, s33, v0
	global_store_dwordx2 v[32:33], v[30:31], off
	v_lshl_add_u64 v[30:31], v[0:1], 3, s[6:7]
	v_add_u32_e32 v0, s33, v0
	global_store_dwordx2 v[30:31], v[22:23], off
	;; [unrolled: 3-line block ×3, first 2 shown]
	v_lshl_add_u64 v[30:31], v[0:1], 3, s[6:7]
	global_store_dwordx2 v[30:31], v[18:19], off
	v_mov_b32_e32 v30, 0xa7d4c5c0
	v_mov_b32_e32 v31, 0x40412866
	s_mov_b32 s55, 0xbfe0a3d7
	s_mov_b32 s0, 0xbcd35a86
	v_fmac_f64_e32 v[30:31], s[54:55], v[2:3]
	s_mov_b32 s1, 0xc0d8f08f
	v_fmac_f64_e32 v[30:31], s[0:1], v[4:5]
	v_mul_f64 v[32:33], v[30:31], s[8:9]
	v_rndne_f64_e32 v[32:33], v[32:33]
	v_fma_f64 v[34:35], s[2:3], v[32:33], v[30:31]
	v_fmac_f64_e32 v[34:35], s[4:5], v[32:33]
	v_fma_f64 v[36:37], s[10:11], v[34:35], v[6:7]
	v_fma_f64 v[36:37], v[34:35], v[36:37], s[12:13]
	;; [unrolled: 1-line block ×9, first 2 shown]
	v_fma_f64 v[36:37], v[34:35], v[36:37], 1.0
	v_fma_f64 v[34:35], v[34:35], v[36:37], 1.0
	v_cvt_i32_f64_e32 v9, v[32:33]
	v_ldexp_f64 v[32:33], v[34:35], v9
	v_cmp_nlt_f64_e32 vcc, s[28:29], v[30:31]
	v_cmp_ngt_f64_e64 s[0:1], s[30:31], v[30:31]
	v_add_u32_e32 v0, s33, v0
	v_cndmask_b32_e32 v9, v20, v33, vcc
	s_and_b64 vcc, s[0:1], vcc
	v_cndmask_b32_e32 v30, 0, v32, vcc
	v_cndmask_b32_e64 v31, 0, v9, s[0:1]
	v_lshl_add_u64 v[32:33], v[0:1], 3, s[6:7]
	global_store_dwordx2 v[32:33], v[30:31], off
	v_mov_b32_e32 v30, 0xe545699
	v_mov_b32_e32 v31, 0x4033c577
	s_mov_b32 s0, 0x902de01
	v_fmac_f64_e32 v[30:31], s[74:75], v[2:3]
	s_mov_b32 s1, 0xc0d234d2
	v_fmac_f64_e32 v[30:31], s[0:1], v[4:5]
	v_mul_f64 v[32:33], v[30:31], s[8:9]
	v_rndne_f64_e32 v[32:33], v[32:33]
	v_fma_f64 v[34:35], s[2:3], v[32:33], v[30:31]
	v_fmac_f64_e32 v[34:35], s[4:5], v[32:33]
	v_fma_f64 v[36:37], s[10:11], v[34:35], v[6:7]
	v_fma_f64 v[36:37], v[34:35], v[36:37], s[12:13]
	;; [unrolled: 1-line block ×9, first 2 shown]
	v_fma_f64 v[36:37], v[34:35], v[36:37], 1.0
	v_fma_f64 v[34:35], v[34:35], v[36:37], 1.0
	v_cvt_i32_f64_e32 v9, v[32:33]
	v_ldexp_f64 v[32:33], v[34:35], v9
	v_cmp_nlt_f64_e32 vcc, s[28:29], v[30:31]
	v_cmp_ngt_f64_e64 s[0:1], s[30:31], v[30:31]
	v_add_f64 v[12:13], v[2:3], v[2:3]
	v_cndmask_b32_e32 v9, v20, v33, vcc
	s_and_b64 vcc, s[0:1], vcc
	v_cndmask_b32_e64 v31, 0, v9, s[0:1]
	s_mov_b32 s0, 0xb2b777d1
	v_add_u32_e32 v0, s33, v0
	s_mov_b32 s1, 0xc08de0e4
	v_cndmask_b32_e32 v30, 0, v32, vcc
	v_lshl_add_u64 v[32:33], v[0:1], 3, s[6:7]
	v_fmac_f64_e32 v[12:13], s[0:1], v[4:5]
	global_store_dwordx2 v[32:33], v[30:31], off
	v_mul_f64 v[30:31], v[12:13], s[8:9]
	v_rndne_f64_e32 v[30:31], v[30:31]
	v_fma_f64 v[32:33], s[2:3], v[30:31], v[12:13]
	v_fmac_f64_e32 v[32:33], s[4:5], v[30:31]
	v_fma_f64 v[34:35], s[10:11], v[32:33], v[6:7]
	v_fma_f64 v[34:35], v[32:33], v[34:35], s[12:13]
	;; [unrolled: 1-line block ×9, first 2 shown]
	v_fma_f64 v[34:35], v[32:33], v[34:35], 1.0
	v_fma_f64 v[32:33], v[32:33], v[34:35], 1.0
	v_cvt_i32_f64_e32 v9, v[30:31]
	v_ldexp_f64 v[30:31], v[32:33], v9
	v_cmp_nlt_f64_e32 vcc, s[28:29], v[12:13]
	v_cmp_ngt_f64_e64 s[0:1], s[30:31], v[12:13]
	v_add_u32_e32 v0, s33, v0
	v_cndmask_b32_e32 v9, v20, v31, vcc
	s_and_b64 vcc, s[0:1], vcc
	v_cndmask_b32_e64 v13, 0, v9, s[0:1]
	s_mov_b32 s0, 0
	v_cndmask_b32_e32 v12, 0, v30, vcc
	s_mov_b32 s1, 0x416f20c0
	v_mul_f64 v[30:31], v[12:13], s[0:1]
	s_mov_b32 s0, 0
	v_lshl_add_u64 v[32:33], v[0:1], 3, s[6:7]
	s_mov_b32 s1, 0x414f20c0
	v_add_u32_e32 v0, s33, v0
	global_store_dwordx2 v[32:33], v[30:31], off
	v_mul_f64 v[12:13], v[12:13], s[0:1]
	v_lshl_add_u64 v[30:31], v[0:1], 3, s[6:7]
	global_store_dwordx2 v[30:31], v[12:13], off
	v_mov_b32_e32 v12, 0x10492360
	v_mov_b32_e32 v13, 0xc020dcae
	v_fmac_f64_e32 v[12:13], 0x40120000, v[2:3]
	s_mov_b32 s57, 0x407f7377
	v_fmac_f64_e32 v[12:13], s[56:57], v[4:5]
	v_mul_f64 v[30:31], v[12:13], s[8:9]
	v_rndne_f64_e32 v[30:31], v[30:31]
	v_fma_f64 v[32:33], s[2:3], v[30:31], v[12:13]
	v_fmac_f64_e32 v[32:33], s[4:5], v[30:31]
	v_fma_f64 v[34:35], s[10:11], v[32:33], v[6:7]
	v_fma_f64 v[34:35], v[32:33], v[34:35], s[12:13]
	;; [unrolled: 1-line block ×9, first 2 shown]
	v_fma_f64 v[34:35], v[32:33], v[34:35], 1.0
	v_fma_f64 v[32:33], v[32:33], v[34:35], 1.0
	v_cvt_i32_f64_e32 v9, v[30:31]
	v_ldexp_f64 v[30:31], v[32:33], v9
	v_cmp_nlt_f64_e32 vcc, s[28:29], v[12:13]
	v_cmp_ngt_f64_e64 s[0:1], s[30:31], v[12:13]
	v_add_u32_e32 v0, s33, v0
	v_cndmask_b32_e32 v9, v20, v31, vcc
	s_and_b64 vcc, s[0:1], vcc
	v_cndmask_b32_e32 v12, 0, v30, vcc
	v_cndmask_b32_e64 v13, 0, v9, s[0:1]
	v_lshl_add_u64 v[30:31], v[0:1], 3, s[6:7]
	global_store_dwordx2 v[30:31], v[12:13], off
	v_mov_b32_e32 v12, 0xe9b53ae0
	v_mov_b32_e32 v13, 0xc01e8abe
	v_fmac_f64_e32 v[12:13], 4.0, v[2:3]
	s_mov_b32 s57, 0x408f7377
	s_mov_b32 s56, 0x7af64064
	v_fmac_f64_e32 v[12:13], s[56:57], v[4:5]
	v_mul_f64 v[30:31], v[12:13], s[8:9]
	v_rndne_f64_e32 v[30:31], v[30:31]
	v_fma_f64 v[32:33], s[2:3], v[30:31], v[12:13]
	v_fmac_f64_e32 v[32:33], s[4:5], v[30:31]
	v_fma_f64 v[34:35], s[10:11], v[32:33], v[6:7]
	v_fma_f64 v[34:35], v[32:33], v[34:35], s[12:13]
	;; [unrolled: 1-line block ×9, first 2 shown]
	v_fma_f64 v[34:35], v[32:33], v[34:35], 1.0
	v_fma_f64 v[32:33], v[32:33], v[34:35], 1.0
	v_cvt_i32_f64_e32 v9, v[30:31]
	v_ldexp_f64 v[30:31], v[32:33], v9
	v_cmp_nlt_f64_e32 vcc, s[28:29], v[12:13]
	v_cmp_ngt_f64_e64 s[0:1], s[30:31], v[12:13]
	v_add_u32_e32 v0, s33, v0
	v_cndmask_b32_e32 v9, v20, v31, vcc
	s_and_b64 vcc, s[0:1], vcc
	v_cndmask_b32_e32 v12, 0, v30, vcc
	v_cndmask_b32_e64 v13, 0, v9, s[0:1]
	v_lshl_add_u64 v[30:31], v[0:1], 3, s[6:7]
	global_store_dwordx2 v[30:31], v[12:13], off
	v_mov_b32_e32 v12, 0x85114c59
	v_mov_b32_e32 v13, 0x40301e3b
	s_mov_b32 s66, 0x9ae924f2
	v_fmac_f64_e32 v[12:13], 2.0, v[2:3]
	s_mov_b32 s67, 0xc0a79699
	v_fma_f64 v[30:31], s[66:67], v[4:5], v[12:13]
	v_mul_f64 v[32:33], v[30:31], s[8:9]
	v_rndne_f64_e32 v[32:33], v[32:33]
	v_fma_f64 v[34:35], s[2:3], v[32:33], v[30:31]
	v_fmac_f64_e32 v[34:35], s[4:5], v[32:33]
	v_fma_f64 v[36:37], s[10:11], v[34:35], v[6:7]
	v_fma_f64 v[36:37], v[34:35], v[36:37], s[12:13]
	;; [unrolled: 1-line block ×9, first 2 shown]
	v_fma_f64 v[36:37], v[34:35], v[36:37], 1.0
	v_fma_f64 v[34:35], v[34:35], v[36:37], 1.0
	v_cvt_i32_f64_e32 v9, v[32:33]
	v_ldexp_f64 v[32:33], v[34:35], v9
	v_cmp_nlt_f64_e32 vcc, s[28:29], v[30:31]
	v_cmp_ngt_f64_e64 s[0:1], s[30:31], v[30:31]
	v_add_u32_e32 v0, s33, v0
	v_cndmask_b32_e32 v9, v20, v33, vcc
	s_and_b64 vcc, s[0:1], vcc
	v_cndmask_b32_e32 v30, 0, v32, vcc
	v_cndmask_b32_e64 v31, 0, v9, s[0:1]
	v_lshl_add_u64 v[32:33], v[0:1], 3, s[6:7]
	global_store_dwordx2 v[32:33], v[30:31], off
	v_mov_b32_e32 v30, 0x8e7ddca5
	v_mov_b32_e32 v31, 0x405fdb8f
	s_mov_b32 s55, 0xc027a3d7
	s_mov_b32 s0, 0x9db22d0e
	v_fmac_f64_e32 v[30:31], s[54:55], v[2:3]
	s_mov_b32 s1, 0xc0d18efb
	v_fmac_f64_e32 v[30:31], s[0:1], v[4:5]
	v_mul_f64 v[32:33], v[30:31], s[8:9]
	v_rndne_f64_e32 v[32:33], v[32:33]
	v_fma_f64 v[34:35], s[2:3], v[32:33], v[30:31]
	v_fmac_f64_e32 v[34:35], s[4:5], v[32:33]
	v_fma_f64 v[36:37], s[10:11], v[34:35], v[6:7]
	v_fma_f64 v[36:37], v[34:35], v[36:37], s[12:13]
	;; [unrolled: 1-line block ×9, first 2 shown]
	v_fma_f64 v[36:37], v[34:35], v[36:37], 1.0
	v_fma_f64 v[34:35], v[34:35], v[36:37], 1.0
	v_cvt_i32_f64_e32 v9, v[32:33]
	v_ldexp_f64 v[32:33], v[34:35], v9
	v_cmp_nlt_f64_e32 vcc, s[28:29], v[30:31]
	v_cmp_ngt_f64_e64 s[0:1], s[30:31], v[30:31]
	v_add_u32_e32 v0, s33, v0
	v_cndmask_b32_e32 v9, v20, v33, vcc
	s_and_b64 vcc, s[0:1], vcc
	v_cndmask_b32_e32 v30, 0, v32, vcc
	v_cndmask_b32_e64 v31, 0, v9, s[0:1]
	v_lshl_add_u64 v[32:33], v[0:1], 3, s[6:7]
	v_add_u32_e32 v0, s33, v0
	global_store_dwordx2 v[32:33], v[30:31], off
	v_lshl_add_u64 v[30:31], v[0:1], 3, s[6:7]
	v_add_u32_e32 v0, s33, v0
	global_store_dwordx2 v[30:31], v[28:29], off
	;; [unrolled: 3-line block ×4, first 2 shown]
	v_lshl_add_u64 v[24:25], v[0:1], 3, s[6:7]
	global_store_dwordx2 v[24:25], v[18:19], off
	v_mov_b32_e32 v24, 0xf8104776
	v_mov_b32_e32 v25, 0x4040b70d
	s_mov_b32 s43, 0xbfaeb851
	s_mov_b32 s0, 0x77af6406
	v_fmac_f64_e32 v[24:25], s[42:43], v[2:3]
	s_mov_b32 s1, 0xc0b0b557
	v_fmac_f64_e32 v[24:25], s[0:1], v[4:5]
	v_mul_f64 v[30:31], v[24:25], s[8:9]
	v_rndne_f64_e32 v[30:31], v[30:31]
	v_fma_f64 v[32:33], s[2:3], v[30:31], v[24:25]
	v_fmac_f64_e32 v[32:33], s[4:5], v[30:31]
	v_fma_f64 v[34:35], s[10:11], v[32:33], v[6:7]
	v_fma_f64 v[34:35], v[32:33], v[34:35], s[12:13]
	;; [unrolled: 1-line block ×9, first 2 shown]
	v_fma_f64 v[34:35], v[32:33], v[34:35], 1.0
	v_fma_f64 v[32:33], v[32:33], v[34:35], 1.0
	v_cvt_i32_f64_e32 v9, v[30:31]
	v_ldexp_f64 v[30:31], v[32:33], v9
	v_cmp_nlt_f64_e32 vcc, s[28:29], v[24:25]
	v_cmp_ngt_f64_e64 s[0:1], s[30:31], v[24:25]
	v_add_u32_e32 v0, s33, v0
	v_cndmask_b32_e32 v9, v20, v31, vcc
	s_and_b64 vcc, s[0:1], vcc
	v_cndmask_b32_e32 v24, 0, v30, vcc
	v_cndmask_b32_e64 v25, 0, v9, s[0:1]
	v_lshl_add_u64 v[30:31], v[0:1], 3, s[6:7]
	global_store_dwordx2 v[30:31], v[24:25], off
	v_mov_b32_e32 v24, 0x821d7c12
	v_mov_b32_e32 v25, 0x403520f4
	s_mov_b32 s47, 0x3ff6e147
	s_mov_b32 s0, 0x8216c615
	v_fmac_f64_e32 v[24:25], s[46:47], v[2:3]
	s_mov_b32 s1, 0xc095269c
	v_fmac_f64_e32 v[24:25], s[0:1], v[4:5]
	v_mul_f64 v[30:31], v[24:25], s[8:9]
	v_rndne_f64_e32 v[30:31], v[30:31]
	v_fma_f64 v[32:33], s[2:3], v[30:31], v[24:25]
	v_fmac_f64_e32 v[32:33], s[4:5], v[30:31]
	v_fma_f64 v[34:35], s[10:11], v[32:33], v[6:7]
	v_fma_f64 v[34:35], v[32:33], v[34:35], s[12:13]
	;; [unrolled: 1-line block ×9, first 2 shown]
	v_fma_f64 v[34:35], v[32:33], v[34:35], 1.0
	v_fma_f64 v[32:33], v[32:33], v[34:35], 1.0
	v_cvt_i32_f64_e32 v9, v[30:31]
	v_ldexp_f64 v[30:31], v[32:33], v9
	v_cmp_nlt_f64_e32 vcc, s[28:29], v[24:25]
	v_cmp_ngt_f64_e64 s[0:1], s[30:31], v[24:25]
	v_add_u32_e32 v0, s35, v0
	v_cndmask_b32_e32 v9, v20, v31, vcc
	s_and_b64 vcc, s[0:1], vcc
	v_cndmask_b32_e64 v25, 0, v9, s[0:1]
	s_mov_b32 s0, 0x712a0ec7
	s_mov_b32 s1, 0xc0853abd
	v_cndmask_b32_e32 v24, 0, v30, vcc
	v_lshl_add_u64 v[30:31], v[0:1], 3, s[6:7]
	v_fmac_f64_e32 v[10:11], s[0:1], v[4:5]
	global_store_dwordx2 v[30:31], v[24:25], off
	v_mul_f64 v[24:25], v[10:11], s[8:9]
	v_rndne_f64_e32 v[24:25], v[24:25]
	v_fma_f64 v[30:31], s[2:3], v[24:25], v[10:11]
	v_fmac_f64_e32 v[30:31], s[4:5], v[24:25]
	v_fma_f64 v[32:33], s[10:11], v[30:31], v[6:7]
	v_fma_f64 v[32:33], v[30:31], v[32:33], s[12:13]
	v_fma_f64 v[32:33], v[30:31], v[32:33], s[14:15]
	v_fma_f64 v[32:33], v[30:31], v[32:33], s[16:17]
	v_fma_f64 v[32:33], v[30:31], v[32:33], s[18:19]
	v_fma_f64 v[32:33], v[30:31], v[32:33], s[20:21]
	v_fma_f64 v[32:33], v[30:31], v[32:33], s[22:23]
	v_fma_f64 v[32:33], v[30:31], v[32:33], s[24:25]
	v_fma_f64 v[32:33], v[30:31], v[32:33], s[26:27]
	v_fma_f64 v[32:33], v[30:31], v[32:33], 1.0
	v_fma_f64 v[30:31], v[30:31], v[32:33], 1.0
	v_cvt_i32_f64_e32 v9, v[24:25]
	v_ldexp_f64 v[24:25], v[30:31], v9
	v_cmp_nlt_f64_e32 vcc, s[28:29], v[10:11]
	v_cmp_ngt_f64_e64 s[0:1], s[30:31], v[10:11]
	v_add_u32_e32 v0, s35, v0
	v_cndmask_b32_e32 v9, v20, v25, vcc
	s_and_b64 vcc, s[0:1], vcc
	v_cndmask_b32_e32 v10, 0, v24, vcc
	v_cndmask_b32_e64 v11, 0, v9, s[0:1]
	v_lshl_add_u64 v[24:25], v[0:1], 3, s[6:7]
	s_mov_b32 s57, 0xc08f7377
	global_store_dwordx2 v[24:25], v[10:11], off
	v_mul_f64 v[10:11], v[4:5], s[56:57]
	v_mul_f64 v[24:25], v[10:11], s[8:9]
	v_rndne_f64_e32 v[24:25], v[24:25]
	v_fma_f64 v[30:31], s[2:3], v[24:25], v[10:11]
	v_fmac_f64_e32 v[30:31], s[4:5], v[24:25]
	v_fma_f64 v[32:33], s[10:11], v[30:31], v[6:7]
	v_fma_f64 v[32:33], v[30:31], v[32:33], s[12:13]
	;; [unrolled: 1-line block ×9, first 2 shown]
	v_fma_f64 v[32:33], v[30:31], v[32:33], 1.0
	v_fma_f64 v[30:31], v[30:31], v[32:33], 1.0
	v_cvt_i32_f64_e32 v9, v[24:25]
	v_ldexp_f64 v[24:25], v[30:31], v9
	v_cmp_nlt_f64_e32 vcc, s[28:29], v[10:11]
	v_cmp_ngt_f64_e64 s[0:1], s[30:31], v[10:11]
	s_mov_b32 s59, 0x429b48eb
	v_cndmask_b32_e32 v9, v20, v25, vcc
	s_and_b64 vcc, s[0:1], vcc
	v_cndmask_b32_e32 v10, 0, v24, vcc
	v_cndmask_b32_e64 v11, 0, v9, s[0:1]
	v_add_u32_e32 v0, s33, v0
	v_mul_f64 v[24:25], v[10:11], s[58:59]
	v_lshl_add_u64 v[30:31], v[0:1], 3, s[6:7]
	global_store_dwordx2 v[30:31], v[24:25], off
	v_mad_u64_u32 v[30:31], s[0:1], s33, 21, v[0:1]
	v_mov_b32_e32 v31, v1
	v_mul_f64 v[24:25], v[10:11], s[70:71]
	v_lshl_add_u64 v[32:33], v[30:31], 3, s[6:7]
	global_store_dwordx2 v[32:33], v[24:25], off
	v_mad_u64_u32 v[24:25], s[0:1], s33, 34, v[30:31]
	v_mov_b32_e32 v25, v1
	v_mul_f64 v[10:11], v[10:11], s[44:45]
	v_lshl_add_u64 v[30:31], v[24:25], 3, s[6:7]
	global_store_dwordx2 v[30:31], v[10:11], off
	v_mov_b32_e32 v10, 0x63073655
	v_mov_b32_e32 v11, 0x403d6f9f
	s_mov_b32 s59, 0x3fd147ae
	s_mov_b32 s58, 0x147ae148
	;; [unrolled: 1-line block ×3, first 2 shown]
	v_fmac_f64_e32 v[10:11], s[58:59], v[2:3]
	s_mov_b32 s1, 0xc0619cd2
	v_fmac_f64_e32 v[10:11], s[0:1], v[4:5]
	v_mul_f64 v[30:31], v[10:11], s[8:9]
	v_rndne_f64_e32 v[30:31], v[30:31]
	v_fma_f64 v[32:33], s[2:3], v[30:31], v[10:11]
	v_fmac_f64_e32 v[32:33], s[4:5], v[30:31]
	v_fma_f64 v[34:35], s[10:11], v[32:33], v[6:7]
	v_fma_f64 v[34:35], v[32:33], v[34:35], s[12:13]
	;; [unrolled: 1-line block ×9, first 2 shown]
	v_fma_f64 v[34:35], v[32:33], v[34:35], 1.0
	v_fma_f64 v[32:33], v[32:33], v[34:35], 1.0
	v_cvt_i32_f64_e32 v0, v[30:31]
	v_ldexp_f64 v[30:31], v[32:33], v0
	v_cmp_nlt_f64_e32 vcc, s[28:29], v[10:11]
	v_cmp_ngt_f64_e64 s[0:1], s[30:31], v[10:11]
	s_mov_b32 s53, 0x42c5d3ef
	v_cndmask_b32_e32 v0, v20, v31, vcc
	s_and_b64 vcc, s[0:1], vcc
	v_cndmask_b32_e64 v11, 0, v0, s[0:1]
	s_mul_i32 s0, s33, 0xffffffca
	v_add_u32_e32 v0, s0, v24
	v_cndmask_b32_e32 v10, 0, v30, vcc
	v_lshl_add_u64 v[24:25], v[0:1], 3, s[6:7]
	v_add_u32_e32 v0, s33, v0
	global_store_dwordx2 v[24:25], v[10:11], off
	v_lshl_add_u64 v[10:11], v[0:1], 3, s[6:7]
	v_add_u32_e32 v0, s33, v0
	global_store_dwordx2 v[10:11], v[26:27], off
	;; [unrolled: 3-line block ×3, first 2 shown]
	v_lshl_add_u64 v[10:11], v[0:1], 3, s[6:7]
	v_mov_b64_e32 v[24:25], s[52:53]
	v_add_u32_e32 v0, s33, v0
	global_store_dwordx2 v[10:11], v[24:25], off
	v_lshl_add_u64 v[10:11], v[0:1], 3, s[6:7]
	v_add_u32_e32 v0, s33, v0
	global_store_dwordx2 v[10:11], v[24:25], off
	v_lshl_add_u64 v[10:11], v[0:1], 3, s[6:7]
	v_mov_b32_e32 v24, 0xdaac0000
	v_mov_b32_e32 v25, 0x42bb6287
	global_store_dwordx2 v[10:11], v[24:25], off
	v_mov_b32_e32 v10, 0x652a2644
	v_mov_b32_e32 v11, 0x402c3763
	s_mov_b32 s73, 0x3ff9c28f
	s_mov_b32 s0, 0x590c0ad0
	v_fmac_f64_e32 v[10:11], s[72:73], v[2:3]
	s_mov_b32 s1, 0x40681ddd
	v_fmac_f64_e32 v[10:11], s[0:1], v[4:5]
	v_mul_f64 v[24:25], v[10:11], s[8:9]
	v_rndne_f64_e32 v[24:25], v[24:25]
	v_fma_f64 v[26:27], s[2:3], v[24:25], v[10:11]
	v_fmac_f64_e32 v[26:27], s[4:5], v[24:25]
	v_fma_f64 v[30:31], s[10:11], v[26:27], v[6:7]
	v_fma_f64 v[30:31], v[26:27], v[30:31], s[12:13]
	v_fma_f64 v[30:31], v[26:27], v[30:31], s[14:15]
	v_fma_f64 v[30:31], v[26:27], v[30:31], s[16:17]
	v_fma_f64 v[30:31], v[26:27], v[30:31], s[18:19]
	v_fma_f64 v[30:31], v[26:27], v[30:31], s[20:21]
	v_fma_f64 v[30:31], v[26:27], v[30:31], s[22:23]
	v_fma_f64 v[30:31], v[26:27], v[30:31], s[24:25]
	v_fma_f64 v[30:31], v[26:27], v[30:31], s[26:27]
	v_fma_f64 v[30:31], v[26:27], v[30:31], 1.0
	v_fma_f64 v[26:27], v[26:27], v[30:31], 1.0
	v_cvt_i32_f64_e32 v9, v[24:25]
	v_ldexp_f64 v[24:25], v[26:27], v9
	v_cmp_nlt_f64_e32 vcc, s[28:29], v[10:11]
	v_cmp_ngt_f64_e64 s[0:1], s[30:31], v[10:11]
	v_add_u32_e32 v0, s33, v0
	v_cndmask_b32_e32 v9, v20, v25, vcc
	s_and_b64 vcc, s[0:1], vcc
	v_cndmask_b32_e32 v10, 0, v24, vcc
	v_cndmask_b32_e64 v11, 0, v9, s[0:1]
	v_lshl_add_u64 v[24:25], v[0:1], 3, s[6:7]
	global_store_dwordx2 v[24:25], v[10:11], off
	v_mov_b32_e32 v10, 0x9924ff9
	v_mov_b32_e32 v11, 0x403a6d53
	s_mov_b32 s69, 0x3fd28f5c
	s_mov_b32 s68, 0x28f5c28f
	s_mov_b32 s0, 0x87c07e35
	v_fmac_f64_e32 v[10:11], s[68:69], v[2:3]
	s_mov_b32 s1, 0xc016243b
	v_fmac_f64_e32 v[10:11], s[0:1], v[4:5]
	v_mul_f64 v[24:25], v[10:11], s[8:9]
	v_rndne_f64_e32 v[24:25], v[24:25]
	v_fma_f64 v[26:27], s[2:3], v[24:25], v[10:11]
	v_fmac_f64_e32 v[26:27], s[4:5], v[24:25]
	v_fma_f64 v[30:31], s[10:11], v[26:27], v[6:7]
	v_fma_f64 v[30:31], v[26:27], v[30:31], s[12:13]
	;; [unrolled: 1-line block ×9, first 2 shown]
	v_fma_f64 v[30:31], v[26:27], v[30:31], 1.0
	v_fma_f64 v[26:27], v[26:27], v[30:31], 1.0
	v_cvt_i32_f64_e32 v9, v[24:25]
	v_ldexp_f64 v[24:25], v[26:27], v9
	v_cmp_nlt_f64_e32 vcc, s[28:29], v[10:11]
	v_cmp_ngt_f64_e64 s[0:1], s[30:31], v[10:11]
	v_add_u32_e32 v0, s33, v0
	v_cndmask_b32_e32 v9, v20, v25, vcc
	s_and_b64 vcc, s[0:1], vcc
	v_cndmask_b32_e32 v10, 0, v24, vcc
	v_cndmask_b32_e64 v11, 0, v9, s[0:1]
	v_lshl_add_u64 v[24:25], v[0:1], 3, s[6:7]
	s_mov_b32 s0, 0xa3d70a3d
	global_store_dwordx2 v[24:25], v[10:11], off
	v_mov_b32_e32 v10, 0x8be57bf0
	v_mov_b32_e32 v11, 0x40432f07
	s_mov_b32 s1, 0xbff63d70
	v_fmac_f64_e32 v[10:11], s[0:1], v[2:3]
	s_mov_b32 s0, 0x395c4220
	s_mov_b32 s1, 0xc07fc3fb
	v_fmac_f64_e32 v[10:11], s[0:1], v[4:5]
	v_mul_f64 v[24:25], v[10:11], s[8:9]
	v_rndne_f64_e32 v[24:25], v[24:25]
	v_fma_f64 v[26:27], s[2:3], v[24:25], v[10:11]
	v_fmac_f64_e32 v[26:27], s[4:5], v[24:25]
	v_fma_f64 v[30:31], s[10:11], v[26:27], v[6:7]
	v_fma_f64 v[30:31], v[26:27], v[30:31], s[12:13]
	;; [unrolled: 1-line block ×9, first 2 shown]
	v_fma_f64 v[30:31], v[26:27], v[30:31], 1.0
	v_fma_f64 v[26:27], v[26:27], v[30:31], 1.0
	v_cvt_i32_f64_e32 v9, v[24:25]
	v_ldexp_f64 v[24:25], v[26:27], v9
	v_cmp_nlt_f64_e32 vcc, s[28:29], v[10:11]
	v_cmp_ngt_f64_e64 s[0:1], s[30:31], v[10:11]
	v_add_u32_e32 v0, s33, v0
	v_cndmask_b32_e32 v9, v20, v25, vcc
	s_and_b64 vcc, s[0:1], vcc
	v_cndmask_b32_e32 v10, 0, v24, vcc
	v_cndmask_b32_e64 v11, 0, v9, s[0:1]
	v_lshl_add_u64 v[24:25], v[0:1], 3, s[6:7]
	v_add_u32_e32 v0, s33, v0
	global_store_dwordx2 v[24:25], v[10:11], off
	v_lshl_add_u64 v[10:11], v[0:1], 3, s[6:7]
	global_store_dwordx2 v[10:11], v[18:19], off
	v_mov_b32_e32 v10, 0xa9c205c9
	v_mov_b32_e32 v11, 0x4037376a
	s_mov_b32 s57, 0x4072beac
	s_mov_b32 s56, 0x94b380cb
	v_fmac_f64_e32 v[10:11], s[56:57], v[4:5]
	v_mul_f64 v[18:19], v[10:11], s[8:9]
	v_rndne_f64_e32 v[18:19], v[18:19]
	v_fma_f64 v[24:25], s[2:3], v[18:19], v[10:11]
	v_fmac_f64_e32 v[24:25], s[4:5], v[18:19]
	v_fma_f64 v[26:27], s[10:11], v[24:25], v[6:7]
	v_fma_f64 v[26:27], v[24:25], v[26:27], s[12:13]
	;; [unrolled: 1-line block ×9, first 2 shown]
	v_fma_f64 v[26:27], v[24:25], v[26:27], 1.0
	v_fma_f64 v[24:25], v[24:25], v[26:27], 1.0
	v_cvt_i32_f64_e32 v9, v[18:19]
	v_ldexp_f64 v[18:19], v[24:25], v9
	v_cmp_nlt_f64_e32 vcc, s[28:29], v[10:11]
	v_cmp_ngt_f64_e64 s[0:1], s[30:31], v[10:11]
	v_add_u32_e32 v0, s33, v0
	v_cndmask_b32_e32 v9, v20, v19, vcc
	s_and_b64 vcc, s[0:1], vcc
	v_cndmask_b32_e32 v10, 0, v18, vcc
	v_cndmask_b32_e64 v11, 0, v9, s[0:1]
	v_lshl_add_u64 v[18:19], v[0:1], 3, s[6:7]
	v_add_u32_e32 v0, s33, v0
	global_store_dwordx2 v[18:19], v[10:11], off
	v_lshl_add_u64 v[10:11], v[0:1], 3, s[6:7]
	v_mov_b32_e32 v18, 0xe4010000
	v_mov_b32_e32 v19, 0x42d489e5
	v_add_u32_e32 v0, s33, v0
	global_store_dwordx2 v[10:11], v[18:19], off
	v_lshl_add_u64 v[10:11], v[0:1], 3, s[6:7]
	v_bfrev_b32_e32 v18, 42
	v_mov_b32_e32 v19, 0x4256d141
	v_add_u32_e32 v0, s33, v0
	global_store_dwordx2 v[10:11], v[18:19], off
	v_lshl_add_u64 v[18:19], v[0:1], 3, s[6:7]
	v_mov_b32_e32 v10, 0x1e900000
	v_mov_b32_e32 v11, 0x42b6bcc4
	global_store_dwordx2 v[18:19], v[10:11], off
	v_mov_b32_e32 v18, 0xe113abae
	v_mov_b32_e32 v19, 0x404bd570
	s_mov_b32 s55, 0xc006a3d7
	s_mov_b32 s0, 0xa75cd0bb
	v_fmac_f64_e32 v[18:19], s[54:55], v[2:3]
	s_mov_b32 s1, 0xc0c24c71
	v_fmac_f64_e32 v[18:19], s[0:1], v[4:5]
	v_mul_f64 v[24:25], v[18:19], s[8:9]
	v_rndne_f64_e32 v[24:25], v[24:25]
	v_fma_f64 v[26:27], s[2:3], v[24:25], v[18:19]
	v_fmac_f64_e32 v[26:27], s[4:5], v[24:25]
	v_fma_f64 v[30:31], s[10:11], v[26:27], v[6:7]
	v_fma_f64 v[30:31], v[26:27], v[30:31], s[12:13]
	;; [unrolled: 1-line block ×9, first 2 shown]
	v_fma_f64 v[30:31], v[26:27], v[30:31], 1.0
	v_fma_f64 v[26:27], v[26:27], v[30:31], 1.0
	v_cvt_i32_f64_e32 v9, v[24:25]
	v_ldexp_f64 v[24:25], v[26:27], v9
	v_cmp_nlt_f64_e32 vcc, s[28:29], v[18:19]
	v_cmp_ngt_f64_e64 s[0:1], s[30:31], v[18:19]
	v_add_u32_e32 v0, s33, v0
	v_cndmask_b32_e32 v9, v20, v25, vcc
	s_and_b64 vcc, s[0:1], vcc
	v_cndmask_b32_e32 v18, 0, v24, vcc
	v_cndmask_b32_e64 v19, 0, v9, s[0:1]
	v_lshl_add_u64 v[24:25], v[0:1], 3, s[6:7]
	s_mov_b32 s0, 0x95810625
	global_store_dwordx2 v[24:25], v[18:19], off
	v_mov_b32_e32 v18, 0x7bb2fec5
	v_mov_b32_e32 v19, 0x40581d72
	s_mov_b32 s1, 0xc0224b43
	v_fmac_f64_e32 v[18:19], s[0:1], v[2:3]
	s_mov_b32 s0, 0x2617c1be
	s_mov_b32 s1, 0xc0d70c37
	v_fmac_f64_e32 v[18:19], s[0:1], v[4:5]
	v_mul_f64 v[24:25], v[18:19], s[8:9]
	v_rndne_f64_e32 v[24:25], v[24:25]
	v_fma_f64 v[26:27], s[2:3], v[24:25], v[18:19]
	v_fmac_f64_e32 v[26:27], s[4:5], v[24:25]
	v_fma_f64 v[30:31], s[10:11], v[26:27], v[6:7]
	v_fma_f64 v[30:31], v[26:27], v[30:31], s[12:13]
	;; [unrolled: 1-line block ×9, first 2 shown]
	v_fma_f64 v[30:31], v[26:27], v[30:31], 1.0
	v_fma_f64 v[26:27], v[26:27], v[30:31], 1.0
	v_cvt_i32_f64_e32 v9, v[24:25]
	v_ldexp_f64 v[24:25], v[26:27], v9
	v_cmp_nlt_f64_e32 vcc, s[28:29], v[18:19]
	v_cmp_ngt_f64_e64 s[0:1], s[30:31], v[18:19]
	v_add_u32_e32 v0, s33, v0
	v_cndmask_b32_e32 v9, v20, v25, vcc
	s_and_b64 vcc, s[0:1], vcc
	v_cndmask_b32_e32 v18, 0, v24, vcc
	v_cndmask_b32_e64 v19, 0, v9, s[0:1]
	v_lshl_add_u64 v[24:25], v[0:1], 3, s[6:7]
	v_add_u32_e32 v0, s33, v0
	global_store_dwordx2 v[24:25], v[18:19], off
	v_lshl_add_u64 v[18:19], v[0:1], 3, s[6:7]
	v_add_u32_e32 v0, s33, v0
	global_store_dwordx2 v[18:19], v[28:29], off
	v_lshl_add_u64 v[18:19], v[0:1], 3, s[6:7]
	v_mov_b32_e32 v24, 0x81e80000
	v_mov_b32_e32 v25, 0x42d476b0
	global_store_dwordx2 v[18:19], v[24:25], off
	v_mul_f64 v[18:19], v[4:5], s[50:51]
	v_mul_f64 v[24:25], v[18:19], s[8:9]
	v_rndne_f64_e32 v[24:25], v[24:25]
	v_fma_f64 v[26:27], s[2:3], v[24:25], v[18:19]
	v_fmac_f64_e32 v[26:27], s[4:5], v[24:25]
	v_fma_f64 v[28:29], s[10:11], v[26:27], v[6:7]
	v_fma_f64 v[28:29], v[26:27], v[28:29], s[12:13]
	;; [unrolled: 1-line block ×9, first 2 shown]
	v_fma_f64 v[28:29], v[26:27], v[28:29], 1.0
	v_fma_f64 v[26:27], v[26:27], v[28:29], 1.0
	v_cvt_i32_f64_e32 v9, v[24:25]
	v_ldexp_f64 v[24:25], v[26:27], v9
	v_mul_f64 v[24:25], v[24:25], s[44:45]
	v_cmp_nlt_f64_e32 vcc, s[28:29], v[18:19]
	v_cmp_ngt_f64_e64 s[0:1], s[30:31], v[18:19]
	v_add_u32_e32 v0, s33, v0
	v_cndmask_b32_e32 v9, v20, v25, vcc
	s_and_b64 vcc, s[0:1], vcc
	v_cndmask_b32_e32 v18, 0, v24, vcc
	v_cndmask_b32_e64 v19, 0, v9, s[0:1]
	v_lshl_add_u64 v[24:25], v[0:1], 3, s[6:7]
	v_add_u32_e32 v0, s33, v0
	global_store_dwordx2 v[24:25], v[18:19], off
	v_lshl_add_u64 v[24:25], v[0:1], 3, s[6:7]
	v_add_u32_e32 v0, s35, v0
	global_store_dwordx2 v[24:25], v[18:19], off
	v_lshl_add_u64 v[18:19], v[0:1], 3, s[6:7]
	v_bfrev_b32_e32 v24, 60
	v_mov_b32_e32 v25, 0x42404c53
	v_add_u32_e32 v0, s33, v0
	global_store_dwordx2 v[18:19], v[24:25], off
	v_lshl_add_u64 v[18:19], v[0:1], 3, s[6:7]
	v_bfrev_b32_e32 v24, 11
	v_mov_b32_e32 v25, 0x4210c388
	global_store_dwordx2 v[18:19], v[24:25], off
	v_mov_b32_e32 v18, 0xe22d8722
	v_mov_b32_e32 v19, 0x403db5e0
	s_mov_b32 s41, 0x3fdc28f5
	s_mov_b32 s0, 0x652bd3c3
	v_fmac_f64_e32 v[18:19], s[40:41], v[2:3]
	s_mov_b32 s1, 0xc0e5cfd1
	v_fmac_f64_e32 v[18:19], s[0:1], v[4:5]
	v_mul_f64 v[24:25], v[18:19], s[8:9]
	v_rndne_f64_e32 v[24:25], v[24:25]
	v_fma_f64 v[26:27], s[2:3], v[24:25], v[18:19]
	v_fmac_f64_e32 v[26:27], s[4:5], v[24:25]
	v_fma_f64 v[28:29], s[10:11], v[26:27], v[6:7]
	v_fma_f64 v[28:29], v[26:27], v[28:29], s[12:13]
	;; [unrolled: 1-line block ×9, first 2 shown]
	v_fma_f64 v[28:29], v[26:27], v[28:29], 1.0
	v_fma_f64 v[26:27], v[26:27], v[28:29], 1.0
	v_cvt_i32_f64_e32 v9, v[24:25]
	v_ldexp_f64 v[24:25], v[26:27], v9
	v_cmp_nlt_f64_e32 vcc, s[28:29], v[18:19]
	v_cmp_ngt_f64_e64 s[0:1], s[30:31], v[18:19]
	v_add_u32_e32 v0, s33, v0
	v_cndmask_b32_e32 v9, v20, v25, vcc
	s_and_b64 vcc, s[0:1], vcc
	v_cndmask_b32_e32 v18, 0, v24, vcc
	v_cndmask_b32_e64 v19, 0, v9, s[0:1]
	v_lshl_add_u64 v[24:25], v[0:1], 3, s[6:7]
	global_store_dwordx2 v[24:25], v[18:19], off
	v_mov_b32_e32 v18, 0x524b266f
	v_mov_b32_e32 v19, 0x403bb53e
	s_mov_b32 s0, 0xad96a6a0
	v_fmac_f64_e32 v[18:19], s[64:65], v[2:3]
	s_mov_b32 s1, 0xc08c9ed5
	v_fmac_f64_e32 v[18:19], s[0:1], v[4:5]
	v_mul_f64 v[24:25], v[18:19], s[8:9]
	v_rndne_f64_e32 v[24:25], v[24:25]
	v_fma_f64 v[26:27], s[2:3], v[24:25], v[18:19]
	v_fmac_f64_e32 v[26:27], s[4:5], v[24:25]
	v_fma_f64 v[28:29], s[10:11], v[26:27], v[6:7]
	v_fma_f64 v[28:29], v[26:27], v[28:29], s[12:13]
	v_fma_f64 v[28:29], v[26:27], v[28:29], s[14:15]
	v_fma_f64 v[28:29], v[26:27], v[28:29], s[16:17]
	v_fma_f64 v[28:29], v[26:27], v[28:29], s[18:19]
	v_fma_f64 v[28:29], v[26:27], v[28:29], s[20:21]
	v_fma_f64 v[28:29], v[26:27], v[28:29], s[22:23]
	v_fma_f64 v[28:29], v[26:27], v[28:29], s[24:25]
	v_fma_f64 v[28:29], v[26:27], v[28:29], s[26:27]
	v_fma_f64 v[28:29], v[26:27], v[28:29], 1.0
	v_fma_f64 v[26:27], v[26:27], v[28:29], 1.0
	v_cvt_i32_f64_e32 v9, v[24:25]
	v_ldexp_f64 v[24:25], v[26:27], v9
	v_cmp_nlt_f64_e32 vcc, s[28:29], v[18:19]
	v_cmp_ngt_f64_e64 s[0:1], s[30:31], v[18:19]
	v_add_u32_e32 v0, s33, v0
	v_cndmask_b32_e32 v9, v20, v25, vcc
	s_and_b64 vcc, s[0:1], vcc
	v_cndmask_b32_e32 v18, 0, v24, vcc
	v_cndmask_b32_e64 v19, 0, v9, s[0:1]
	v_lshl_add_u64 v[24:25], v[0:1], 3, s[6:7]
	global_store_dwordx2 v[24:25], v[18:19], off
	v_mov_b32_e32 v18, 0xc84f8f8a
	v_mov_b32_e32 v19, 0x4031bdce
	s_mov_b32 s47, 0x3ffee147
	s_mov_b32 s0, 0xe5c91d15
	v_fmac_f64_e32 v[18:19], s[46:47], v[2:3]
	s_mov_b32 s1, 0xc0b974a7
	v_fmac_f64_e32 v[18:19], s[0:1], v[4:5]
	v_mul_f64 v[24:25], v[18:19], s[8:9]
	v_rndne_f64_e32 v[24:25], v[24:25]
	v_fma_f64 v[26:27], s[2:3], v[24:25], v[18:19]
	v_fmac_f64_e32 v[26:27], s[4:5], v[24:25]
	v_fma_f64 v[28:29], s[10:11], v[26:27], v[6:7]
	v_fma_f64 v[28:29], v[26:27], v[28:29], s[12:13]
	;; [unrolled: 1-line block ×9, first 2 shown]
	v_fma_f64 v[28:29], v[26:27], v[28:29], 1.0
	v_fma_f64 v[26:27], v[26:27], v[28:29], 1.0
	v_cvt_i32_f64_e32 v9, v[24:25]
	v_ldexp_f64 v[24:25], v[26:27], v9
	v_cmp_nlt_f64_e32 vcc, s[28:29], v[18:19]
	v_cmp_ngt_f64_e64 s[0:1], s[30:31], v[18:19]
	v_add_u32_e32 v0, s33, v0
	v_cndmask_b32_e32 v9, v20, v25, vcc
	s_and_b64 vcc, s[0:1], vcc
	v_cndmask_b32_e32 v18, 0, v24, vcc
	v_cndmask_b32_e64 v19, 0, v9, s[0:1]
	v_lshl_add_u64 v[24:25], v[0:1], 3, s[6:7]
	global_store_dwordx2 v[24:25], v[18:19], off
	v_mov_b32_e32 v18, 0x88d7aa76
	v_mov_b32_e32 v19, 0x403087bb
	s_mov_b32 s69, 0x3ffe8f5c
	s_mov_b32 s0, 0x1172ef0b
	v_fmac_f64_e32 v[18:19], s[68:69], v[2:3]
	s_mov_b32 s1, 0xc09d681f
	v_fmac_f64_e32 v[18:19], s[0:1], v[4:5]
	v_mul_f64 v[24:25], v[18:19], s[8:9]
	v_rndne_f64_e32 v[24:25], v[24:25]
	v_fma_f64 v[26:27], s[2:3], v[24:25], v[18:19]
	v_fmac_f64_e32 v[26:27], s[4:5], v[24:25]
	v_fma_f64 v[28:29], s[10:11], v[26:27], v[6:7]
	v_fma_f64 v[28:29], v[26:27], v[28:29], s[12:13]
	;; [unrolled: 1-line block ×9, first 2 shown]
	v_fma_f64 v[28:29], v[26:27], v[28:29], 1.0
	v_fma_f64 v[26:27], v[26:27], v[28:29], 1.0
	v_cvt_i32_f64_e32 v9, v[24:25]
	v_ldexp_f64 v[24:25], v[26:27], v9
	v_cmp_nlt_f64_e32 vcc, s[28:29], v[18:19]
	v_cmp_ngt_f64_e64 s[0:1], s[30:31], v[18:19]
	v_add_u32_e32 v0, s33, v0
	v_cndmask_b32_e32 v9, v20, v25, vcc
	s_and_b64 vcc, s[0:1], vcc
	v_cndmask_b32_e64 v19, 0, v9, s[0:1]
	s_mov_b32 s0, 0x6a875d57
	v_cndmask_b32_e32 v18, 0, v24, vcc
	v_lshl_add_u64 v[24:25], v[0:1], 3, s[6:7]
	s_mov_b32 s1, 0xc05bad4a
	global_store_dwordx2 v[24:25], v[18:19], off
	v_mul_f64 v[18:19], v[4:5], s[0:1]
	s_mov_b32 s59, 0x3ffd47ae
	v_fmac_f64_e32 v[18:19], s[58:59], v[2:3]
	v_mul_f64 v[24:25], v[18:19], s[8:9]
	v_rndne_f64_e32 v[24:25], v[24:25]
	v_fma_f64 v[26:27], s[2:3], v[24:25], v[18:19]
	v_fmac_f64_e32 v[26:27], s[4:5], v[24:25]
	v_fma_f64 v[28:29], s[10:11], v[26:27], v[6:7]
	v_fma_f64 v[28:29], v[26:27], v[28:29], s[12:13]
	;; [unrolled: 1-line block ×9, first 2 shown]
	v_fma_f64 v[28:29], v[26:27], v[28:29], 1.0
	v_fma_f64 v[26:27], v[26:27], v[28:29], 1.0
	v_cvt_i32_f64_e32 v9, v[24:25]
	v_ldexp_f64 v[24:25], v[26:27], v9
	v_cmp_nlt_f64_e32 vcc, s[28:29], v[18:19]
	v_cmp_ngt_f64_e64 s[0:1], s[30:31], v[18:19]
	v_add_u32_e32 v0, s33, v0
	v_cndmask_b32_e32 v9, v20, v25, vcc
	s_and_b64 vcc, s[0:1], vcc
	v_cndmask_b32_e64 v19, 0, v9, s[0:1]
	s_mov_b32 s0, 0
	v_cndmask_b32_e32 v18, 0, v24, vcc
	s_mov_b32 s1, 0x41724f80
	v_mul_f64 v[24:25], v[18:19], s[0:1]
	s_mov_b32 s0, 0
	v_lshl_add_u64 v[26:27], v[0:1], 3, s[6:7]
	s_mov_b32 s1, 0x41177000
	v_add_u32_e32 v0, s33, v0
	global_store_dwordx2 v[26:27], v[24:25], off
	v_mul_f64 v[18:19], v[18:19], s[0:1]
	v_lshl_add_u64 v[24:25], v[0:1], 3, s[6:7]
	global_store_dwordx2 v[24:25], v[18:19], off
	v_mov_b32_e32 v18, 0x290fc3c2
	v_mov_b32_e32 v19, 0x402e3161
	s_mov_b32 s0, 0xab8a5ce6
	v_fmac_f64_e32 v[18:19], 2.0, v[2:3]
	s_mov_b32 s1, 0xc093a82a
	v_fmac_f64_e32 v[18:19], s[0:1], v[4:5]
	v_mul_f64 v[24:25], v[18:19], s[8:9]
	v_rndne_f64_e32 v[24:25], v[24:25]
	v_fma_f64 v[26:27], s[2:3], v[24:25], v[18:19]
	v_fmac_f64_e32 v[26:27], s[4:5], v[24:25]
	v_fma_f64 v[28:29], s[10:11], v[26:27], v[6:7]
	v_fma_f64 v[28:29], v[26:27], v[28:29], s[12:13]
	;; [unrolled: 1-line block ×9, first 2 shown]
	v_fma_f64 v[28:29], v[26:27], v[28:29], 1.0
	v_fma_f64 v[26:27], v[26:27], v[28:29], 1.0
	v_cvt_i32_f64_e32 v9, v[24:25]
	v_ldexp_f64 v[24:25], v[26:27], v9
	v_cmp_nlt_f64_e32 vcc, s[28:29], v[18:19]
	v_cmp_ngt_f64_e64 s[0:1], s[30:31], v[18:19]
	v_add_u32_e32 v0, s33, v0
	v_cndmask_b32_e32 v9, v20, v25, vcc
	s_and_b64 vcc, s[0:1], vcc
	v_cndmask_b32_e32 v18, 0, v24, vcc
	v_cndmask_b32_e64 v19, 0, v9, s[0:1]
	v_lshl_add_u64 v[24:25], v[0:1], 3, s[6:7]
	s_mov_b32 s0, 0xb295e9e2
	global_store_dwordx2 v[24:25], v[18:19], off
	v_mov_b32_e32 v18, 0xd95a79c9
	v_mov_b32_e32 v19, 0x403f5f99
	s_mov_b32 s1, 0xc0dde0e4
	v_fmac_f64_e32 v[18:19], s[0:1], v[4:5]
	v_mul_f64 v[24:25], v[18:19], s[8:9]
	v_rndne_f64_e32 v[24:25], v[24:25]
	v_fma_f64 v[26:27], s[2:3], v[24:25], v[18:19]
	v_fmac_f64_e32 v[26:27], s[4:5], v[24:25]
	v_fma_f64 v[28:29], s[10:11], v[26:27], v[6:7]
	v_fma_f64 v[28:29], v[26:27], v[28:29], s[12:13]
	;; [unrolled: 1-line block ×9, first 2 shown]
	v_fma_f64 v[28:29], v[26:27], v[28:29], 1.0
	v_fma_f64 v[26:27], v[26:27], v[28:29], 1.0
	v_cvt_i32_f64_e32 v9, v[24:25]
	v_ldexp_f64 v[24:25], v[26:27], v9
	v_cmp_nlt_f64_e32 vcc, s[28:29], v[18:19]
	v_cmp_ngt_f64_e64 s[0:1], s[30:31], v[18:19]
	v_add_u32_e32 v0, s33, v0
	v_cndmask_b32_e32 v9, v20, v25, vcc
	s_and_b64 vcc, s[0:1], vcc
	v_cndmask_b32_e32 v18, 0, v24, vcc
	v_cndmask_b32_e64 v19, 0, v9, s[0:1]
	v_lshl_add_u64 v[24:25], v[0:1], 3, s[6:7]
	s_mov_b32 s0, 0x89a02752
	global_store_dwordx2 v[24:25], v[18:19], off
	v_mov_b32_e32 v18, 0xb196e661
	v_mov_b32_e32 v19, 0x403c52fc
	s_mov_b32 s1, 0xc0bb8508
	v_fmac_f64_e32 v[18:19], s[0:1], v[4:5]
	v_mul_f64 v[24:25], v[18:19], s[8:9]
	v_rndne_f64_e32 v[24:25], v[24:25]
	v_fma_f64 v[26:27], s[2:3], v[24:25], v[18:19]
	v_fmac_f64_e32 v[26:27], s[4:5], v[24:25]
	v_fma_f64 v[28:29], s[10:11], v[26:27], v[6:7]
	v_fma_f64 v[28:29], v[26:27], v[28:29], s[12:13]
	;; [unrolled: 1-line block ×9, first 2 shown]
	v_fma_f64 v[28:29], v[26:27], v[28:29], 1.0
	v_fma_f64 v[26:27], v[26:27], v[28:29], 1.0
	v_cvt_i32_f64_e32 v9, v[24:25]
	v_ldexp_f64 v[24:25], v[26:27], v9
	v_cmp_nlt_f64_e32 vcc, s[28:29], v[18:19]
	v_cmp_ngt_f64_e64 s[0:1], s[30:31], v[18:19]
	v_add_u32_e32 v0, s33, v0
	v_cndmask_b32_e32 v9, v20, v25, vcc
	s_and_b64 vcc, s[0:1], vcc
	v_cndmask_b32_e32 v18, 0, v24, vcc
	v_cndmask_b32_e64 v19, 0, v9, s[0:1]
	v_lshl_add_u64 v[24:25], v[0:1], 3, s[6:7]
	v_fmac_f64_e32 v[12:13], s[62:63], v[4:5]
	global_store_dwordx2 v[24:25], v[18:19], off
	v_mul_f64 v[18:19], v[12:13], s[8:9]
	v_rndne_f64_e32 v[18:19], v[18:19]
	v_fma_f64 v[24:25], s[2:3], v[18:19], v[12:13]
	v_fmac_f64_e32 v[24:25], s[4:5], v[18:19]
	v_fma_f64 v[26:27], s[10:11], v[24:25], v[6:7]
	v_fma_f64 v[26:27], v[24:25], v[26:27], s[12:13]
	;; [unrolled: 1-line block ×9, first 2 shown]
	v_fma_f64 v[26:27], v[24:25], v[26:27], 1.0
	v_fma_f64 v[24:25], v[24:25], v[26:27], 1.0
	v_cvt_i32_f64_e32 v9, v[18:19]
	v_ldexp_f64 v[18:19], v[24:25], v9
	v_cmp_nlt_f64_e32 vcc, s[28:29], v[12:13]
	v_cmp_ngt_f64_e64 s[0:1], s[30:31], v[12:13]
	v_add_u32_e32 v0, s33, v0
	v_cndmask_b32_e32 v9, v20, v19, vcc
	s_and_b64 vcc, s[0:1], vcc
	v_cndmask_b32_e32 v12, 0, v18, vcc
	v_cndmask_b32_e64 v13, 0, v9, s[0:1]
	v_lshl_add_u64 v[18:19], v[0:1], 3, s[6:7]
	global_store_dwordx2 v[18:19], v[12:13], off
	v_mov_b32_e32 v12, 0xe92ba824
	v_mov_b32_e32 v13, 0x403ea072
	v_fmac_f64_e32 v[12:13], s[66:67], v[4:5]
	v_mul_f64 v[18:19], v[12:13], s[8:9]
	v_rndne_f64_e32 v[18:19], v[18:19]
	v_fma_f64 v[24:25], s[2:3], v[18:19], v[12:13]
	v_fmac_f64_e32 v[24:25], s[4:5], v[18:19]
	v_fma_f64 v[26:27], s[10:11], v[24:25], v[6:7]
	v_fma_f64 v[26:27], v[24:25], v[26:27], s[12:13]
	;; [unrolled: 1-line block ×9, first 2 shown]
	v_fma_f64 v[26:27], v[24:25], v[26:27], 1.0
	v_fma_f64 v[24:25], v[24:25], v[26:27], 1.0
	v_cvt_i32_f64_e32 v9, v[18:19]
	v_ldexp_f64 v[18:19], v[24:25], v9
	v_cmp_nlt_f64_e32 vcc, s[28:29], v[12:13]
	v_cmp_ngt_f64_e64 s[0:1], s[30:31], v[12:13]
	v_add_u32_e32 v0, s33, v0
	v_cndmask_b32_e32 v9, v20, v19, vcc
	s_and_b64 vcc, s[0:1], vcc
	v_cndmask_b32_e32 v12, 0, v18, vcc
	v_cndmask_b32_e64 v13, 0, v9, s[0:1]
	v_lshl_add_u64 v[18:19], v[0:1], 3, s[6:7]
	v_add_u32_e32 v0, s33, v0
	global_store_dwordx2 v[18:19], v[12:13], off
	v_lshl_add_u64 v[12:13], v[0:1], 3, s[6:7]
	v_add_u32_e32 v0, s33, v0
	global_store_dwordx2 v[12:13], v[22:23], off
	v_lshl_add_u64 v[12:13], v[0:1], 3, s[6:7]
	global_store_dwordx2 v[12:13], v[22:23], off
	v_mov_b32_e32 v12, 0x595d6968
	v_mov_b32_e32 v13, 0x4028aa58
	s_mov_b32 s0, 0xe5215769
	v_fmac_f64_e32 v[12:13], 2.0, v[2:3]
	s_mov_b32 s1, 0xc0b21597
	v_fmac_f64_e32 v[12:13], s[0:1], v[4:5]
	v_mul_f64 v[18:19], v[12:13], s[8:9]
	v_rndne_f64_e32 v[18:19], v[18:19]
	v_fma_f64 v[22:23], s[2:3], v[18:19], v[12:13]
	v_fmac_f64_e32 v[22:23], s[4:5], v[18:19]
	v_fma_f64 v[24:25], s[10:11], v[22:23], v[6:7]
	v_fma_f64 v[24:25], v[22:23], v[24:25], s[12:13]
	;; [unrolled: 1-line block ×9, first 2 shown]
	v_fma_f64 v[24:25], v[22:23], v[24:25], 1.0
	v_fma_f64 v[22:23], v[22:23], v[24:25], 1.0
	v_cvt_i32_f64_e32 v9, v[18:19]
	v_ldexp_f64 v[18:19], v[22:23], v9
	v_cmp_nlt_f64_e32 vcc, s[28:29], v[12:13]
	v_cmp_ngt_f64_e64 s[0:1], s[30:31], v[12:13]
	v_add_u32_e32 v0, s33, v0
	v_cndmask_b32_e32 v9, v20, v19, vcc
	s_and_b64 vcc, s[0:1], vcc
	v_cndmask_b32_e32 v12, 0, v18, vcc
	v_cndmask_b32_e64 v13, 0, v9, s[0:1]
	v_lshl_add_u64 v[18:19], v[0:1], 3, s[6:7]
	s_mov_b32 s0, 0x63dc486b
	global_store_dwordx2 v[18:19], v[12:13], off
	v_mov_b32_e32 v12, 0x496249a1
	v_mov_b32_e32 v13, 0x403a85b9
	s_mov_b32 s1, 0xc0ae4589
	v_fmac_f64_e32 v[12:13], s[0:1], v[4:5]
	v_mul_f64 v[18:19], v[12:13], s[8:9]
	v_rndne_f64_e32 v[18:19], v[18:19]
	v_fma_f64 v[22:23], s[2:3], v[18:19], v[12:13]
	v_fmac_f64_e32 v[22:23], s[4:5], v[18:19]
	v_fma_f64 v[24:25], s[10:11], v[22:23], v[6:7]
	v_fma_f64 v[24:25], v[22:23], v[24:25], s[12:13]
	;; [unrolled: 1-line block ×9, first 2 shown]
	v_fma_f64 v[24:25], v[22:23], v[24:25], 1.0
	v_fma_f64 v[22:23], v[22:23], v[24:25], 1.0
	v_cvt_i32_f64_e32 v9, v[18:19]
	v_ldexp_f64 v[18:19], v[22:23], v9
	v_cmp_nlt_f64_e32 vcc, s[28:29], v[12:13]
	v_cmp_ngt_f64_e64 s[0:1], s[30:31], v[12:13]
	v_add_u32_e32 v0, s33, v0
	v_cndmask_b32_e32 v9, v20, v19, vcc
	s_and_b64 vcc, s[0:1], vcc
	v_cndmask_b32_e32 v12, 0, v18, vcc
	v_cndmask_b32_e64 v13, 0, v9, s[0:1]
	v_lshl_add_u64 v[18:19], v[0:1], 3, s[6:7]
	global_store_dwordx2 v[18:19], v[12:13], off
	v_mov_b32_e32 v12, 0xa83e781
	v_mov_b32_e32 v13, 0x404465b3
	s_mov_b32 s39, 0xbfefae14
	s_mov_b32 s0, 0x9f40a287
	v_fmac_f64_e32 v[12:13], s[38:39], v[2:3]
	s_mov_b32 s1, 0xc088d8a8
	v_fmac_f64_e32 v[12:13], s[0:1], v[4:5]
	v_mul_f64 v[18:19], v[12:13], s[8:9]
	v_rndne_f64_e32 v[18:19], v[18:19]
	v_fma_f64 v[22:23], s[2:3], v[18:19], v[12:13]
	v_fmac_f64_e32 v[22:23], s[4:5], v[18:19]
	v_fma_f64 v[24:25], s[10:11], v[22:23], v[6:7]
	v_fma_f64 v[24:25], v[22:23], v[24:25], s[12:13]
	;; [unrolled: 1-line block ×9, first 2 shown]
	v_fma_f64 v[24:25], v[22:23], v[24:25], 1.0
	v_fma_f64 v[22:23], v[22:23], v[24:25], 1.0
	v_cvt_i32_f64_e32 v9, v[18:19]
	v_ldexp_f64 v[18:19], v[22:23], v9
	v_cmp_nlt_f64_e32 vcc, s[28:29], v[12:13]
	v_cmp_ngt_f64_e64 s[0:1], s[30:31], v[12:13]
	v_add_u32_e32 v0, s33, v0
	v_cndmask_b32_e32 v9, v20, v19, vcc
	s_and_b64 vcc, s[0:1], vcc
	v_cndmask_b32_e32 v12, 0, v18, vcc
	v_cndmask_b32_e64 v13, 0, v9, s[0:1]
	v_lshl_add_u64 v[18:19], v[0:1], 3, s[6:7]
	v_add_u32_e32 v0, s33, v0
	global_store_dwordx2 v[18:19], v[12:13], off
	v_lshl_add_u64 v[12:13], v[0:1], 3, s[6:7]
	v_mov_b32_e32 v15, 0x427d1a94
	v_add_u32_e32 v0, s33, v0
	global_store_dwordx2 v[12:13], v[14:15], off
	v_lshl_add_u64 v[12:13], v[0:1], 3, s[6:7]
	v_mov_b32_e32 v14, 0x1200000
	v_mov_b32_e32 v15, 0x42ad2d35
	v_add_u32_e32 v0, s33, v0
	global_store_dwordx2 v[12:13], v[14:15], off
	v_lshl_add_u64 v[12:13], v[0:1], 3, s[6:7]
	v_mov_b32_e32 v14, 0x20b40000
	v_mov_b32_e32 v15, 0x42d23c41
	v_add_u32_e32 v0, s33, v0
	s_mov_b32 s0, 0x2e000000
	global_store_dwordx2 v[12:13], v[14:15], off
	v_lshl_add_u64 v[12:13], v[0:1], 3, s[6:7]
	v_bfrev_b32_e32 v14, 4
	v_mov_b32_e32 v15, 0x4212a05f
	v_add_u32_e32 v0, s33, v0
	s_mov_b32 s1, 0x42517659
	global_store_dwordx2 v[12:13], v[14:15], off
	v_lshl_add_u64 v[12:13], v[0:1], 3, s[6:7]
	v_mov_b64_e32 v[14:15], s[0:1]
	v_add_u32_e32 v0, s33, v0
	global_store_dwordx2 v[12:13], v[14:15], off
	v_lshl_add_u64 v[12:13], v[0:1], 3, s[6:7]
	v_add_u32_e32 v0, s33, v0
	s_mov_b32 s53, 0x42b5d3ef
	global_store_dwordx2 v[12:13], v[14:15], off
	v_lshl_add_u64 v[14:15], v[0:1], 3, s[6:7]
	v_mov_b64_e32 v[12:13], s[52:53]
	s_mov_b32 s0, 0xe8427419
	global_store_dwordx2 v[14:15], v[12:13], off
	v_mov_b32_e32 v14, 0x7d7a7f22
	v_mov_b32_e32 v15, 0x4036e2f7
	s_mov_b32 s1, 0xc07ea220
	v_fmac_f64_e32 v[14:15], s[0:1], v[4:5]
	v_mul_f64 v[18:19], v[14:15], s[8:9]
	v_rndne_f64_e32 v[18:19], v[18:19]
	v_fma_f64 v[22:23], s[2:3], v[18:19], v[14:15]
	v_fmac_f64_e32 v[22:23], s[4:5], v[18:19]
	v_fma_f64 v[24:25], s[10:11], v[22:23], v[6:7]
	v_fma_f64 v[24:25], v[22:23], v[24:25], s[12:13]
	;; [unrolled: 1-line block ×9, first 2 shown]
	v_fma_f64 v[24:25], v[22:23], v[24:25], 1.0
	v_fma_f64 v[22:23], v[22:23], v[24:25], 1.0
	v_cvt_i32_f64_e32 v9, v[18:19]
	v_ldexp_f64 v[18:19], v[22:23], v9
	v_cmp_nlt_f64_e32 vcc, s[28:29], v[14:15]
	v_cmp_ngt_f64_e64 s[0:1], s[30:31], v[14:15]
	v_add_u32_e32 v0, s33, v0
	v_cndmask_b32_e32 v9, v20, v19, vcc
	s_and_b64 vcc, s[0:1], vcc
	v_cndmask_b32_e32 v14, 0, v18, vcc
	v_cndmask_b32_e64 v15, 0, v9, s[0:1]
	v_lshl_add_u64 v[18:19], v[0:1], 3, s[6:7]
	v_add_u32_e32 v0, s33, v0
	global_store_dwordx2 v[18:19], v[14:15], off
	v_lshl_add_u64 v[14:15], v[0:1], 3, s[6:7]
	v_mov_b32_e32 v18, 0x57e00000
	v_mov_b32_e32 v19, 0x42db48eb
	global_store_dwordx2 v[14:15], v[18:19], off
	v_mov_b32_e32 v14, 0x2c3bc82d
	v_mov_b32_e32 v15, 0x40328f79
	s_mov_b32 s61, 0x3ffe6666
	s_mov_b32 s0, 0x69c23b79
	v_fmac_f64_e32 v[14:15], s[60:61], v[2:3]
	s_mov_b32 s1, 0xc0ad9a71
	v_fmac_f64_e32 v[14:15], s[0:1], v[4:5]
	v_mul_f64 v[18:19], v[14:15], s[8:9]
	v_rndne_f64_e32 v[18:19], v[18:19]
	v_fma_f64 v[22:23], s[2:3], v[18:19], v[14:15]
	v_fmac_f64_e32 v[22:23], s[4:5], v[18:19]
	v_fma_f64 v[24:25], s[10:11], v[22:23], v[6:7]
	v_fma_f64 v[24:25], v[22:23], v[24:25], s[12:13]
	;; [unrolled: 1-line block ×9, first 2 shown]
	v_fma_f64 v[24:25], v[22:23], v[24:25], 1.0
	v_fma_f64 v[22:23], v[22:23], v[24:25], 1.0
	v_cvt_i32_f64_e32 v9, v[18:19]
	v_ldexp_f64 v[18:19], v[22:23], v9
	v_cmp_nlt_f64_e32 vcc, s[28:29], v[14:15]
	v_cmp_ngt_f64_e64 s[0:1], s[30:31], v[14:15]
	v_add_u32_e32 v0, s33, v0
	v_cndmask_b32_e32 v9, v20, v19, vcc
	s_and_b64 vcc, s[0:1], vcc
	v_cndmask_b32_e32 v14, 0, v18, vcc
	v_cndmask_b32_e64 v15, 0, v9, s[0:1]
	v_lshl_add_u64 v[18:19], v[0:1], 3, s[6:7]
	global_store_dwordx2 v[18:19], v[14:15], off
	v_mov_b32_e32 v14, 0x6d50657
	v_mov_b32_e32 v15, 0x40325027
	s_mov_b32 s43, 0x3ffeb851
	s_mov_b32 s0, 0xdd82fd7
	v_fmac_f64_e32 v[14:15], s[42:43], v[2:3]
	s_mov_b32 s1, 0xc0a65e9b
	v_fmac_f64_e32 v[14:15], s[0:1], v[4:5]
	v_mul_f64 v[18:19], v[14:15], s[8:9]
	v_rndne_f64_e32 v[18:19], v[18:19]
	v_fma_f64 v[22:23], s[2:3], v[18:19], v[14:15]
	v_fmac_f64_e32 v[22:23], s[4:5], v[18:19]
	v_fma_f64 v[24:25], s[10:11], v[22:23], v[6:7]
	v_fma_f64 v[24:25], v[22:23], v[24:25], s[12:13]
	;; [unrolled: 1-line block ×9, first 2 shown]
	v_fma_f64 v[24:25], v[22:23], v[24:25], 1.0
	v_fma_f64 v[22:23], v[22:23], v[24:25], 1.0
	v_cvt_i32_f64_e32 v9, v[18:19]
	v_ldexp_f64 v[18:19], v[22:23], v9
	v_cmp_nlt_f64_e32 vcc, s[28:29], v[14:15]
	v_cmp_ngt_f64_e64 s[0:1], s[30:31], v[14:15]
	v_add_u32_e32 v0, s33, v0
	v_cndmask_b32_e32 v9, v20, v19, vcc
	s_and_b64 vcc, s[0:1], vcc
	v_cndmask_b32_e32 v14, 0, v18, vcc
	v_cndmask_b32_e64 v15, 0, v9, s[0:1]
	v_lshl_add_u64 v[18:19], v[0:1], 3, s[6:7]
	s_mov_b32 s0, 0x8f5c28f6
	global_store_dwordx2 v[18:19], v[14:15], off
	v_mov_b32_e32 v14, 0x385e155f
	v_mov_b32_e32 v15, 0x402e28c6
	s_mov_b32 s1, 0x4000f5c2
	v_fmac_f64_e32 v[14:15], s[0:1], v[2:3]
	s_mov_b32 s0, 0xa8fc0d2c
	s_mov_b32 s1, 0xc07b5cc6
	v_fmac_f64_e32 v[14:15], s[0:1], v[4:5]
	v_mul_f64 v[18:19], v[14:15], s[8:9]
	v_rndne_f64_e32 v[18:19], v[18:19]
	v_fma_f64 v[22:23], s[2:3], v[18:19], v[14:15]
	v_fmac_f64_e32 v[22:23], s[4:5], v[18:19]
	v_fma_f64 v[24:25], s[10:11], v[22:23], v[6:7]
	v_fma_f64 v[24:25], v[22:23], v[24:25], s[12:13]
	;; [unrolled: 1-line block ×9, first 2 shown]
	v_fma_f64 v[24:25], v[22:23], v[24:25], 1.0
	v_fma_f64 v[22:23], v[22:23], v[24:25], 1.0
	v_cvt_i32_f64_e32 v9, v[18:19]
	v_ldexp_f64 v[18:19], v[22:23], v9
	v_cmp_nlt_f64_e32 vcc, s[28:29], v[14:15]
	v_cmp_ngt_f64_e64 s[0:1], s[30:31], v[14:15]
	v_add_u32_e32 v0, s33, v0
	v_cndmask_b32_e32 v9, v20, v19, vcc
	s_and_b64 vcc, s[0:1], vcc
	v_cndmask_b32_e32 v14, 0, v18, vcc
	v_cndmask_b32_e64 v15, 0, v9, s[0:1]
	v_lshl_add_u64 v[18:19], v[0:1], 3, s[6:7]
	s_mov_b32 s0, 0x820e6299
	global_store_dwordx2 v[18:19], v[14:15], off
	v_mov_b32_e32 v14, 0x176f885
	v_mov_b32_e32 v15, 0x403f51e5
	s_mov_b32 s1, 0x40714c4e
	v_fmac_f64_e32 v[14:15], s[0:1], v[4:5]
	v_mul_f64 v[18:19], v[14:15], s[8:9]
	v_rndne_f64_e32 v[18:19], v[18:19]
	v_fma_f64 v[22:23], s[2:3], v[18:19], v[14:15]
	v_fmac_f64_e32 v[22:23], s[4:5], v[18:19]
	v_fma_f64 v[24:25], s[10:11], v[22:23], v[6:7]
	v_fma_f64 v[24:25], v[22:23], v[24:25], s[12:13]
	;; [unrolled: 1-line block ×9, first 2 shown]
	v_fma_f64 v[24:25], v[22:23], v[24:25], 1.0
	v_fma_f64 v[22:23], v[22:23], v[24:25], 1.0
	v_cvt_i32_f64_e32 v9, v[18:19]
	v_ldexp_f64 v[18:19], v[22:23], v9
	v_cmp_nlt_f64_e32 vcc, s[28:29], v[14:15]
	v_cmp_ngt_f64_e64 s[0:1], s[30:31], v[14:15]
	v_add_u32_e32 v0, s33, v0
	v_cndmask_b32_e32 v9, v20, v19, vcc
	s_and_b64 vcc, s[0:1], vcc
	v_cndmask_b32_e32 v14, 0, v18, vcc
	v_cndmask_b32_e64 v15, 0, v9, s[0:1]
	v_lshl_add_u64 v[18:19], v[0:1], 3, s[6:7]
	global_store_dwordx2 v[18:19], v[14:15], off
	v_mov_b32_e32 v14, 0x4ef60759
	v_mov_b32_e32 v15, 0x402f42bb
	s_mov_b32 s37, 0x3ffbd70a
	s_mov_b32 s0, 0x3ae685db
	v_fmac_f64_e32 v[14:15], s[36:37], v[2:3]
	s_mov_b32 s1, 0xc0b48a9d
	v_fmac_f64_e32 v[14:15], s[0:1], v[4:5]
	v_mul_f64 v[18:19], v[14:15], s[8:9]
	v_rndne_f64_e32 v[18:19], v[18:19]
	v_fma_f64 v[22:23], s[2:3], v[18:19], v[14:15]
	v_fmac_f64_e32 v[22:23], s[4:5], v[18:19]
	v_fma_f64 v[24:25], s[10:11], v[22:23], v[6:7]
	v_fma_f64 v[24:25], v[22:23], v[24:25], s[12:13]
	;; [unrolled: 1-line block ×9, first 2 shown]
	v_fma_f64 v[24:25], v[22:23], v[24:25], 1.0
	v_fma_f64 v[22:23], v[22:23], v[24:25], 1.0
	v_cvt_i32_f64_e32 v9, v[18:19]
	v_ldexp_f64 v[18:19], v[22:23], v9
	v_cmp_nlt_f64_e32 vcc, s[28:29], v[14:15]
	v_cmp_ngt_f64_e64 s[0:1], s[30:31], v[14:15]
	v_add_u32_e32 v0, s33, v0
	v_cndmask_b32_e32 v9, v20, v19, vcc
	s_and_b64 vcc, s[0:1], vcc
	v_cndmask_b32_e32 v14, 0, v18, vcc
	v_cndmask_b32_e64 v15, 0, v9, s[0:1]
	v_lshl_add_u64 v[18:19], v[0:1], 3, s[6:7]
	v_add_u32_e32 v0, s33, v0
	global_store_dwordx2 v[18:19], v[14:15], off
	v_lshl_add_u64 v[14:15], v[0:1], 3, s[6:7]
	v_mov_b32_e32 v11, 0x42e6bcc4
	v_add_u32_e32 v0, s35, v0
	global_store_dwordx2 v[14:15], v[10:11], off
	v_lshl_add_u64 v[10:11], v[0:1], 3, s[6:7]
	v_mov_b32_e32 v14, 0xd7400000
	v_mov_b32_e32 v15, 0x42835aa2
	v_add_u32_e32 v0, s33, v0
	global_store_dwordx2 v[10:11], v[14:15], off
	v_lshl_add_u64 v[10:11], v[0:1], 3, s[6:7]
	v_mov_b32_e32 v14, 0x9f400000
	v_mov_b32_e32 v15, 0x429802ba
	v_add_u32_e32 v0, s33, v0
	global_store_dwordx2 v[10:11], v[14:15], off
	v_lshl_add_u64 v[10:11], v[0:1], 3, s[6:7]
	s_mov_b32 s0, 0xb7564303
	global_store_dwordx2 v[10:11], v[16:17], off
	v_mov_b32_e32 v10, 0x4e8ed94c
	v_mov_b32_e32 v11, 0x403e3802
	s_mov_b32 s1, 0xc099a35a
	v_fmac_f64_e32 v[10:11], s[0:1], v[4:5]
	v_mul_f64 v[14:15], v[10:11], s[8:9]
	v_rndne_f64_e32 v[14:15], v[14:15]
	v_fma_f64 v[16:17], s[2:3], v[14:15], v[10:11]
	v_fmac_f64_e32 v[16:17], s[4:5], v[14:15]
	v_fma_f64 v[18:19], s[10:11], v[16:17], v[6:7]
	v_fma_f64 v[18:19], v[16:17], v[18:19], s[12:13]
	;; [unrolled: 1-line block ×9, first 2 shown]
	v_fma_f64 v[18:19], v[16:17], v[18:19], 1.0
	v_fma_f64 v[16:17], v[16:17], v[18:19], 1.0
	v_cvt_i32_f64_e32 v9, v[14:15]
	v_ldexp_f64 v[14:15], v[16:17], v9
	v_cmp_nlt_f64_e32 vcc, s[28:29], v[10:11]
	v_cmp_ngt_f64_e64 s[0:1], s[30:31], v[10:11]
	v_add_u32_e32 v0, s33, v0
	v_cndmask_b32_e32 v9, v20, v15, vcc
	s_and_b64 vcc, s[0:1], vcc
	v_cndmask_b32_e32 v10, 0, v14, vcc
	v_cndmask_b32_e64 v11, 0, v9, s[0:1]
	v_lshl_add_u64 v[14:15], v[0:1], 3, s[6:7]
	s_mov_b32 s0, 0x51eb851f
	global_store_dwordx2 v[14:15], v[10:11], off
	v_mov_b32_e32 v10, 0x7683141c
	v_mov_b32_e32 v11, 0x4049903d
	s_mov_b32 s1, 0xc0031eb8
	v_fmac_f64_e32 v[10:11], s[0:1], v[2:3]
	s_mov_b32 s0, 0x5bea0ba2
	s_mov_b32 s1, 0xc0b5f9f6
	v_fmac_f64_e32 v[10:11], s[0:1], v[4:5]
	v_mul_f64 v[14:15], v[10:11], s[8:9]
	v_rndne_f64_e32 v[14:15], v[14:15]
	v_fma_f64 v[16:17], s[2:3], v[14:15], v[10:11]
	v_fmac_f64_e32 v[16:17], s[4:5], v[14:15]
	v_fma_f64 v[18:19], s[10:11], v[16:17], v[6:7]
	v_fma_f64 v[18:19], v[16:17], v[18:19], s[12:13]
	;; [unrolled: 1-line block ×9, first 2 shown]
	v_fma_f64 v[18:19], v[16:17], v[18:19], 1.0
	v_fma_f64 v[16:17], v[16:17], v[18:19], 1.0
	v_cvt_i32_f64_e32 v9, v[14:15]
	v_ldexp_f64 v[14:15], v[16:17], v9
	v_cmp_nlt_f64_e32 vcc, s[28:29], v[10:11]
	v_cmp_ngt_f64_e64 s[0:1], s[30:31], v[10:11]
	v_add_u32_e32 v0, s33, v0
	v_cndmask_b32_e32 v9, v20, v15, vcc
	s_and_b64 vcc, s[0:1], vcc
	v_cndmask_b32_e32 v10, 0, v14, vcc
	v_cndmask_b32_e64 v11, 0, v9, s[0:1]
	v_lshl_add_u64 v[14:15], v[0:1], 3, s[6:7]
	global_store_dwordx2 v[14:15], v[10:11], off
	v_mov_b32_e32 v10, 0xabaa3d56
	v_mov_b32_e32 v11, 0x4028164c
	s_mov_b32 s0, 0xba5e353f
	v_fmac_f64_e32 v[10:11], 0x40040000, v[2:3]
	s_mov_b32 s1, 0xc0939409
	v_fmac_f64_e32 v[10:11], s[0:1], v[4:5]
	v_mul_f64 v[14:15], v[10:11], s[8:9]
	v_rndne_f64_e32 v[14:15], v[14:15]
	v_fma_f64 v[16:17], s[2:3], v[14:15], v[10:11]
	v_fmac_f64_e32 v[16:17], s[4:5], v[14:15]
	v_fma_f64 v[18:19], s[10:11], v[16:17], v[6:7]
	v_fma_f64 v[18:19], v[16:17], v[18:19], s[12:13]
	;; [unrolled: 1-line block ×9, first 2 shown]
	v_fma_f64 v[18:19], v[16:17], v[18:19], 1.0
	v_fma_f64 v[16:17], v[16:17], v[18:19], 1.0
	v_cvt_i32_f64_e32 v9, v[14:15]
	v_ldexp_f64 v[14:15], v[16:17], v9
	v_cmp_nlt_f64_e32 vcc, s[28:29], v[10:11]
	v_cmp_ngt_f64_e64 s[0:1], s[30:31], v[10:11]
	v_add_u32_e32 v0, s33, v0
	v_cndmask_b32_e32 v9, v20, v15, vcc
	s_and_b64 vcc, s[0:1], vcc
	v_cndmask_b32_e32 v10, 0, v14, vcc
	v_cndmask_b32_e64 v11, 0, v9, s[0:1]
	v_lshl_add_u64 v[14:15], v[0:1], 3, s[6:7]
	global_store_dwordx2 v[14:15], v[10:11], off
	v_mov_b32_e32 v10, 0x5bd5e9ac
	v_mov_b32_e32 v11, 0x40329a5e
	s_mov_b32 s61, 0x3ffa6666
	s_mov_b32 s0, 0xc154c986
	v_fmac_f64_e32 v[10:11], s[60:61], v[2:3]
	s_mov_b32 s1, 0xc06491a8
	v_fmac_f64_e32 v[10:11], s[0:1], v[4:5]
	v_mul_f64 v[14:15], v[10:11], s[8:9]
	v_rndne_f64_e32 v[14:15], v[14:15]
	v_fma_f64 v[16:17], s[2:3], v[14:15], v[10:11]
	v_fmac_f64_e32 v[16:17], s[4:5], v[14:15]
	v_fma_f64 v[18:19], s[10:11], v[16:17], v[6:7]
	v_fma_f64 v[18:19], v[16:17], v[18:19], s[12:13]
	;; [unrolled: 1-line block ×9, first 2 shown]
	v_fma_f64 v[18:19], v[16:17], v[18:19], 1.0
	v_fma_f64 v[16:17], v[16:17], v[18:19], 1.0
	v_cvt_i32_f64_e32 v9, v[14:15]
	v_ldexp_f64 v[14:15], v[16:17], v9
	v_cmp_nlt_f64_e32 vcc, s[28:29], v[10:11]
	v_cmp_ngt_f64_e64 s[0:1], s[30:31], v[10:11]
	v_add_u32_e32 v0, s33, v0
	v_cndmask_b32_e32 v9, v20, v15, vcc
	s_and_b64 vcc, s[0:1], vcc
	v_cndmask_b32_e32 v10, 0, v14, vcc
	v_cndmask_b32_e64 v11, 0, v9, s[0:1]
	v_lshl_add_u64 v[14:15], v[0:1], 3, s[6:7]
	global_store_dwordx2 v[14:15], v[10:11], off
	v_mov_b32_e32 v10, 0x96d670ba
	v_mov_b32_e32 v11, 0x40315ef0
	s_mov_b32 s0, 0x8ec52a41
	v_fmac_f64_e32 v[10:11], s[60:61], v[2:3]
	s_mov_b32 s1, 0x407e9206
	v_fmac_f64_e32 v[10:11], s[0:1], v[4:5]
	v_mul_f64 v[14:15], v[10:11], s[8:9]
	v_rndne_f64_e32 v[14:15], v[14:15]
	v_fma_f64 v[16:17], s[2:3], v[14:15], v[10:11]
	v_fmac_f64_e32 v[16:17], s[4:5], v[14:15]
	v_fma_f64 v[18:19], s[10:11], v[16:17], v[6:7]
	v_fma_f64 v[18:19], v[16:17], v[18:19], s[12:13]
	;; [unrolled: 1-line block ×9, first 2 shown]
	v_fma_f64 v[18:19], v[16:17], v[18:19], 1.0
	v_fma_f64 v[16:17], v[16:17], v[18:19], 1.0
	v_cvt_i32_f64_e32 v9, v[14:15]
	v_ldexp_f64 v[14:15], v[16:17], v9
	v_cmp_nlt_f64_e32 vcc, s[28:29], v[10:11]
	v_cmp_ngt_f64_e64 s[0:1], s[30:31], v[10:11]
	v_add_u32_e32 v0, s33, v0
	v_cndmask_b32_e32 v9, v20, v15, vcc
	s_and_b64 vcc, s[0:1], vcc
	v_cndmask_b32_e32 v10, 0, v14, vcc
	v_cndmask_b32_e64 v11, 0, v9, s[0:1]
	v_lshl_add_u64 v[14:15], v[0:1], 3, s[6:7]
	global_store_dwordx2 v[14:15], v[10:11], off
	v_mov_b32_e32 v10, 0x92245a52
	v_mov_b32_e32 v11, 0x4039ea8d
	s_mov_b32 s61, 0x3fe66666
	s_mov_b32 s0, 0xf91e646f
	v_fmac_f64_e32 v[10:11], s[60:61], v[2:3]
	s_mov_b32 s1, 0xc0a71dd3
	v_fmac_f64_e32 v[10:11], s[0:1], v[4:5]
	v_mul_f64 v[14:15], v[10:11], s[8:9]
	v_rndne_f64_e32 v[14:15], v[14:15]
	v_fma_f64 v[16:17], s[2:3], v[14:15], v[10:11]
	v_fmac_f64_e32 v[16:17], s[4:5], v[14:15]
	v_fma_f64 v[18:19], s[10:11], v[16:17], v[6:7]
	v_fma_f64 v[18:19], v[16:17], v[18:19], s[12:13]
	;; [unrolled: 1-line block ×9, first 2 shown]
	v_fma_f64 v[18:19], v[16:17], v[18:19], 1.0
	v_fma_f64 v[16:17], v[16:17], v[18:19], 1.0
	v_cvt_i32_f64_e32 v9, v[14:15]
	v_ldexp_f64 v[14:15], v[16:17], v9
	v_cmp_nlt_f64_e32 vcc, s[28:29], v[10:11]
	v_cmp_ngt_f64_e64 s[0:1], s[30:31], v[10:11]
	v_add_u32_e32 v0, s33, v0
	v_cndmask_b32_e32 v9, v20, v15, vcc
	s_and_b64 vcc, s[0:1], vcc
	v_cndmask_b32_e32 v10, 0, v14, vcc
	v_cndmask_b32_e64 v11, 0, v9, s[0:1]
	v_lshl_add_u64 v[14:15], v[0:1], 3, s[6:7]
	global_store_dwordx2 v[14:15], v[10:11], off
	v_mov_b32_e32 v10, 0xbdcd5589
	v_mov_b32_e32 v11, 0x402de4d1
	v_fmac_f64_e32 v[10:11], 2.0, v[2:3]
	s_mov_b32 s57, 0x4062beac
	v_fmac_f64_e32 v[10:11], s[56:57], v[4:5]
	v_mul_f64 v[14:15], v[10:11], s[8:9]
	v_rndne_f64_e32 v[14:15], v[14:15]
	v_fma_f64 v[16:17], s[2:3], v[14:15], v[10:11]
	v_fmac_f64_e32 v[16:17], s[4:5], v[14:15]
	v_fma_f64 v[18:19], s[10:11], v[16:17], v[6:7]
	v_fma_f64 v[18:19], v[16:17], v[18:19], s[12:13]
	;; [unrolled: 1-line block ×9, first 2 shown]
	v_fma_f64 v[18:19], v[16:17], v[18:19], 1.0
	v_fma_f64 v[16:17], v[16:17], v[18:19], 1.0
	v_cvt_i32_f64_e32 v9, v[14:15]
	v_ldexp_f64 v[14:15], v[16:17], v9
	v_cmp_nlt_f64_e32 vcc, s[28:29], v[10:11]
	v_cmp_ngt_f64_e64 s[0:1], s[30:31], v[10:11]
	v_add_u32_e32 v0, s33, v0
	v_cndmask_b32_e32 v9, v20, v15, vcc
	s_and_b64 vcc, s[0:1], vcc
	v_cndmask_b32_e32 v10, 0, v14, vcc
	v_cndmask_b32_e64 v11, 0, v9, s[0:1]
	v_lshl_add_u64 v[14:15], v[0:1], 3, s[6:7]
	global_store_dwordx2 v[14:15], v[10:11], off
	v_mov_b32_e32 v10, 0x1cf45780
	v_mov_b32_e32 v11, 0x402256cb
	s_mov_b32 s49, 0x4004cccc
	s_mov_b32 s0, 0x6cf41f21
	v_fmac_f64_e32 v[10:11], s[48:49], v[2:3]
	s_mov_b32 s1, 0xc0bb57be
	v_fmac_f64_e32 v[10:11], s[0:1], v[4:5]
	v_mul_f64 v[14:15], v[10:11], s[8:9]
	v_rndne_f64_e32 v[14:15], v[14:15]
	v_fma_f64 v[16:17], s[2:3], v[14:15], v[10:11]
	v_fmac_f64_e32 v[16:17], s[4:5], v[14:15]
	v_fma_f64 v[18:19], s[10:11], v[16:17], v[6:7]
	v_fma_f64 v[18:19], v[16:17], v[18:19], s[12:13]
	;; [unrolled: 1-line block ×9, first 2 shown]
	v_fma_f64 v[18:19], v[16:17], v[18:19], 1.0
	v_fma_f64 v[16:17], v[16:17], v[18:19], 1.0
	v_cvt_i32_f64_e32 v9, v[14:15]
	v_ldexp_f64 v[14:15], v[16:17], v9
	v_cmp_nlt_f64_e32 vcc, s[28:29], v[10:11]
	v_cmp_ngt_f64_e64 s[0:1], s[30:31], v[10:11]
	v_add_u32_e32 v0, s33, v0
	v_cndmask_b32_e32 v9, v20, v15, vcc
	s_and_b64 vcc, s[0:1], vcc
	v_cndmask_b32_e32 v10, 0, v14, vcc
	v_cndmask_b32_e64 v11, 0, v9, s[0:1]
	v_lshl_add_u64 v[14:15], v[0:1], 3, s[6:7]
	global_store_dwordx2 v[14:15], v[10:11], off
	v_mov_b32_e32 v10, 0xedefb22a
	v_mov_b32_e32 v11, 0x3fe93b0a
	s_mov_b32 s0, 0x599ed7c7
	v_fmac_f64_e32 v[10:11], 0x400c0000, v[2:3]
	s_mov_b32 s1, 0xc0a64f82
	v_fmac_f64_e32 v[10:11], s[0:1], v[4:5]
	v_mul_f64 v[14:15], v[10:11], s[8:9]
	v_rndne_f64_e32 v[14:15], v[14:15]
	v_fma_f64 v[16:17], s[2:3], v[14:15], v[10:11]
	v_fmac_f64_e32 v[16:17], s[4:5], v[14:15]
	v_fma_f64 v[18:19], s[10:11], v[16:17], v[6:7]
	v_fma_f64 v[18:19], v[16:17], v[18:19], s[12:13]
	;; [unrolled: 1-line block ×9, first 2 shown]
	v_fma_f64 v[18:19], v[16:17], v[18:19], 1.0
	v_fma_f64 v[16:17], v[16:17], v[18:19], 1.0
	v_cvt_i32_f64_e32 v9, v[14:15]
	v_ldexp_f64 v[14:15], v[16:17], v9
	v_cmp_nlt_f64_e32 vcc, s[28:29], v[10:11]
	v_cmp_ngt_f64_e64 s[0:1], s[30:31], v[10:11]
	v_add_u32_e32 v0, s33, v0
	v_cndmask_b32_e32 v9, v20, v15, vcc
	s_and_b64 vcc, s[0:1], vcc
	v_cndmask_b32_e32 v10, 0, v14, vcc
	v_cndmask_b32_e64 v11, 0, v9, s[0:1]
	v_lshl_add_u64 v[14:15], v[0:1], 3, s[6:7]
	global_store_dwordx2 v[14:15], v[10:11], off
	v_mov_b32_e32 v10, 0xd2079f3
	v_mov_b32_e32 v11, 0x404c4902
	s_mov_b32 s35, 0xc0075c28
	s_mov_b32 s0, 0x743e963e
	v_fmac_f64_e32 v[10:11], s[34:35], v[2:3]
	s_mov_b32 s1, 0xc0b894b9
	v_fmac_f64_e32 v[10:11], s[0:1], v[4:5]
	v_mul_f64 v[14:15], v[10:11], s[8:9]
	v_rndne_f64_e32 v[14:15], v[14:15]
	v_fma_f64 v[16:17], s[2:3], v[14:15], v[10:11]
	v_fmac_f64_e32 v[16:17], s[4:5], v[14:15]
	v_fma_f64 v[18:19], s[10:11], v[16:17], v[6:7]
	v_fma_f64 v[18:19], v[16:17], v[18:19], s[12:13]
	v_fma_f64 v[18:19], v[16:17], v[18:19], s[14:15]
	v_fma_f64 v[18:19], v[16:17], v[18:19], s[16:17]
	v_fma_f64 v[18:19], v[16:17], v[18:19], s[18:19]
	v_fma_f64 v[18:19], v[16:17], v[18:19], s[20:21]
	v_fma_f64 v[18:19], v[16:17], v[18:19], s[22:23]
	v_fma_f64 v[18:19], v[16:17], v[18:19], s[24:25]
	v_fma_f64 v[18:19], v[16:17], v[18:19], s[26:27]
	v_fma_f64 v[18:19], v[16:17], v[18:19], 1.0
	v_fma_f64 v[16:17], v[16:17], v[18:19], 1.0
	v_cvt_i32_f64_e32 v9, v[14:15]
	v_ldexp_f64 v[14:15], v[16:17], v9
	v_cmp_nlt_f64_e32 vcc, s[28:29], v[10:11]
	v_cmp_ngt_f64_e64 s[0:1], s[30:31], v[10:11]
	v_add_u32_e32 v0, s33, v0
	v_cndmask_b32_e32 v9, v20, v15, vcc
	s_and_b64 vcc, s[0:1], vcc
	v_cndmask_b32_e32 v10, 0, v14, vcc
	v_cndmask_b32_e64 v11, 0, v9, s[0:1]
	v_lshl_add_u64 v[14:15], v[0:1], 3, s[6:7]
	v_add_u32_e32 v0, s33, v0
	global_store_dwordx2 v[14:15], v[10:11], off
	v_lshl_add_u64 v[10:11], v[0:1], 3, s[6:7]
	v_mov_b32_e32 v14, 0xc5000000
	v_mov_b32_e32 v15, 0x427a3185
	v_add_u32_e32 v0, s33, v0
	global_store_dwordx2 v[10:11], v[14:15], off
	v_lshl_add_u64 v[10:11], v[0:1], 3, s[6:7]
	v_mov_b32_e32 v9, 0x42d5d3ef
	v_add_u32_e32 v0, s33, v0
	global_store_dwordx2 v[10:11], v[8:9], off
	v_lshl_add_u64 v[8:9], v[0:1], 3, s[6:7]
	v_add_u32_e32 v0, s33, v0
	global_store_dwordx2 v[8:9], v[12:13], off
	v_lshl_add_u64 v[8:9], v[0:1], 3, s[6:7]
	v_bfrev_b32_e32 v10, 32
	v_mov_b32_e32 v11, 0x4234f46b
	v_add_u32_e32 v0, s33, v0
	global_store_dwordx2 v[8:9], v[10:11], off
	v_lshl_add_u64 v[8:9], v[0:1], 3, s[6:7]
	v_add_u32_e32 v0, s33, v0
	global_store_dwordx2 v[8:9], v[12:13], off
	v_lshl_add_u64 v[8:9], v[0:1], 3, s[6:7]
	v_mov_b32_e32 v10, 0x2f600000
	v_mov_b32_e32 v11, 0x42a40246
	global_store_dwordx2 v[8:9], v[10:11], off
	v_mov_b32_e32 v8, 0xf8fcd680
	v_mov_b32_e32 v9, 0x4052c2cb
	s_mov_b32 s47, 0xc014e147
	s_mov_b32 s0, 0x8049667b
	v_fmac_f64_e32 v[8:9], s[46:47], v[2:3]
	s_mov_b32 s1, 0xc0c36882
	v_fmac_f64_e32 v[8:9], s[0:1], v[4:5]
	v_mul_f64 v[2:3], v[8:9], s[8:9]
	v_rndne_f64_e32 v[2:3], v[2:3]
	v_fma_f64 v[4:5], s[2:3], v[2:3], v[8:9]
	v_fmac_f64_e32 v[4:5], s[4:5], v[2:3]
	v_fmac_f64_e32 v[6:7], s[10:11], v[4:5]
	v_fma_f64 v[6:7], v[4:5], v[6:7], s[12:13]
	v_fma_f64 v[6:7], v[4:5], v[6:7], s[14:15]
	;; [unrolled: 1-line block ×8, first 2 shown]
	v_fma_f64 v[6:7], v[4:5], v[6:7], 1.0
	v_fma_f64 v[4:5], v[4:5], v[6:7], 1.0
	v_cvt_i32_f64_e32 v2, v[2:3]
	v_ldexp_f64 v[2:3], v[4:5], v2
	v_cmp_nlt_f64_e32 vcc, s[28:29], v[8:9]
	v_cmp_ngt_f64_e64 s[0:1], s[30:31], v[8:9]
	v_add_u32_e32 v0, s33, v0
	v_cndmask_b32_e32 v3, v20, v3, vcc
	s_and_b64 vcc, s[0:1], vcc
	v_cndmask_b32_e32 v2, 0, v2, vcc
	v_cndmask_b32_e64 v3, 0, v3, s[0:1]
	v_lshl_add_u64 v[0:1], v[0:1], 3, s[6:7]
	global_store_dwordx2 v[0:1], v[2:3], off
	s_endpgm
	.section	.rodata,"a",@progbits
	.p2align	6, 0x0
	.amdhsa_kernel _Z11ratt_kernelIdEvPKT_PS0_S0_
		.amdhsa_group_segment_fixed_size 0
		.amdhsa_private_segment_fixed_size 0
		.amdhsa_kernarg_size 280
		.amdhsa_user_sgpr_count 2
		.amdhsa_user_sgpr_dispatch_ptr 0
		.amdhsa_user_sgpr_queue_ptr 0
		.amdhsa_user_sgpr_kernarg_segment_ptr 1
		.amdhsa_user_sgpr_dispatch_id 0
		.amdhsa_user_sgpr_kernarg_preload_length 0
		.amdhsa_user_sgpr_kernarg_preload_offset 0
		.amdhsa_user_sgpr_private_segment_size 0
		.amdhsa_uses_dynamic_stack 0
		.amdhsa_enable_private_segment 0
		.amdhsa_system_sgpr_workgroup_id_x 1
		.amdhsa_system_sgpr_workgroup_id_y 0
		.amdhsa_system_sgpr_workgroup_id_z 0
		.amdhsa_system_sgpr_workgroup_info 0
		.amdhsa_system_vgpr_workitem_id 0
		.amdhsa_next_free_vgpr 40
		.amdhsa_next_free_sgpr 78
		.amdhsa_accum_offset 40
		.amdhsa_reserve_vcc 1
		.amdhsa_float_round_mode_32 0
		.amdhsa_float_round_mode_16_64 0
		.amdhsa_float_denorm_mode_32 3
		.amdhsa_float_denorm_mode_16_64 3
		.amdhsa_dx10_clamp 1
		.amdhsa_ieee_mode 1
		.amdhsa_fp16_overflow 0
		.amdhsa_tg_split 0
		.amdhsa_exception_fp_ieee_invalid_op 0
		.amdhsa_exception_fp_denorm_src 0
		.amdhsa_exception_fp_ieee_div_zero 0
		.amdhsa_exception_fp_ieee_overflow 0
		.amdhsa_exception_fp_ieee_underflow 0
		.amdhsa_exception_fp_ieee_inexact 0
		.amdhsa_exception_int_div_zero 0
	.end_amdhsa_kernel
	.section	.text._Z11ratt_kernelIdEvPKT_PS0_S0_,"axG",@progbits,_Z11ratt_kernelIdEvPKT_PS0_S0_,comdat
.Lfunc_end27:
	.size	_Z11ratt_kernelIdEvPKT_PS0_S0_, .Lfunc_end27-_Z11ratt_kernelIdEvPKT_PS0_S0_
                                        ; -- End function
	.set _Z11ratt_kernelIdEvPKT_PS0_S0_.num_vgpr, 40
	.set _Z11ratt_kernelIdEvPKT_PS0_S0_.num_agpr, 0
	.set _Z11ratt_kernelIdEvPKT_PS0_S0_.numbered_sgpr, 78
	.set _Z11ratt_kernelIdEvPKT_PS0_S0_.num_named_barrier, 0
	.set _Z11ratt_kernelIdEvPKT_PS0_S0_.private_seg_size, 0
	.set _Z11ratt_kernelIdEvPKT_PS0_S0_.uses_vcc, 1
	.set _Z11ratt_kernelIdEvPKT_PS0_S0_.uses_flat_scratch, 0
	.set _Z11ratt_kernelIdEvPKT_PS0_S0_.has_dyn_sized_stack, 0
	.set _Z11ratt_kernelIdEvPKT_PS0_S0_.has_recursion, 0
	.set _Z11ratt_kernelIdEvPKT_PS0_S0_.has_indirect_call, 0
	.section	.AMDGPU.csdata,"",@progbits
; Kernel info:
; codeLenInByte = 28024
; TotalNumSgprs: 84
; NumVgprs: 40
; NumAgprs: 0
; TotalNumVgprs: 40
; ScratchSize: 0
; MemoryBound: 0
; FloatMode: 240
; IeeeMode: 1
; LDSByteSize: 0 bytes/workgroup (compile time only)
; SGPRBlocks: 10
; VGPRBlocks: 4
; NumSGPRsForWavesPerEU: 84
; NumVGPRsForWavesPerEU: 40
; AccumOffset: 40
; Occupancy: 8
; WaveLimiterHint : 0
; COMPUTE_PGM_RSRC2:SCRATCH_EN: 0
; COMPUTE_PGM_RSRC2:USER_SGPR: 2
; COMPUTE_PGM_RSRC2:TRAP_HANDLER: 0
; COMPUTE_PGM_RSRC2:TGID_X_EN: 1
; COMPUTE_PGM_RSRC2:TGID_Y_EN: 0
; COMPUTE_PGM_RSRC2:TGID_Z_EN: 0
; COMPUTE_PGM_RSRC2:TIDIG_COMP_CNT: 0
; COMPUTE_PGM_RSRC3_GFX90A:ACCUM_OFFSET: 9
; COMPUTE_PGM_RSRC3_GFX90A:TG_SPLIT: 0
	.section	.text._Z12rdsmh_kernelIdEvPKT_PS0_S0_,"axG",@progbits,_Z12rdsmh_kernelIdEvPKT_PS0_S0_,comdat
	.protected	_Z12rdsmh_kernelIdEvPKT_PS0_S0_ ; -- Begin function _Z12rdsmh_kernelIdEvPKT_PS0_S0_
	.globl	_Z12rdsmh_kernelIdEvPKT_PS0_S0_
	.p2align	8
	.type	_Z12rdsmh_kernelIdEvPKT_PS0_S0_,@function
_Z12rdsmh_kernelIdEvPKT_PS0_S0_:        ; @_Z12rdsmh_kernelIdEvPKT_PS0_S0_
; %bb.0:
	s_load_dword s3, s[0:1], 0x24
	s_load_dwordx4 s[4:7], s[0:1], 0x0
	s_load_dwordx2 s[12:13], s[0:1], 0x10
	v_mov_b32_e32 v1, 0
	s_mov_b32 s9, 0x3c7abc9e
	s_waitcnt lgkmcnt(0)
	s_and_b32 s14, s3, 0xffff
	s_mul_i32 s2, s2, s14
	v_add_u32_e32 v0, s2, v0
	v_lshl_add_u64 v[2:3], v[0:1], 3, s[4:5]
	global_load_dwordx2 v[2:3], v[2:3], off
	s_mov_b32 s2, 0x55555555
	s_mov_b32 s3, 0x3fe55555
	;; [unrolled: 1-line block ×6, first 2 shown]
	v_mov_b32_e32 v6, 0x6b47b09a
	v_mov_b32_e32 v7, 0x3fc38538
	s_mov_b32 s11, 0x3fc3ab76
	v_mov_b32_e32 v8, 0xd7f4df2e
	v_mov_b32_e32 v9, 0x3fc7474d
	;; [unrolled: 1-line block ×10, first 2 shown]
	s_load_dword s15, s[0:1], 0x18
	s_movk_i32 s16, 0x204
	v_mov_b32_e32 v42, 0x7ff80000
	s_mov_b32 s0, 0
	v_mov_b32_e32 v43, 0xfff00000
	s_mov_b32 s1, 0x408f4000
	s_waitcnt lgkmcnt(0)
	s_mul_i32 s33, s15, s14
	v_lshl_add_u64 v[12:13], v[0:1], 3, s[6:7]
	s_waitcnt vmcnt(0)
	v_mul_f64 v[2:3], s[12:13], v[2:3]
	v_frexp_mant_f64_e32 v[4:5], v[2:3]
	v_cmp_gt_f64_e64 s[2:3], s[2:3], v[4:5]
	v_div_scale_f64 v[20:21], s[12:13], v[2:3], v[2:3], 1.0
	s_nop 0
	v_cndmask_b32_e64 v27, 0, 1, s[2:3]
	v_frexp_exp_i32_f64_e32 v26, v[2:3]
	v_rcp_f64_e32 v[24:25], v[20:21]
	v_ldexp_f64 v[4:5], v[4:5], v27
	v_subbrev_co_u32_e64 v30, s[2:3], 0, v26, s[2:3]
	v_add_f64 v[28:29], v[4:5], 1.0
	v_cvt_f64_i32_e32 v[30:31], v30
	v_rcp_f64_e32 v[34:35], v[28:29]
	v_add_f64 v[32:33], v[28:29], -1.0
	v_mul_f64 v[36:37], v[30:31], s[4:5]
	v_add_f64 v[26:27], v[4:5], -1.0
	v_add_f64 v[32:33], v[4:5], -v[32:33]
	v_fma_f64 v[4:5], v[30:31], s[4:5], -v[36:37]
	v_fma_f64 v[38:39], -v[20:21], v[24:25], 1.0
	v_fmac_f64_e32 v[4:5], s[8:9], v[30:31]
	v_fmac_f64_e32 v[24:25], v[24:25], v[38:39]
	v_add_f64 v[30:31], v[36:37], v[4:5]
	v_fma_f64 v[38:39], -v[20:21], v[24:25], 1.0
	v_fma_f64 v[40:41], -v[28:29], v[34:35], 1.0
	v_div_scale_f64 v[22:23], vcc, 1.0, v[2:3], 1.0
	v_add_f64 v[36:37], v[30:31], -v[36:37]
	v_fmac_f64_e32 v[24:25], v[24:25], v[38:39]
	v_fmac_f64_e32 v[34:35], v[40:41], v[34:35]
	v_add_f64 v[36:37], v[4:5], -v[36:37]
	v_mul_f64 v[4:5], v[22:23], v[24:25]
	v_fma_f64 v[38:39], -v[28:29], v[34:35], 1.0
	v_fma_f64 v[20:21], -v[20:21], v[4:5], v[22:23]
	v_fmac_f64_e32 v[34:35], v[38:39], v[34:35]
	v_div_fmas_f64 v[4:5], v[20:21], v[24:25], v[4:5]
	v_mul_f64 v[20:21], v[26:27], v[34:35]
	v_mul_f64 v[22:23], v[28:29], v[20:21]
	v_fma_f64 v[24:25], v[20:21], v[28:29], -v[22:23]
	v_fmac_f64_e32 v[24:25], v[20:21], v[32:33]
	v_add_f64 v[28:29], v[22:23], v[24:25]
	v_add_f64 v[32:33], v[26:27], -v[28:29]
	v_add_f64 v[22:23], v[28:29], -v[22:23]
	;; [unrolled: 1-line block ×5, first 2 shown]
	v_add_f64 v[22:23], v[22:23], v[24:25]
	v_add_f64 v[22:23], v[32:33], v[22:23]
	v_mul_f64 v[22:23], v[34:35], v[22:23]
	v_add_f64 v[24:25], v[20:21], v[22:23]
	v_mul_f64 v[26:27], v[24:25], v[24:25]
	v_fmac_f64_e32 v[6:7], s[10:11], v[26:27]
	v_fmac_f64_e32 v[8:9], v[26:27], v[6:7]
	;; [unrolled: 1-line block ×4, first 2 shown]
	v_add_f64 v[20:21], v[24:25], -v[20:21]
	v_fmac_f64_e32 v[16:17], v[26:27], v[14:15]
	v_add_f64 v[20:21], v[22:23], -v[20:21]
	v_mul_f64 v[22:23], v[24:25], v[26:27]
	v_fmac_f64_e32 v[18:19], v[26:27], v[16:17]
	v_ldexp_f64 v[28:29], v[24:25], 1
	v_mul_f64 v[8:9], v[22:23], v[18:19]
	v_add_f64 v[10:11], v[28:29], v[8:9]
	v_add_f64 v[14:15], v[10:11], -v[28:29]
	v_ldexp_f64 v[6:7], v[20:21], 1
	v_add_f64 v[8:9], v[8:9], -v[14:15]
	v_add_f64 v[6:7], v[6:7], v[8:9]
	v_add_f64 v[8:9], v[10:11], v[6:7]
	v_add_f64 v[10:11], v[8:9], -v[10:11]
	v_add_f64 v[14:15], v[30:31], v[8:9]
	v_add_f64 v[6:7], v[6:7], -v[10:11]
	v_add_f64 v[10:11], v[14:15], -v[30:31]
	;; [unrolled: 1-line block ×5, first 2 shown]
	v_add_f64 v[10:11], v[36:37], v[6:7]
	v_add_f64 v[8:9], v[8:9], v[16:17]
	v_add_f64 v[18:19], v[10:11], -v[36:37]
	v_add_f64 v[8:9], v[10:11], v[8:9]
	v_add_f64 v[16:17], v[10:11], -v[18:19]
	;; [unrolled: 2-line block ×3, first 2 shown]
	v_add_f64 v[16:17], v[36:37], -v[16:17]
	v_add_f64 v[14:15], v[10:11], -v[14:15]
	v_add_f64 v[6:7], v[6:7], v[16:17]
	v_add_f64 v[8:9], v[8:9], -v[14:15]
	v_add_f64 v[6:7], v[6:7], v[8:9]
	v_add_f64 v[6:7], v[10:11], v[6:7]
	v_cmp_class_f64_e64 vcc, v[2:3], s16
	v_cmp_nlt_f64_e64 s[0:1], s[0:1], v[2:3]
	v_div_fixup_f64 v[4:5], v[4:5], v[2:3], 1.0
	v_cndmask_b32_e32 v7, v7, v3, vcc
	v_cndmask_b32_e32 v6, v6, v2, vcc
	v_add_f64 v[6:7], v[6:7], -1.0
	v_cmp_ngt_f64_e32 vcc, 0, v[2:3]
	v_add_u32_e32 v8, s33, v0
                                        ; implicit-def: $vgpr10_vgpr11
                                        ; implicit-def: $vgpr14_vgpr15
	s_nop 0
	v_cndmask_b32_e32 v7, v42, v7, vcc
	v_cmp_nge_f64_e32 vcc, 0, v[2:3]
	s_nop 1
	v_cndmask_b32_e32 v6, 0, v6, vcc
	v_cmp_neq_f64_e32 vcc, 0, v[2:3]
	s_nop 1
	v_cndmask_b32_e32 v7, v43, v7, vcc
	s_and_saveexec_b64 s[2:3], s[0:1]
	s_xor_b64 s[2:3], exec, s[2:3]
	s_cbranch_execz .LBB28_2
; %bb.1:
	s_mov_b32 s0, 0x3bfb58d1
	v_mov_b32_e32 v14, 0x496161b4
	v_mov_b32_e32 v15, 0x3fe5db38
	s_mov_b32 s1, 0x408caf7b
	v_fmac_f64_e32 v[14:15], s[0:1], v[4:5]
	s_mov_b32 s0, 0xac9b2911
	s_mov_b32 s1, 0x4002c130
	v_fmac_f64_e32 v[14:15], s[0:1], v[6:7]
	s_mov_b32 s0, 0xecc7a7b5
	v_mov_b32_e32 v10, 0x3f5fda7
	v_mov_b32_e32 v11, 0x3e1cdbb2
	s_mov_b32 s1, 0xbd59f3d0
	v_fmac_f64_e32 v[10:11], s[0:1], v[2:3]
	v_mov_b32_e32 v16, 0x759749d1
	v_mov_b32_e32 v17, 0xbecb3b80
	v_fmac_f64_e32 v[16:17], v[2:3], v[10:11]
	v_mov_b32_e32 v10, 0x5caab342
	v_mov_b32_e32 v11, 0x3f705817
	v_fmac_f64_e32 v[10:11], v[2:3], v[16:17]
	s_mov_b32 s10, 0x652b82fe
	v_fmac_f64_e32 v[14:15], v[2:3], v[10:11]
	s_mov_b32 s11, 0x3ff71547
	v_mul_f64 v[10:11], v[14:15], s[10:11]
	v_rndne_f64_e32 v[16:17], v[10:11]
	s_mov_b32 s5, 0xbfe62e42
	s_mov_b32 s0, 0xfca7ab0c
	v_fma_f64 v[18:19], s[4:5], v[16:17], v[14:15]
	s_mov_b32 s9, 0xbc7abc9e
	s_mov_b32 s1, 0x3e928af3
	;; [unrolled: 1-line block ×3, first 2 shown]
	v_fmac_f64_e32 v[18:19], s[8:9], v[16:17]
	s_mov_b32 s13, 0x3e5ade15
	v_mov_b64_e32 v[10:11], s[0:1]
	s_mov_b32 s14, 0x623fde64
	v_fma_f64 v[20:21], s[12:13], v[18:19], v[10:11]
	s_mov_b32 s15, 0x3ec71dee
	s_mov_b32 s16, 0x7c89e6b0
	v_fma_f64 v[20:21], v[18:19], v[20:21], s[14:15]
	s_mov_b32 s17, 0x3efa0199
	;; [unrolled: 3-line block ×8, first 2 shown]
	v_fma_f64 v[20:21], v[18:19], v[20:21], s[28:29]
	v_fma_f64 v[20:21], v[18:19], v[20:21], 1.0
	s_mov_b32 s30, 0
	s_mov_b32 s34, 0
	v_fma_f64 v[18:19], v[18:19], v[20:21], 1.0
	v_cvt_i32_f64_e32 v9, v[16:17]
	s_mov_b32 s31, 0x40900000
	s_mov_b32 s35, 0xc090cc00
	v_ldexp_f64 v[18:19], v[18:19], v9
	v_mov_b32_e32 v16, 0x7ff00000
	v_cmp_nlt_f64_e32 vcc, s[30:31], v[14:15]
	v_cmp_ngt_f64_e64 s[0:1], s[34:35], v[14:15]
	s_mov_b32 s37, 0xc0c914d0
	v_cndmask_b32_e32 v9, v16, v19, vcc
	s_and_b64 vcc, s[0:1], vcc
	v_cndmask_b32_e64 v15, 0, v9, s[0:1]
	v_cndmask_b32_e32 v14, 0, v18, vcc
	s_mov_b32 s0, 0x3bcd35a8
	global_store_dwordx2 v[12:13], v[14:15], off
	v_mov_b32_e32 v12, 0xad546a18
	v_mov_b32_e32 v13, 0xbfdc9673
	s_mov_b32 s1, 0xc0d8e06a
	v_fmac_f64_e32 v[12:13], s[0:1], v[4:5]
	s_mov_b32 s0, 0x33011ea8
	v_mov_b32_e32 v14, 0x2ac5033d
	v_mov_b32_e32 v15, 0x3c0c4b88
	s_mov_b32 s1, 0xbb4c09fb
	v_fmac_f64_e32 v[14:15], s[0:1], v[2:3]
	v_mov_b32_e32 v18, 0xaab581f1
	v_mov_b32_e32 v19, 0xbcb7f85e
	v_fmac_f64_e32 v[18:19], v[2:3], v[14:15]
	v_mov_b32_e32 v14, 0xbf5fb7e0
	v_mov_b32_e32 v15, 0x3d58d112
	v_fmac_f64_e32 v[12:13], 0x40040000, v[6:7]
	v_fmac_f64_e32 v[14:15], v[2:3], v[18:19]
	v_fmac_f64_e32 v[12:13], v[2:3], v[14:15]
	v_mul_f64 v[14:15], v[12:13], s[10:11]
	v_rndne_f64_e32 v[14:15], v[14:15]
	v_fma_f64 v[18:19], s[4:5], v[14:15], v[12:13]
	v_fmac_f64_e32 v[18:19], s[8:9], v[14:15]
	v_fma_f64 v[20:21], s[12:13], v[18:19], v[10:11]
	v_fma_f64 v[20:21], v[18:19], v[20:21], s[14:15]
	v_fma_f64 v[20:21], v[18:19], v[20:21], s[16:17]
	v_fma_f64 v[20:21], v[18:19], v[20:21], s[18:19]
	v_fma_f64 v[20:21], v[18:19], v[20:21], s[20:21]
	v_fma_f64 v[20:21], v[18:19], v[20:21], s[22:23]
	v_fma_f64 v[20:21], v[18:19], v[20:21], s[24:25]
	v_fma_f64 v[20:21], v[18:19], v[20:21], s[26:27]
	v_fma_f64 v[20:21], v[18:19], v[20:21], s[28:29]
	v_fma_f64 v[20:21], v[18:19], v[20:21], 1.0
	v_fma_f64 v[18:19], v[18:19], v[20:21], 1.0
	v_cvt_i32_f64_e32 v9, v[14:15]
	v_ldexp_f64 v[14:15], v[18:19], v9
	v_cmp_nlt_f64_e32 vcc, s[30:31], v[12:13]
	v_cmp_ngt_f64_e64 s[0:1], s[34:35], v[12:13]
	v_mov_b32_e32 v18, 0x592d2311
	v_cndmask_b32_e32 v9, v16, v15, vcc
	v_cndmask_b32_e64 v13, 0, v9, s[0:1]
	s_and_b64 vcc, s[0:1], vcc
	v_mov_b32_e32 v9, v1
	v_cndmask_b32_e32 v12, 0, v14, vcc
	v_lshl_add_u64 v[14:15], v[8:9], 3, s[6:7]
	s_mov_b32 s0, 0x96bb98c8
	global_store_dwordx2 v[14:15], v[12:13], off
	v_mov_b32_e32 v12, 0x1702251e
	v_mov_b32_e32 v13, 0x40006a5c
	s_mov_b32 s1, 0xc0dc7090
	v_fmac_f64_e32 v[12:13], s[0:1], v[4:5]
	s_mov_b32 s0, 0x6bdbf12d
	s_mov_b32 s1, 0x4009589c
	v_fmac_f64_e32 v[12:13], s[0:1], v[6:7]
	s_mov_b32 s0, 0xa8926402
	v_mov_b32_e32 v14, 0x89193451
	v_mov_b32_e32 v15, 0xbe018beb
	s_mov_b32 s1, 0x3d3dbba8
	v_fmac_f64_e32 v[14:15], s[0:1], v[2:3]
	v_mov_b32_e32 v19, 0x3eb2934a
	v_fmac_f64_e32 v[18:19], v[2:3], v[14:15]
	v_mov_b32_e32 v14, 0xe5787a18
	v_mov_b32_e32 v15, 0xbf5add3a
	v_fmac_f64_e32 v[14:15], v[2:3], v[18:19]
	v_fmac_f64_e32 v[12:13], v[2:3], v[14:15]
	v_mul_f64 v[14:15], v[12:13], s[10:11]
	v_rndne_f64_e32 v[14:15], v[14:15]
	v_fma_f64 v[18:19], s[4:5], v[14:15], v[12:13]
	v_fmac_f64_e32 v[18:19], s[8:9], v[14:15]
	v_fma_f64 v[20:21], s[12:13], v[18:19], v[10:11]
	v_fma_f64 v[20:21], v[18:19], v[20:21], s[14:15]
	v_fma_f64 v[20:21], v[18:19], v[20:21], s[16:17]
	v_fma_f64 v[20:21], v[18:19], v[20:21], s[18:19]
	v_fma_f64 v[20:21], v[18:19], v[20:21], s[20:21]
	v_fma_f64 v[20:21], v[18:19], v[20:21], s[22:23]
	v_fma_f64 v[20:21], v[18:19], v[20:21], s[24:25]
	v_fma_f64 v[20:21], v[18:19], v[20:21], s[26:27]
	v_fma_f64 v[20:21], v[18:19], v[20:21], s[28:29]
	v_fma_f64 v[20:21], v[18:19], v[20:21], 1.0
	v_fma_f64 v[18:19], v[18:19], v[20:21], 1.0
	v_cvt_i32_f64_e32 v9, v[14:15]
	v_ldexp_f64 v[14:15], v[18:19], v9
	v_cmp_nlt_f64_e32 vcc, s[30:31], v[12:13]
	v_cmp_ngt_f64_e64 s[0:1], s[34:35], v[12:13]
	v_add_u32_e32 v8, s33, v8
	v_cndmask_b32_e32 v9, v16, v15, vcc
	v_cndmask_b32_e64 v13, 0, v9, s[0:1]
	s_and_b64 vcc, s[0:1], vcc
	v_mov_b32_e32 v9, v1
	v_cndmask_b32_e32 v12, 0, v14, vcc
	v_lshl_add_u64 v[14:15], v[8:9], 3, s[6:7]
	s_mov_b32 s0, 0x3497b741
	global_store_dwordx2 v[14:15], v[12:13], off
	v_mov_b32_e32 v12, 0x7e3dc88d
	v_mov_b32_e32 v13, 0x400d42eb
	s_mov_b32 s1, 0x40909fc6
	v_fmac_f64_e32 v[12:13], s[0:1], v[4:5]
	s_mov_b32 s0, 0x7ae5fa45
	s_mov_b32 s1, 0x400e4278
	v_fmac_f64_e32 v[12:13], s[0:1], v[6:7]
	s_mov_b32 s0, 0xae87f7e5
	v_mov_b32_e32 v14, 0xdfaaca22
	v_mov_b32_e32 v15, 0xbe0bb876
	s_mov_b32 s1, 0x3d46d361
	v_fmac_f64_e32 v[14:15], s[0:1], v[2:3]
	v_mov_b32_e32 v18, 0x2cda255f
	v_mov_b32_e32 v19, 0x3ebb88f9
	v_fmac_f64_e32 v[18:19], v[2:3], v[14:15]
	v_mov_b32_e32 v14, 0x66c8c0df
	v_mov_b32_e32 v15, 0xbf588c9b
	v_fmac_f64_e32 v[14:15], v[2:3], v[18:19]
	v_fmac_f64_e32 v[12:13], v[2:3], v[14:15]
	v_mul_f64 v[14:15], v[12:13], s[10:11]
	v_rndne_f64_e32 v[14:15], v[14:15]
	v_fma_f64 v[18:19], s[4:5], v[14:15], v[12:13]
	v_fmac_f64_e32 v[18:19], s[8:9], v[14:15]
	v_fma_f64 v[20:21], s[12:13], v[18:19], v[10:11]
	v_fma_f64 v[20:21], v[18:19], v[20:21], s[14:15]
	v_fma_f64 v[20:21], v[18:19], v[20:21], s[16:17]
	v_fma_f64 v[20:21], v[18:19], v[20:21], s[18:19]
	v_fma_f64 v[20:21], v[18:19], v[20:21], s[20:21]
	v_fma_f64 v[20:21], v[18:19], v[20:21], s[22:23]
	v_fma_f64 v[20:21], v[18:19], v[20:21], s[24:25]
	v_fma_f64 v[20:21], v[18:19], v[20:21], s[26:27]
	v_fma_f64 v[20:21], v[18:19], v[20:21], s[28:29]
	v_fma_f64 v[20:21], v[18:19], v[20:21], 1.0
	v_fma_f64 v[18:19], v[18:19], v[20:21], 1.0
	v_cvt_i32_f64_e32 v9, v[14:15]
	v_ldexp_f64 v[14:15], v[18:19], v9
	v_cmp_nlt_f64_e32 vcc, s[30:31], v[12:13]
	v_cmp_ngt_f64_e64 s[0:1], s[34:35], v[12:13]
	v_add_u32_e32 v8, s33, v8
	v_cndmask_b32_e32 v9, v16, v15, vcc
	v_cndmask_b32_e64 v13, 0, v9, s[0:1]
	s_and_b64 vcc, s[0:1], vcc
	v_mov_b32_e32 v9, v1
	v_cndmask_b32_e32 v12, 0, v14, vcc
	v_lshl_add_u64 v[14:15], v[8:9], 3, s[6:7]
	s_mov_b32 s0, 0x3f290abb
	global_store_dwordx2 v[14:15], v[12:13], off
	v_mov_b32_e32 v12, 0xdb54f242
	v_mov_b32_e32 v13, 0xbfba9adb
	s_mov_b32 s1, 0xc0ac3e29
	v_fmac_f64_e32 v[12:13], s[0:1], v[4:5]
	s_mov_b32 s0, 0xc927d1ab
	s_mov_b32 s1, 0x400fefa5
	v_fmac_f64_e32 v[12:13], s[0:1], v[6:7]
	s_mov_b32 s0, 0xbce74b0f
	v_mov_b32_e32 v14, 0x38718345
	v_mov_b32_e32 v15, 0xbdf639cd
	s_mov_b32 s1, 0x3d3332bd
	v_fmac_f64_e32 v[14:15], s[0:1], v[2:3]
	v_mov_b32_e32 v18, 0x53a8043c
	;; [unrolled: 47-line block ×19, first 2 shown]
	v_mov_b32_e32 v19, 0x3ee3f522
	v_fmac_f64_e32 v[18:19], v[2:3], v[14:15]
	v_mov_b32_e32 v14, 0xa77197f7
	v_mov_b32_e32 v15, 0xbf6f0244
	v_fmac_f64_e32 v[14:15], v[2:3], v[18:19]
	v_fmac_f64_e32 v[12:13], v[2:3], v[14:15]
	v_mul_f64 v[14:15], v[12:13], s[10:11]
	v_rndne_f64_e32 v[14:15], v[14:15]
	v_fma_f64 v[18:19], s[4:5], v[14:15], v[12:13]
	v_fmac_f64_e32 v[18:19], s[8:9], v[14:15]
	v_fma_f64 v[20:21], s[12:13], v[18:19], v[10:11]
	v_fma_f64 v[20:21], v[18:19], v[20:21], s[14:15]
	;; [unrolled: 1-line block ×9, first 2 shown]
	v_fma_f64 v[20:21], v[18:19], v[20:21], 1.0
	v_fma_f64 v[18:19], v[18:19], v[20:21], 1.0
	v_cvt_i32_f64_e32 v9, v[14:15]
	v_ldexp_f64 v[14:15], v[18:19], v9
	v_cmp_nlt_f64_e32 vcc, s[30:31], v[12:13]
	v_cmp_ngt_f64_e64 s[0:1], s[34:35], v[12:13]
	v_add_u32_e32 v8, s33, v8
	v_cndmask_b32_e32 v9, v16, v15, vcc
	v_cndmask_b32_e64 v13, 0, v9, s[0:1]
	s_and_b64 vcc, s[0:1], vcc
	v_mov_b32_e32 v9, v1
	v_cndmask_b32_e32 v12, 0, v14, vcc
	v_lshl_add_u64 v[14:15], v[8:9], 3, s[6:7]
	global_store_dwordx2 v[14:15], v[12:13], off
	v_mov_b32_e32 v12, 0xa8b4ea83
	v_mov_b32_e32 v13, 0x4012d42e
	s_mov_b32 s36, 0x3126e979
	s_mov_b32 s0, 0x23a3c91d
	v_fmac_f64_e32 v[12:13], s[36:37], v[4:5]
	s_mov_b32 s1, 0x401139d2
	v_fmac_f64_e32 v[12:13], s[0:1], v[6:7]
	s_mov_b32 s0, 0xf0472426
	v_mov_b32_e32 v14, 0x3ad81749
	v_mov_b32_e32 v15, 0xbe35718e
	s_mov_b32 s1, 0x3d744699
	v_fmac_f64_e32 v[14:15], s[0:1], v[2:3]
	v_mov_b32_e32 v18, 0xc90bd661
	v_mov_b32_e32 v19, 0x3ee1605b
	v_fmac_f64_e32 v[18:19], v[2:3], v[14:15]
	v_mov_b32_e32 v14, 0xe7e42173
	v_mov_b32_e32 v15, 0xbf6125f4
	v_fmac_f64_e32 v[14:15], v[2:3], v[18:19]
	v_fmac_f64_e32 v[12:13], v[2:3], v[14:15]
	v_mul_f64 v[14:15], v[12:13], s[10:11]
	v_rndne_f64_e32 v[14:15], v[14:15]
	v_fma_f64 v[18:19], s[4:5], v[14:15], v[12:13]
	v_fmac_f64_e32 v[18:19], s[8:9], v[14:15]
	v_fma_f64 v[20:21], s[12:13], v[18:19], v[10:11]
	v_fma_f64 v[20:21], v[18:19], v[20:21], s[14:15]
	v_fma_f64 v[20:21], v[18:19], v[20:21], s[16:17]
	v_fma_f64 v[20:21], v[18:19], v[20:21], s[18:19]
	v_fma_f64 v[20:21], v[18:19], v[20:21], s[20:21]
	v_fma_f64 v[20:21], v[18:19], v[20:21], s[22:23]
	v_fma_f64 v[20:21], v[18:19], v[20:21], s[24:25]
	v_fma_f64 v[20:21], v[18:19], v[20:21], s[26:27]
	v_fma_f64 v[20:21], v[18:19], v[20:21], s[28:29]
	v_fma_f64 v[20:21], v[18:19], v[20:21], 1.0
	v_fma_f64 v[18:19], v[18:19], v[20:21], 1.0
	v_cvt_i32_f64_e32 v9, v[14:15]
	v_ldexp_f64 v[14:15], v[18:19], v9
	v_cmp_nlt_f64_e32 vcc, s[30:31], v[12:13]
	v_cmp_ngt_f64_e64 s[0:1], s[34:35], v[12:13]
	v_add_u32_e32 v8, s33, v8
	v_cndmask_b32_e32 v9, v16, v15, vcc
	v_cndmask_b32_e64 v13, 0, v9, s[0:1]
	s_and_b64 vcc, s[0:1], vcc
	v_mov_b32_e32 v9, v1
	v_cndmask_b32_e32 v12, 0, v14, vcc
	v_lshl_add_u64 v[14:15], v[8:9], 3, s[6:7]
	s_mov_b32 s0, 0x4dd2f1aa
	global_store_dwordx2 v[14:15], v[12:13], off
	v_mov_b32_e32 v12, 0x618352b0
	v_mov_b32_e32 v13, 0x400555a7
	s_mov_b32 s1, 0x40c6811a
	v_fmac_f64_e32 v[12:13], s[0:1], v[4:5]
	s_mov_b32 s0, 0x4b528ec3
	s_mov_b32 s1, 0x40112a6b
	v_fmac_f64_e32 v[12:13], s[0:1], v[6:7]
	s_mov_b32 s0, 0x5c95727
	v_mov_b32_e32 v14, 0x17bccd0f
	v_mov_b32_e32 v15, 0xbe395b64
	s_mov_b32 s1, 0x3d77a244
	v_fmac_f64_e32 v[14:15], s[0:1], v[2:3]
	v_mov_b32_e32 v18, 0xd95eec46
	v_mov_b32_e32 v19, 0x3ee4f3ae
	v_fmac_f64_e32 v[18:19], v[2:3], v[14:15]
	v_mov_b32_e32 v14, 0x1f95b2df
	v_mov_b32_e32 v15, 0xbf6688c9
	v_fmac_f64_e32 v[14:15], v[2:3], v[18:19]
	v_fmac_f64_e32 v[12:13], v[2:3], v[14:15]
	v_mul_f64 v[14:15], v[12:13], s[10:11]
	v_rndne_f64_e32 v[14:15], v[14:15]
	v_fma_f64 v[18:19], s[4:5], v[14:15], v[12:13]
	v_fmac_f64_e32 v[18:19], s[8:9], v[14:15]
	v_fma_f64 v[20:21], s[12:13], v[18:19], v[10:11]
	v_fma_f64 v[20:21], v[18:19], v[20:21], s[14:15]
	v_fma_f64 v[20:21], v[18:19], v[20:21], s[16:17]
	v_fma_f64 v[20:21], v[18:19], v[20:21], s[18:19]
	v_fma_f64 v[20:21], v[18:19], v[20:21], s[20:21]
	v_fma_f64 v[20:21], v[18:19], v[20:21], s[22:23]
	v_fma_f64 v[20:21], v[18:19], v[20:21], s[24:25]
	v_fma_f64 v[20:21], v[18:19], v[20:21], s[26:27]
	v_fma_f64 v[20:21], v[18:19], v[20:21], s[28:29]
	v_fma_f64 v[20:21], v[18:19], v[20:21], 1.0
	v_fma_f64 v[18:19], v[18:19], v[20:21], 1.0
	v_cvt_i32_f64_e32 v9, v[14:15]
	v_ldexp_f64 v[14:15], v[18:19], v9
	v_cmp_nlt_f64_e32 vcc, s[30:31], v[12:13]
	v_cmp_ngt_f64_e64 s[0:1], s[34:35], v[12:13]
	v_add_u32_e32 v8, s33, v8
	v_cndmask_b32_e32 v9, v16, v15, vcc
	v_cndmask_b32_e64 v13, 0, v9, s[0:1]
	s_and_b64 vcc, s[0:1], vcc
	v_mov_b32_e32 v9, v1
	v_cndmask_b32_e32 v12, 0, v14, vcc
	v_lshl_add_u64 v[14:15], v[8:9], 3, s[6:7]
	s_mov_b32 s0, 0xbc6a7efa
	global_store_dwordx2 v[14:15], v[12:13], off
	v_mov_b32_e32 v12, 0xefe0ce0c
	v_mov_b32_e32 v13, 0x4028fb17
	s_mov_b32 s1, 0xc0d396dc
	v_fmac_f64_e32 v[12:13], s[0:1], v[4:5]
	s_mov_b32 s0, 0x8265a06e
	;; [unrolled: 47-line block ×4, first 2 shown]
	s_mov_b32 s1, 0x400b45c2
	v_fmac_f64_e32 v[12:13], s[0:1], v[6:7]
	s_mov_b32 s0, 0xfa3e34f6
	v_mov_b32_e32 v14, 0x2213f08
	v_mov_b32_e32 v15, 0x3e047f4c
	s_mov_b32 s1, 0x3d442d6b
	v_fmac_f64_e32 v[14:15], s[0:1], v[2:3]
	v_mov_b32_e32 v18, 0xaa41db60
	v_mov_b32_e32 v19, 0x3e9527ee
	v_fmac_f64_e32 v[18:19], v[2:3], v[14:15]
	v_mov_b32_e32 v14, 0x115dd40
	v_mov_b32_e32 v15, 0x3f75fe1b
	v_fmac_f64_e32 v[14:15], v[2:3], v[18:19]
	v_fmac_f64_e32 v[12:13], v[2:3], v[14:15]
	v_mul_f64 v[14:15], v[12:13], s[10:11]
	v_rndne_f64_e32 v[14:15], v[14:15]
	v_fma_f64 v[18:19], s[4:5], v[14:15], v[12:13]
	v_fmac_f64_e32 v[18:19], s[8:9], v[14:15]
	v_fma_f64 v[20:21], s[12:13], v[18:19], v[10:11]
	v_fma_f64 v[20:21], v[18:19], v[20:21], s[14:15]
	;; [unrolled: 1-line block ×9, first 2 shown]
	v_fma_f64 v[20:21], v[18:19], v[20:21], 1.0
	v_fma_f64 v[18:19], v[18:19], v[20:21], 1.0
	v_cvt_i32_f64_e32 v9, v[14:15]
	v_ldexp_f64 v[14:15], v[18:19], v9
	v_cmp_nlt_f64_e32 vcc, s[30:31], v[12:13]
	v_cmp_ngt_f64_e64 s[0:1], s[34:35], v[12:13]
	v_add_u32_e32 v8, s33, v8
	v_cndmask_b32_e32 v9, v16, v15, vcc
	v_cndmask_b32_e64 v13, 0, v9, s[0:1]
	s_and_b64 vcc, s[0:1], vcc
	v_mov_b32_e32 v9, v1
	v_cndmask_b32_e32 v12, 0, v14, vcc
	v_lshl_add_u64 v[14:15], v[8:9], 3, s[6:7]
	global_store_dwordx2 v[14:15], v[12:13], off
	v_mov_b32_e32 v12, 0x5df3d
	v_mov_b32_e32 v13, 0x4010697d
	s_mov_b32 s37, 0x40d51138
	s_mov_b32 s0, 0x6e6106ab
	v_fmac_f64_e32 v[12:13], s[36:37], v[4:5]
	s_mov_b32 s1, 0x4012eaf7
	v_fmac_f64_e32 v[12:13], s[0:1], v[6:7]
	s_mov_b32 s0, 0x8840b02f
	v_mov_b32_e32 v14, 0x6e8b7f34
	v_mov_b32_e32 v15, 0xbe3490b3
	s_mov_b32 s1, 0x3d734a72
	v_fmac_f64_e32 v[14:15], s[0:1], v[2:3]
	v_mov_b32_e32 v18, 0x4c7edf0f
	v_mov_b32_e32 v19, 0x3ee09d5a
	v_fmac_f64_e32 v[18:19], v[2:3], v[14:15]
	v_mov_b32_e32 v14, 0x427d2efe
	v_mov_b32_e32 v15, 0xbf5a28ce
	v_fmac_f64_e32 v[14:15], v[2:3], v[18:19]
	v_fmac_f64_e32 v[12:13], v[2:3], v[14:15]
	v_mul_f64 v[14:15], v[12:13], s[10:11]
	v_rndne_f64_e32 v[14:15], v[14:15]
	v_fma_f64 v[18:19], s[4:5], v[14:15], v[12:13]
	v_fmac_f64_e32 v[18:19], s[8:9], v[14:15]
	v_fma_f64 v[20:21], s[12:13], v[18:19], v[10:11]
	v_fma_f64 v[20:21], v[18:19], v[20:21], s[14:15]
	v_fma_f64 v[20:21], v[18:19], v[20:21], s[16:17]
	v_fma_f64 v[20:21], v[18:19], v[20:21], s[18:19]
	v_fma_f64 v[20:21], v[18:19], v[20:21], s[20:21]
	v_fma_f64 v[20:21], v[18:19], v[20:21], s[22:23]
	v_fma_f64 v[20:21], v[18:19], v[20:21], s[24:25]
	v_fma_f64 v[20:21], v[18:19], v[20:21], s[26:27]
	v_fma_f64 v[20:21], v[18:19], v[20:21], s[28:29]
	v_fma_f64 v[20:21], v[18:19], v[20:21], 1.0
	v_fma_f64 v[18:19], v[18:19], v[20:21], 1.0
	v_cvt_i32_f64_e32 v9, v[14:15]
	v_ldexp_f64 v[14:15], v[18:19], v9
	v_cmp_nlt_f64_e32 vcc, s[30:31], v[12:13]
	v_cmp_ngt_f64_e64 s[0:1], s[34:35], v[12:13]
	v_add_u32_e32 v8, s33, v8
	v_cndmask_b32_e32 v9, v16, v15, vcc
	v_cndmask_b32_e64 v13, 0, v9, s[0:1]
	s_and_b64 vcc, s[0:1], vcc
	v_mov_b32_e32 v9, v1
	v_cndmask_b32_e32 v12, 0, v14, vcc
	v_lshl_add_u64 v[14:15], v[8:9], 3, s[6:7]
	s_mov_b32 s0, 0x4189374c
	global_store_dwordx2 v[14:15], v[12:13], off
	v_mov_b32_e32 v12, 0xc0b13598
	v_mov_b32_e32 v13, 0x40312c57
	s_mov_b32 s1, 0xc0d2cb68
	v_fmac_f64_e32 v[12:13], s[0:1], v[4:5]
	s_mov_b32 s0, 0x806f2629
	s_mov_b32 s1, 0x3ff5cf99
	v_fmac_f64_e32 v[12:13], s[0:1], v[6:7]
	s_mov_b32 s0, 0x3f7e1a43
	v_mov_b32_e32 v14, 0x57b3f20f
	v_mov_b32_e32 v15, 0xbe27e078
	s_mov_b32 s1, 0x3d6be0a9
	v_fmac_f64_e32 v[14:15], s[0:1], v[2:3]
	v_mov_b32_e32 v18, 0x3ae6df7c
	v_mov_b32_e32 v19, 0x3ec178df
	v_fmac_f64_e32 v[18:19], v[2:3], v[14:15]
	v_mov_b32_e32 v14, 0x4d0b06d
	v_mov_b32_e32 v15, 0x3f844a13
	v_fmac_f64_e32 v[14:15], v[2:3], v[18:19]
	v_fmac_f64_e32 v[12:13], v[2:3], v[14:15]
	v_mul_f64 v[14:15], v[12:13], s[10:11]
	v_rndne_f64_e32 v[14:15], v[14:15]
	v_fma_f64 v[18:19], s[4:5], v[14:15], v[12:13]
	v_fmac_f64_e32 v[18:19], s[8:9], v[14:15]
	v_fma_f64 v[20:21], s[12:13], v[18:19], v[10:11]
	v_fma_f64 v[20:21], v[18:19], v[20:21], s[14:15]
	;; [unrolled: 1-line block ×9, first 2 shown]
	v_fma_f64 v[20:21], v[18:19], v[20:21], 1.0
	v_fma_f64 v[18:19], v[18:19], v[20:21], 1.0
	v_cvt_i32_f64_e32 v9, v[14:15]
	v_ldexp_f64 v[14:15], v[18:19], v9
	v_cmp_nlt_f64_e32 vcc, s[30:31], v[12:13]
	v_cmp_ngt_f64_e64 s[0:1], s[34:35], v[12:13]
	v_add_u32_e32 v8, s33, v8
	v_cndmask_b32_e32 v9, v16, v15, vcc
	v_cndmask_b32_e64 v13, 0, v9, s[0:1]
	s_and_b64 vcc, s[0:1], vcc
	v_mov_b32_e32 v9, v1
	v_cndmask_b32_e32 v12, 0, v14, vcc
	v_lshl_add_u64 v[14:15], v[8:9], 3, s[6:7]
	s_mov_b32 s0, 0xd2f1a9fc
	global_store_dwordx2 v[14:15], v[12:13], off
	v_mov_b32_e32 v12, 0x92ccf7
	v_mov_b32_e32 v13, 0x40302535
	s_mov_b32 s1, 0xc090cb4d
	v_fmac_f64_e32 v[12:13], s[0:1], v[4:5]
	s_mov_b32 s0, 0xe17e34b9
	s_mov_b32 s1, 0x3ff7e495
	v_fmac_f64_e32 v[12:13], s[0:1], v[6:7]
	s_mov_b32 s0, 0x175fa3c6
	v_mov_b32_e32 v14, 0x8defcf27
	v_mov_b32_e32 v15, 0xbe17e4a0
	s_mov_b32 s1, 0x3d592f7c
	v_fmac_f64_e32 v[14:15], s[0:1], v[2:3]
	v_mov_b32_e32 v18, 0x6437efdc
	v_mov_b32_e32 v19, 0x3ea9178b
	v_fmac_f64_e32 v[18:19], v[2:3], v[14:15]
	v_mov_b32_e32 v14, 0xf0d3924
	v_mov_b32_e32 v15, 0x3f856d69
	v_fmac_f64_e32 v[14:15], v[2:3], v[18:19]
	v_fmac_f64_e32 v[12:13], v[2:3], v[14:15]
	v_mul_f64 v[14:15], v[12:13], s[10:11]
	v_rndne_f64_e32 v[14:15], v[14:15]
	v_fma_f64 v[18:19], s[4:5], v[14:15], v[12:13]
	v_fmac_f64_e32 v[18:19], s[8:9], v[14:15]
	v_fmac_f64_e32 v[10:11], s[12:13], v[18:19]
	v_fma_f64 v[10:11], v[18:19], v[10:11], s[14:15]
	v_fma_f64 v[10:11], v[18:19], v[10:11], s[16:17]
	;; [unrolled: 1-line block ×8, first 2 shown]
	v_fma_f64 v[10:11], v[18:19], v[10:11], 1.0
	v_fma_f64 v[10:11], v[18:19], v[10:11], 1.0
	v_cvt_i32_f64_e32 v9, v[14:15]
	v_ldexp_f64 v[10:11], v[10:11], v9
	v_cmp_nlt_f64_e32 vcc, s[30:31], v[12:13]
	v_cmp_ngt_f64_e64 s[0:1], s[34:35], v[12:13]
	v_add_u32_e32 v8, s33, v8
	v_cndmask_b32_e32 v9, v16, v11, vcc
	v_cndmask_b32_e64 v11, 0, v9, s[0:1]
	s_and_b64 vcc, s[0:1], vcc
	v_mov_b32_e32 v9, v1
	v_cndmask_b32_e32 v10, 0, v10, vcc
	v_lshl_add_u64 v[8:9], v[8:9], 3, s[6:7]
	s_mov_b32 s0, 0x49ba5e35
	global_store_dwordx2 v[8:9], v[10:11], off
	v_mov_b32_e32 v10, 0x1fcd24e1
	v_mov_b32_e32 v11, 0x403522d3
	s_mov_b32 s1, 0xc0c4242c
	v_fmac_f64_e32 v[10:11], s[0:1], v[4:5]
	s_mov_b32 s0, 0x38d2af65
	s_mov_b32 s1, 0x3ff0c92f
	v_fmac_f64_e32 v[10:11], s[0:1], v[6:7]
	s_mov_b32 s0, 0x6bb0b46f
	v_mov_b32_e32 v14, 0x1c8d79b3
	v_mov_b32_e32 v15, 0xbe1c0db1
	s_mov_b32 s1, 0x3d607cc8
	v_fmac_f64_e32 v[14:15], s[0:1], v[2:3]
                                        ; implicit-def: $vgpr4_vgpr5
                                        ; implicit-def: $vgpr6_vgpr7
                                        ; implicit-def: $vgpr12_vgpr13
                                        ; implicit-def: $vgpr8
.LBB28_2:
	s_or_saveexec_b64 s[2:3], s[2:3]
	v_mov_b32_e32 v16, 0xa1c00c53
	v_mov_b32_e32 v17, 0x3f8aa218
	;; [unrolled: 1-line block ×5, first 2 shown]
	s_xor_b64 exec, exec, s[2:3]
	s_cbranch_execz .LBB28_4
; %bb.3:
	s_mov_b32 s0, 0x78e5c4eb
	v_mov_b32_e32 v14, 0x42daf0fd
	v_mov_b32_e32 v15, 0xc009a3e3
	s_mov_b32 s1, 0x408db145
	v_fmac_f64_e32 v[14:15], s[0:1], v[4:5]
	s_mov_b32 s0, 0x6fecf7e5
	s_mov_b32 s1, 0x400ab2bf
	v_fmac_f64_e32 v[14:15], s[0:1], v[6:7]
	s_mov_b32 s0, 0x18342be3
	v_mov_b32_e32 v10, 0x322506a6
	v_mov_b32_e32 v11, 0xbdb073f4
	s_mov_b32 s1, 0x3cd20993
	v_fmac_f64_e32 v[10:11], s[0:1], v[2:3]
	v_mov_b32_e32 v16, 0xc265e095
	v_mov_b32_e32 v17, 0x3e765866
	v_fmac_f64_e32 v[16:17], v[2:3], v[10:11]
	v_mov_b32_e32 v10, 0xc08fd91
	v_mov_b32_e32 v11, 0xbef9e6b0
	v_fmac_f64_e32 v[10:11], v[2:3], v[16:17]
	s_mov_b32 s4, 0x652b82fe
	v_fmac_f64_e32 v[14:15], v[2:3], v[10:11]
	s_mov_b32 s5, 0x3ff71547
	v_mul_f64 v[10:11], v[14:15], s[4:5]
	s_mov_b32 s8, 0xfefa39ef
	v_rndne_f64_e32 v[16:17], v[10:11]
	s_mov_b32 s9, 0xbfe62e42
	s_mov_b32 s10, 0x3b39803f
	;; [unrolled: 1-line block ×3, first 2 shown]
	v_fma_f64 v[18:19], s[8:9], v[16:17], v[14:15]
	s_mov_b32 s11, 0xbc7abc9e
	s_mov_b32 s1, 0x3e928af3
	;; [unrolled: 1-line block ×3, first 2 shown]
	v_fmac_f64_e32 v[18:19], s[10:11], v[16:17]
	s_mov_b32 s13, 0x3e5ade15
	v_mov_b64_e32 v[10:11], s[0:1]
	s_mov_b32 s14, 0x623fde64
	v_fma_f64 v[20:21], s[12:13], v[18:19], v[10:11]
	s_mov_b32 s15, 0x3ec71dee
	s_mov_b32 s16, 0x7c89e6b0
	v_fma_f64 v[20:21], v[18:19], v[20:21], s[14:15]
	s_mov_b32 s17, 0x3efa0199
	;; [unrolled: 3-line block ×8, first 2 shown]
	v_fma_f64 v[20:21], v[18:19], v[20:21], s[28:29]
	v_fma_f64 v[20:21], v[18:19], v[20:21], 1.0
	s_mov_b32 s30, 0
	s_mov_b32 s34, 0
	v_fma_f64 v[18:19], v[18:19], v[20:21], 1.0
	v_cvt_i32_f64_e32 v1, v[16:17]
	s_mov_b32 s31, 0x40900000
	s_mov_b32 s35, 0xc090cc00
	v_ldexp_f64 v[16:17], v[18:19], v1
	v_mov_b32_e32 v1, 0x7ff00000
	v_cmp_nlt_f64_e32 vcc, s[30:31], v[14:15]
	v_cmp_ngt_f64_e64 s[0:1], s[34:35], v[14:15]
	s_nop 0
	v_cndmask_b32_e32 v9, v1, v17, vcc
	s_and_b64 vcc, s[0:1], vcc
	v_cndmask_b32_e64 v15, 0, v9, s[0:1]
	v_cndmask_b32_e32 v14, 0, v16, vcc
	s_mov_b32 s0, 0x3bcd35a8
	global_store_dwordx2 v[12:13], v[14:15], off
	v_mov_b32_e32 v12, 0xeed3f77d
	v_mov_b32_e32 v13, 0xbfdc9673
	s_mov_b32 s1, 0xc0d8e06a
	v_fmac_f64_e32 v[12:13], s[0:1], v[4:5]
	s_mov_b32 s0, 0x15798ee
	s_mov_b32 s1, 0x40040000
	v_fmac_f64_e32 v[12:13], s[0:1], v[6:7]
	s_mov_b32 s0, 0xfebb003
	v_mov_b32_e32 v14, 0x4fa461a7
	v_mov_b32_e32 v15, 0xbc1d1db5
	s_mov_b32 s1, 0x3b3e1d3b
	v_fmac_f64_e32 v[14:15], s[0:1], v[2:3]
	v_mov_b32_e32 v16, 0x3d6bf46
	v_mov_b32_e32 v17, 0x3ce840f1
	v_fmac_f64_e32 v[16:17], v[2:3], v[14:15]
	v_mov_b32_e32 v14, 0xea91e1b0
	v_mov_b32_e32 v15, 0xbda961a6
	v_fmac_f64_e32 v[14:15], v[2:3], v[16:17]
	v_fmac_f64_e32 v[12:13], v[2:3], v[14:15]
	v_mul_f64 v[14:15], v[12:13], s[4:5]
	v_rndne_f64_e32 v[14:15], v[14:15]
	v_fma_f64 v[16:17], s[8:9], v[14:15], v[12:13]
	v_fmac_f64_e32 v[16:17], s[10:11], v[14:15]
	v_fma_f64 v[18:19], s[12:13], v[16:17], v[10:11]
	v_fma_f64 v[18:19], v[16:17], v[18:19], s[14:15]
	v_fma_f64 v[18:19], v[16:17], v[18:19], s[16:17]
	v_fma_f64 v[18:19], v[16:17], v[18:19], s[18:19]
	v_fma_f64 v[18:19], v[16:17], v[18:19], s[20:21]
	v_fma_f64 v[18:19], v[16:17], v[18:19], s[22:23]
	v_fma_f64 v[18:19], v[16:17], v[18:19], s[24:25]
	v_fma_f64 v[18:19], v[16:17], v[18:19], s[26:27]
	v_fma_f64 v[18:19], v[16:17], v[18:19], s[28:29]
	v_fma_f64 v[18:19], v[16:17], v[18:19], 1.0
	v_fma_f64 v[16:17], v[16:17], v[18:19], 1.0
	v_cvt_i32_f64_e32 v9, v[14:15]
	v_ldexp_f64 v[14:15], v[16:17], v9
	v_cmp_nlt_f64_e32 vcc, s[30:31], v[12:13]
	v_cmp_ngt_f64_e64 s[0:1], s[34:35], v[12:13]
	v_mov_b32_e32 v16, 0xea8ff5b3
	v_cndmask_b32_e32 v9, v1, v15, vcc
	v_cndmask_b32_e64 v13, 0, v9, s[0:1]
	s_and_b64 vcc, s[0:1], vcc
	v_mov_b32_e32 v9, 0
	v_cndmask_b32_e32 v12, 0, v14, vcc
	v_lshl_add_u64 v[14:15], v[8:9], 3, s[6:7]
	s_mov_b32 s0, 0xff97247
	global_store_dwordx2 v[14:15], v[12:13], off
	v_mov_b32_e32 v12, 0xab1f280e
	v_mov_b32_e32 v13, 0x40132329
	s_mov_b32 s1, 0xc0dc8865
	v_fmac_f64_e32 v[12:13], s[0:1], v[4:5]
	s_mov_b32 s0, 0x7b5e1a3d
	s_mov_b32 s1, 0x40048e2c
	v_fmac_f64_e32 v[12:13], s[0:1], v[6:7]
	s_mov_b32 s0, 0x69230ddc
	v_mov_b32_e32 v14, 0x5033c5c3
	v_mov_b32_e32 v15, 0xbd6d5f58
	s_mov_b32 s1, 0x3c91b3c3
	v_fmac_f64_e32 v[14:15], s[0:1], v[2:3]
	v_mov_b32_e32 v17, 0x3e3e0722
	v_fmac_f64_e32 v[16:17], v[2:3], v[14:15]
	v_mov_b32_e32 v14, 0x73e4c12
	v_mov_b32_e32 v15, 0xbf0689a0
	v_fmac_f64_e32 v[14:15], v[2:3], v[16:17]
	v_fmac_f64_e32 v[12:13], v[2:3], v[14:15]
	v_mul_f64 v[14:15], v[12:13], s[4:5]
	v_rndne_f64_e32 v[14:15], v[14:15]
	v_fma_f64 v[16:17], s[8:9], v[14:15], v[12:13]
	v_fmac_f64_e32 v[16:17], s[10:11], v[14:15]
	v_fma_f64 v[18:19], s[12:13], v[16:17], v[10:11]
	v_fma_f64 v[18:19], v[16:17], v[18:19], s[14:15]
	v_fma_f64 v[18:19], v[16:17], v[18:19], s[16:17]
	v_fma_f64 v[18:19], v[16:17], v[18:19], s[18:19]
	v_fma_f64 v[18:19], v[16:17], v[18:19], s[20:21]
	v_fma_f64 v[18:19], v[16:17], v[18:19], s[22:23]
	v_fma_f64 v[18:19], v[16:17], v[18:19], s[24:25]
	v_fma_f64 v[18:19], v[16:17], v[18:19], s[26:27]
	v_fma_f64 v[18:19], v[16:17], v[18:19], s[28:29]
	v_fma_f64 v[18:19], v[16:17], v[18:19], 1.0
	v_fma_f64 v[16:17], v[16:17], v[18:19], 1.0
	v_cvt_i32_f64_e32 v14, v[14:15]
	v_ldexp_f64 v[14:15], v[16:17], v14
	v_cmp_nlt_f64_e32 vcc, s[30:31], v[12:13]
	v_cmp_ngt_f64_e64 s[0:1], s[34:35], v[12:13]
	v_add_u32_e32 v8, s33, v8
	v_cndmask_b32_e32 v15, v1, v15, vcc
	s_and_b64 vcc, s[0:1], vcc
	v_cndmask_b32_e64 v13, 0, v15, s[0:1]
	v_cndmask_b32_e32 v12, 0, v14, vcc
	v_lshl_add_u64 v[14:15], v[8:9], 3, s[6:7]
	s_mov_b32 s0, 0xb48d3ae7
	global_store_dwordx2 v[14:15], v[12:13], off
	v_mov_b32_e32 v12, 0xdd004baa
	v_mov_b32_e32 v13, 0x4015d01b
	s_mov_b32 s1, 0x409101d4
	v_fmac_f64_e32 v[12:13], s[0:1], v[4:5]
	s_mov_b32 s0, 0x32f575b8
	s_mov_b32 s1, 0x400a42a3
	v_fmac_f64_e32 v[12:13], s[0:1], v[6:7]
	s_mov_b32 s0, 0xeebb013
	v_mov_b32_e32 v14, 0xaf900c49
	v_mov_b32_e32 v15, 0x3db33164
	s_mov_b32 s1, 0xbcd3852c
	v_fmac_f64_e32 v[14:15], s[0:1], v[2:3]
	v_mov_b32_e32 v16, 0xe2f6b32b
	v_mov_b32_e32 v17, 0xbe80f496
	v_fmac_f64_e32 v[16:17], v[2:3], v[14:15]
	v_mov_b32_e32 v14, 0x1ecf574d
	v_mov_b32_e32 v15, 0x3f484c85
	v_fmac_f64_e32 v[14:15], v[2:3], v[16:17]
	v_fmac_f64_e32 v[12:13], v[2:3], v[14:15]
	v_mul_f64 v[14:15], v[12:13], s[4:5]
	v_rndne_f64_e32 v[14:15], v[14:15]
	v_fma_f64 v[16:17], s[8:9], v[14:15], v[12:13]
	v_fmac_f64_e32 v[16:17], s[10:11], v[14:15]
	v_fma_f64 v[18:19], s[12:13], v[16:17], v[10:11]
	v_fma_f64 v[18:19], v[16:17], v[18:19], s[14:15]
	v_fma_f64 v[18:19], v[16:17], v[18:19], s[16:17]
	v_fma_f64 v[18:19], v[16:17], v[18:19], s[18:19]
	v_fma_f64 v[18:19], v[16:17], v[18:19], s[20:21]
	v_fma_f64 v[18:19], v[16:17], v[18:19], s[22:23]
	v_fma_f64 v[18:19], v[16:17], v[18:19], s[24:25]
	v_fma_f64 v[18:19], v[16:17], v[18:19], s[26:27]
	v_fma_f64 v[18:19], v[16:17], v[18:19], s[28:29]
	v_fma_f64 v[18:19], v[16:17], v[18:19], 1.0
	v_fma_f64 v[16:17], v[16:17], v[18:19], 1.0
	v_cvt_i32_f64_e32 v14, v[14:15]
	v_ldexp_f64 v[14:15], v[16:17], v14
	v_cmp_nlt_f64_e32 vcc, s[30:31], v[12:13]
	v_cmp_ngt_f64_e64 s[0:1], s[34:35], v[12:13]
	v_add_u32_e32 v8, s33, v8
	v_cndmask_b32_e32 v15, v1, v15, vcc
	s_and_b64 vcc, s[0:1], vcc
	v_cndmask_b32_e64 v13, 0, v15, s[0:1]
	v_cndmask_b32_e32 v12, 0, v14, vcc
	v_lshl_add_u64 v[14:15], v[8:9], 3, s[6:7]
	s_mov_b32 s0, 0x624dd2f2
	global_store_dwordx2 v[14:15], v[12:13], off
	v_mov_b32_e32 v12, 0x5be85e2
	v_mov_b32_e32 v13, 0x4011e823
	s_mov_b32 s1, 0xc0ae2550
	v_fmac_f64_e32 v[12:13], s[0:1], v[4:5]
	s_mov_b32 s0, 0xe406d029
	s_mov_b32 s1, 0x4008be3b
	v_fmac_f64_e32 v[12:13], s[0:1], v[6:7]
	s_mov_b32 s0, 0xac38c4c6
	v_mov_b32_e32 v14, 0x101a7249
	v_mov_b32_e32 v15, 0xbda01dc6
	s_mov_b32 s1, 0x3cc526b0
	v_fmac_f64_e32 v[14:15], s[0:1], v[2:3]
	v_mov_b32_e32 v16, 0x1b8a6a9
	;; [unrolled: 46-line block ×27, first 2 shown]
	v_mov_b32_e32 v17, 0xbeabae8d
	v_fmac_f64_e32 v[16:17], v[2:3], v[14:15]
	v_mov_b32_e32 v14, 0x85e6b455
	v_mov_b32_e32 v15, 0x3f7e8843
	v_fmac_f64_e32 v[14:15], v[2:3], v[16:17]
	v_fmac_f64_e32 v[12:13], v[2:3], v[14:15]
	v_mul_f64 v[14:15], v[12:13], s[4:5]
	v_rndne_f64_e32 v[14:15], v[14:15]
	v_fma_f64 v[16:17], s[8:9], v[14:15], v[12:13]
	v_fmac_f64_e32 v[16:17], s[10:11], v[14:15]
	v_fmac_f64_e32 v[10:11], s[12:13], v[16:17]
	v_fma_f64 v[10:11], v[16:17], v[10:11], s[14:15]
	v_fma_f64 v[10:11], v[16:17], v[10:11], s[16:17]
	;; [unrolled: 1-line block ×8, first 2 shown]
	v_fma_f64 v[10:11], v[16:17], v[10:11], 1.0
	v_fma_f64 v[10:11], v[16:17], v[10:11], 1.0
	v_cvt_i32_f64_e32 v14, v[14:15]
	v_ldexp_f64 v[10:11], v[10:11], v14
	v_cmp_nlt_f64_e32 vcc, s[30:31], v[12:13]
	v_cmp_ngt_f64_e64 s[0:1], s[34:35], v[12:13]
	v_add_u32_e32 v8, s33, v8
	v_cndmask_b32_e32 v1, v1, v11, vcc
	s_and_b64 vcc, s[0:1], vcc
	v_cndmask_b32_e64 v11, 0, v1, s[0:1]
	v_cndmask_b32_e32 v10, 0, v10, vcc
	v_lshl_add_u64 v[8:9], v[8:9], 3, s[6:7]
	s_mov_b32 s0, 0x3dd97f63
	global_store_dwordx2 v[8:9], v[10:11], off
	v_mov_b32_e32 v10, 0x225742e
	v_mov_b32_e32 v11, 0xc02f07d5
	s_mov_b32 s1, 0xc0bf2839
	v_fmac_f64_e32 v[10:11], s[0:1], v[4:5]
	s_mov_b32 s0, 0x274b9e64
	s_mov_b32 s1, 0x401ed6c8
	v_fmac_f64_e32 v[10:11], s[0:1], v[6:7]
	s_mov_b32 s0, 0x29f3eae
	v_mov_b32_e32 v14, 0xd869b103
	v_mov_b32_e32 v15, 0x3dd16223
	s_mov_b32 s1, 0xbce18091
	v_fmac_f64_e32 v[14:15], s[0:1], v[2:3]
	v_mov_b32_e32 v16, 0xbf2010ed
	v_mov_b32_e32 v17, 0x3f806a8e
	;; [unrolled: 1-line block ×5, first 2 shown]
.LBB28_4:
	s_or_b64 exec, exec, s[2:3]
	v_fmac_f64_e32 v[18:19], v[2:3], v[14:15]
	v_fmac_f64_e32 v[16:17], v[2:3], v[18:19]
	s_mov_b32 s0, 0x652b82fe
	v_fmac_f64_e32 v[10:11], v[2:3], v[16:17]
	s_mov_b32 s1, 0x3ff71547
	v_mul_f64 v[2:3], v[10:11], s[0:1]
	s_mov_b32 s0, 0xfefa39ef
	v_rndne_f64_e32 v[2:3], v[2:3]
	s_mov_b32 s1, 0xbfe62e42
	v_fma_f64 v[4:5], s[0:1], v[2:3], v[10:11]
	s_mov_b32 s0, 0x3b39803f
	s_mov_b32 s1, 0xbc7abc9e
	v_fmac_f64_e32 v[4:5], s[0:1], v[2:3]
	s_mov_b32 s0, 0x6a5dcb37
	v_mov_b32_e32 v6, 0xfca7ab0c
	v_mov_b32_e32 v7, 0x3e928af3
	s_mov_b32 s1, 0x3e5ade15
	v_fmac_f64_e32 v[6:7], s[0:1], v[4:5]
	v_mov_b32_e32 v8, 0x623fde64
	v_mov_b32_e32 v9, 0x3ec71dee
	v_fmac_f64_e32 v[8:9], v[4:5], v[6:7]
	v_mov_b32_e32 v6, 0x7c89e6b0
	v_mov_b32_e32 v7, 0x3efa0199
	;; [unrolled: 3-line block ×8, first 2 shown]
	v_fmac_f64_e32 v[6:7], v[4:5], v[8:9]
	s_mov_b32 s0, 0
	v_fma_f64 v[6:7], v[4:5], v[6:7], 1.0
	s_mov_b32 s1, 0x40900000
	v_fma_f64 v[4:5], v[4:5], v[6:7], 1.0
	v_cvt_i32_f64_e32 v2, v[2:3]
	v_cmp_nlt_f64_e32 vcc, s[0:1], v[10:11]
	s_mov_b32 s0, 0
	v_ldexp_f64 v[2:3], v[4:5], v2
	v_mov_b32_e32 v4, 0x7ff00000
	s_mov_b32 s1, 0xc090cc00
	v_cndmask_b32_e32 v3, v4, v3, vcc
	v_cmp_ngt_f64_e64 s[0:1], s[0:1], v[10:11]
	s_and_b64 vcc, s[0:1], vcc
	v_cndmask_b32_e32 v2, 0, v2, vcc
	v_cndmask_b32_e64 v3, 0, v3, s[0:1]
	v_mad_u64_u32 v[0:1], s[0:1], v1, 30, v[0:1]
	v_mov_b32_e32 v1, 0
	v_lshl_add_u64 v[0:1], v[0:1], 3, s[6:7]
	global_store_dwordx2 v[0:1], v[2:3], off
	s_endpgm
	.section	.rodata,"a",@progbits
	.p2align	6, 0x0
	.amdhsa_kernel _Z12rdsmh_kernelIdEvPKT_PS0_S0_
		.amdhsa_group_segment_fixed_size 0
		.amdhsa_private_segment_fixed_size 0
		.amdhsa_kernarg_size 280
		.amdhsa_user_sgpr_count 2
		.amdhsa_user_sgpr_dispatch_ptr 0
		.amdhsa_user_sgpr_queue_ptr 0
		.amdhsa_user_sgpr_kernarg_segment_ptr 1
		.amdhsa_user_sgpr_dispatch_id 0
		.amdhsa_user_sgpr_kernarg_preload_length 0
		.amdhsa_user_sgpr_kernarg_preload_offset 0
		.amdhsa_user_sgpr_private_segment_size 0
		.amdhsa_uses_dynamic_stack 0
		.amdhsa_enable_private_segment 0
		.amdhsa_system_sgpr_workgroup_id_x 1
		.amdhsa_system_sgpr_workgroup_id_y 0
		.amdhsa_system_sgpr_workgroup_id_z 0
		.amdhsa_system_sgpr_workgroup_info 0
		.amdhsa_system_vgpr_workitem_id 0
		.amdhsa_next_free_vgpr 44
		.amdhsa_next_free_sgpr 38
		.amdhsa_accum_offset 44
		.amdhsa_reserve_vcc 1
		.amdhsa_float_round_mode_32 0
		.amdhsa_float_round_mode_16_64 0
		.amdhsa_float_denorm_mode_32 3
		.amdhsa_float_denorm_mode_16_64 3
		.amdhsa_dx10_clamp 1
		.amdhsa_ieee_mode 1
		.amdhsa_fp16_overflow 0
		.amdhsa_tg_split 0
		.amdhsa_exception_fp_ieee_invalid_op 0
		.amdhsa_exception_fp_denorm_src 0
		.amdhsa_exception_fp_ieee_div_zero 0
		.amdhsa_exception_fp_ieee_overflow 0
		.amdhsa_exception_fp_ieee_underflow 0
		.amdhsa_exception_fp_ieee_inexact 0
		.amdhsa_exception_int_div_zero 0
	.end_amdhsa_kernel
	.section	.text._Z12rdsmh_kernelIdEvPKT_PS0_S0_,"axG",@progbits,_Z12rdsmh_kernelIdEvPKT_PS0_S0_,comdat
.Lfunc_end28:
	.size	_Z12rdsmh_kernelIdEvPKT_PS0_S0_, .Lfunc_end28-_Z12rdsmh_kernelIdEvPKT_PS0_S0_
                                        ; -- End function
	.set _Z12rdsmh_kernelIdEvPKT_PS0_S0_.num_vgpr, 44
	.set _Z12rdsmh_kernelIdEvPKT_PS0_S0_.num_agpr, 0
	.set _Z12rdsmh_kernelIdEvPKT_PS0_S0_.numbered_sgpr, 38
	.set _Z12rdsmh_kernelIdEvPKT_PS0_S0_.num_named_barrier, 0
	.set _Z12rdsmh_kernelIdEvPKT_PS0_S0_.private_seg_size, 0
	.set _Z12rdsmh_kernelIdEvPKT_PS0_S0_.uses_vcc, 1
	.set _Z12rdsmh_kernelIdEvPKT_PS0_S0_.uses_flat_scratch, 0
	.set _Z12rdsmh_kernelIdEvPKT_PS0_S0_.has_dyn_sized_stack, 0
	.set _Z12rdsmh_kernelIdEvPKT_PS0_S0_.has_recursion, 0
	.set _Z12rdsmh_kernelIdEvPKT_PS0_S0_.has_indirect_call, 0
	.section	.AMDGPU.csdata,"",@progbits
; Kernel info:
; codeLenInByte = 20912
; TotalNumSgprs: 44
; NumVgprs: 44
; NumAgprs: 0
; TotalNumVgprs: 44
; ScratchSize: 0
; MemoryBound: 0
; FloatMode: 240
; IeeeMode: 1
; LDSByteSize: 0 bytes/workgroup (compile time only)
; SGPRBlocks: 5
; VGPRBlocks: 5
; NumSGPRsForWavesPerEU: 44
; NumVGPRsForWavesPerEU: 44
; AccumOffset: 44
; Occupancy: 8
; WaveLimiterHint : 0
; COMPUTE_PGM_RSRC2:SCRATCH_EN: 0
; COMPUTE_PGM_RSRC2:USER_SGPR: 2
; COMPUTE_PGM_RSRC2:TRAP_HANDLER: 0
; COMPUTE_PGM_RSRC2:TGID_X_EN: 1
; COMPUTE_PGM_RSRC2:TGID_Y_EN: 0
; COMPUTE_PGM_RSRC2:TGID_Z_EN: 0
; COMPUTE_PGM_RSRC2:TIDIG_COMP_CNT: 0
; COMPUTE_PGM_RSRC3_GFX90A:ACCUM_OFFSET: 10
; COMPUTE_PGM_RSRC3_GFX90A:TG_SPLIT: 0
	.section	.text._Z7gr_baseIdEvPKT_S2_S2_PS0_S0_S0_,"axG",@progbits,_Z7gr_baseIdEvPKT_S2_S2_PS0_S0_S0_,comdat
	.protected	_Z7gr_baseIdEvPKT_S2_S2_PS0_S0_S0_ ; -- Begin function _Z7gr_baseIdEvPKT_S2_S2_PS0_S0_S0_
	.globl	_Z7gr_baseIdEvPKT_S2_S2_PS0_S0_S0_
	.p2align	8
	.type	_Z7gr_baseIdEvPKT_S2_S2_PS0_S0_S0_,@function
_Z7gr_baseIdEvPKT_S2_S2_PS0_S0_S0_:     ; @_Z7gr_baseIdEvPKT_S2_S2_PS0_S0_S0_
; %bb.0:
	s_load_dword s3, s[0:1], 0x3c
	s_load_dwordx8 s[4:11], s[0:1], 0x0
	s_load_dword s14, s[0:1], 0x30
	v_mov_b32_e32 v1, 0
	s_mov_b32 s12, 0xe83f553c
	s_mov_b32 s13, 0x3fdfbf39
	s_waitcnt lgkmcnt(0)
	s_and_b32 s15, s3, 0xffff
	s_mul_i32 s2, s2, s15
	v_add_u32_e32 v0, s2, v0
	v_lshlrev_b64 v[4:5], 3, v[0:1]
	v_lshl_add_u64 v[2:3], s[8:9], 0, v[4:5]
	global_load_dwordx2 v[2:3], v[2:3], off
	s_mul_i32 s33, s14, s15
	v_add_u32_e32 v0, s33, v0
	v_lshl_add_u64 v[6:7], s[6:7], 0, v[4:5]
	v_lshl_add_u64 v[8:9], s[4:5], 0, v[4:5]
	v_lshl_add_u64 v[4:5], s[10:11], 0, v[4:5]
	v_lshlrev_b64 v[10:11], 3, v[0:1]
	global_load_dwordx2 v[22:23], v[6:7], off
	global_load_dwordx2 v[16:17], v[8:9], off
	v_lshl_add_u64 v[6:7], s[8:9], 0, v[10:11]
	s_mov_b32 s4, 0xe8c8c59b
	s_mov_b32 s5, 0x3fefbf39
	v_add_u32_e32 v0, s33, v0
	s_mov_b32 s6, 0x506598ed
	s_mov_b32 s7, 0x3fb00027
	;; [unrolled: 1-line block ×30, first 2 shown]
	s_load_dwordx4 s[0:3], s[0:1], 0x20
	s_waitcnt vmcnt(2)
	v_mul_f64 v[8:9], v[2:3], s[12:13]
	global_store_dwordx2 v[4:5], v[8:9], off
	global_load_dwordx2 v[34:35], v[6:7], off
	v_lshl_add_u64 v[6:7], s[10:11], 0, v[10:11]
	v_lshlrev_b64 v[8:9], 3, v[0:1]
	v_lshl_add_u64 v[10:11], s[8:9], 0, v[8:9]
	v_add_u32_e32 v0, s33, v0
	v_lshl_add_u64 v[8:9], s[10:11], 0, v[8:9]
	s_waitcnt vmcnt(3) lgkmcnt(0)
	v_mul_f64 v[22:23], s[0:1], v[22:23]
	s_waitcnt vmcnt(2)
	v_mul_f64 v[16:17], s[2:3], v[16:17]
	s_waitcnt vmcnt(0)
	v_mul_f64 v[12:13], v[34:35], s[4:5]
	global_store_dwordx2 v[6:7], v[12:13], off
	global_load_dwordx2 v[36:37], v[10:11], off
	v_lshlrev_b64 v[10:11], 3, v[0:1]
	v_lshl_add_u64 v[12:13], s[8:9], 0, v[10:11]
	v_add_u32_e32 v0, s33, v0
	s_waitcnt vmcnt(0)
	v_mul_f64 v[14:15], v[36:37], s[6:7]
	global_store_dwordx2 v[8:9], v[14:15], off
	global_load_dwordx2 v[38:39], v[12:13], off
	v_lshl_add_u64 v[8:9], s[10:11], 0, v[10:11]
	v_lshlrev_b64 v[10:11], 3, v[0:1]
	v_lshl_add_u64 v[12:13], s[8:9], 0, v[10:11]
	v_add_u32_e32 v0, s33, v0
	v_lshl_add_u64 v[10:11], s[10:11], 0, v[10:11]
	s_waitcnt vmcnt(0)
	v_mul_f64 v[14:15], v[38:39], s[14:15]
	global_store_dwordx2 v[8:9], v[14:15], off
	global_load_dwordx2 v[40:41], v[12:13], off
	v_lshlrev_b64 v[12:13], 3, v[0:1]
	v_lshl_add_u64 v[14:15], s[8:9], 0, v[12:13]
	v_add_u32_e32 v0, s33, v0
	s_waitcnt vmcnt(0)
	v_mul_f64 v[18:19], v[40:41], s[16:17]
	global_store_dwordx2 v[10:11], v[18:19], off
	global_load_dwordx2 v[42:43], v[14:15], off
	v_lshl_add_u64 v[10:11], s[10:11], 0, v[12:13]
	v_lshlrev_b64 v[12:13], 3, v[0:1]
	v_lshl_add_u64 v[14:15], s[8:9], 0, v[12:13]
	v_add_u32_e32 v0, s33, v0
	s_waitcnt vmcnt(0)
	v_mul_f64 v[18:19], v[42:43], s[18:19]
	global_store_dwordx2 v[10:11], v[18:19], off
	global_load_dwordx2 v[44:45], v[14:15], off
	v_lshl_add_u64 v[14:15], s[10:11], 0, v[12:13]
	v_lshlrev_b64 v[12:13], 3, v[0:1]
	v_lshl_add_u64 v[18:19], s[8:9], 0, v[12:13]
	v_add_u32_e32 v0, s33, v0
	v_lshl_add_u64 v[12:13], s[10:11], 0, v[12:13]
	s_waitcnt vmcnt(0)
	v_mul_f64 v[20:21], v[44:45], s[20:21]
	global_store_dwordx2 v[14:15], v[20:21], off
	global_load_dwordx2 v[46:47], v[18:19], off
	v_lshlrev_b64 v[18:19], 3, v[0:1]
	v_lshl_add_u64 v[20:21], s[8:9], 0, v[18:19]
	v_add_u32_e32 v0, s33, v0
	v_lshl_add_u64 v[18:19], s[10:11], 0, v[18:19]
	s_waitcnt vmcnt(0)
	v_mul_f64 v[24:25], v[46:47], s[22:23]
	global_store_dwordx2 v[12:13], v[24:25], off
	global_load_dwordx2 v[48:49], v[20:21], off
	v_lshlrev_b64 v[20:21], 3, v[0:1]
	v_lshl_add_u64 v[24:25], s[8:9], 0, v[20:21]
	v_add_u32_e32 v0, s33, v0
	s_waitcnt vmcnt(0)
	v_mul_f64 v[26:27], v[48:49], s[24:25]
	global_store_dwordx2 v[18:19], v[26:27], off
	global_load_dwordx2 v[50:51], v[24:25], off
	v_lshl_add_u64 v[18:19], s[10:11], 0, v[20:21]
	v_lshlrev_b64 v[20:21], 3, v[0:1]
	v_lshl_add_u64 v[24:25], s[8:9], 0, v[20:21]
	v_add_u32_e32 v0, s33, v0
	v_lshl_add_u64 v[20:21], s[10:11], 0, v[20:21]
	s_waitcnt vmcnt(0)
	v_mul_f64 v[26:27], v[50:51], s[26:27]
	global_store_dwordx2 v[18:19], v[26:27], off
	global_load_dwordx2 v[52:53], v[24:25], off
	v_lshlrev_b64 v[24:25], 3, v[0:1]
	v_lshl_add_u64 v[26:27], s[8:9], 0, v[24:25]
	v_add_u32_e32 v0, s33, v0
	v_lshl_add_u64 v[24:25], s[10:11], 0, v[24:25]
	s_waitcnt vmcnt(0)
	v_mul_f64 v[28:29], v[52:53], s[28:29]
	global_store_dwordx2 v[20:21], v[28:29], off
	global_load_dwordx2 v[54:55], v[26:27], off
	;; [unrolled: 8-line block ×6, first 2 shown]
	v_lshlrev_b64 v[64:65], 3, v[0:1]
	v_add_u32_e32 v0, s33, v0
	s_waitcnt vmcnt(0)
	v_mul_f64 v[66:67], v[62:63], s[40:41]
	global_store_dwordx2 v[32:33], v[66:67], off
	v_lshl_add_u64 v[66:67], s[8:9], 0, v[64:65]
	global_load_dwordx2 v[66:67], v[66:67], off
	v_lshl_add_u64 v[64:65], s[10:11], 0, v[64:65]
	s_waitcnt vmcnt(0)
	v_mul_f64 v[68:69], v[66:67], s[42:43]
	global_store_dwordx2 v[64:65], v[68:69], off
	v_lshlrev_b64 v[64:65], 3, v[0:1]
	v_fma_f64 v[68:69], v[2:3], s[12:13], 0
	v_lshl_add_u64 v[2:3], s[8:9], 0, v[64:65]
	global_load_dwordx2 v[70:71], v[2:3], off
	s_mov_b32 s12, 0x63267548
	v_fmac_f64_e32 v[68:69], s[4:5], v[34:35]
	s_mov_b32 s13, 0x3f985bef
	v_add_u32_e32 v0, s33, v0
	v_lshl_add_u64 v[2:3], s[10:11], 0, v[64:65]
	v_fmac_f64_e32 v[68:69], s[6:7], v[36:37]
	v_lshlrev_b64 v[34:35], 3, v[0:1]
	s_mov_b32 s6, 0x68cc11ff
	s_mov_b32 s7, 0x3f973e92
	v_add_u32_e32 v0, s33, v0
	v_fmac_f64_e32 v[68:69], s[14:15], v[38:39]
	v_fmac_f64_e32 v[68:69], s[16:17], v[40:41]
	v_fmac_f64_e32 v[68:69], s[18:19], v[42:43]
	s_mov_b32 s14, 0x77603fce
	s_mov_b32 s15, 0x3f98ee58
	v_fmac_f64_e32 v[68:69], s[20:21], v[44:45]
	s_mov_b32 s16, 0x3a4aeae5
	s_mov_b32 s17, 0x3f985578
	v_fmac_f64_e32 v[68:69], s[22:23], v[46:47]
	v_fmac_f64_e32 v[68:69], s[24:25], v[48:49]
	;; [unrolled: 1-line block ×10, first 2 shown]
	s_brev_b32 s18, 12
	s_mov_b32 s19, 0x4193d2c6
	s_mov_b32 s4, 0
	;; [unrolled: 1-line block ×3, first 2 shown]
	s_waitcnt vmcnt(0)
	v_mul_f64 v[36:37], v[70:71], s[12:13]
	global_store_dwordx2 v[2:3], v[36:37], off
	v_lshl_add_u64 v[36:37], s[8:9], 0, v[34:35]
	global_load_dwordx2 v[64:65], v[36:37], off
	v_lshl_add_u64 v[34:35], s[10:11], 0, v[34:35]
	v_lshlrev_b64 v[36:37], 3, v[0:1]
	v_add_u32_e32 v0, s33, v0
	v_fmac_f64_e32 v[68:69], s[12:13], v[70:71]
	s_waitcnt vmcnt(0)
	v_mul_f64 v[38:39], v[64:65], s[6:7]
	global_store_dwordx2 v[34:35], v[38:39], off
	v_lshl_add_u64 v[38:39], s[8:9], 0, v[36:37]
	global_load_dwordx2 v[42:43], v[38:39], off
	v_lshl_add_u64 v[36:37], s[10:11], 0, v[36:37]
	v_lshlrev_b64 v[38:39], 3, v[0:1]
	v_add_u32_e32 v0, s33, v0
	v_fmac_f64_e32 v[68:69], s[6:7], v[64:65]
	s_waitcnt vmcnt(0)
	v_mul_f64 v[40:41], v[42:43], s[14:15]
	global_store_dwordx2 v[36:37], v[40:41], off
	v_lshl_add_u64 v[40:41], s[8:9], 0, v[38:39]
	global_load_dwordx2 v[44:45], v[40:41], off
	v_lshl_add_u64 v[38:39], s[10:11], 0, v[38:39]
	v_lshlrev_b64 v[40:41], 3, v[0:1]
	v_fmac_f64_e32 v[68:69], s[14:15], v[42:43]
	s_waitcnt vmcnt(0)
	v_mul_f64 v[46:47], v[44:45], s[16:17]
	global_store_dwordx2 v[38:39], v[46:47], off
	v_lshl_add_u64 v[46:47], s[8:9], 0, v[40:41]
	global_load_dwordx2 v[46:47], v[46:47], off
	s_mov_b32 s8, 0x609af71c
	s_mov_b32 s9, 0x3fa246e7
	v_lshl_add_u64 v[40:41], s[10:11], 0, v[40:41]
	v_fmac_f64_e32 v[68:69], s[16:17], v[44:45]
	s_waitcnt vmcnt(0)
	v_mul_f64 v[48:49], v[46:47], s[8:9]
	global_store_dwordx2 v[40:41], v[48:49], off
	global_load_dwordx2 v[48:49], v[4:5], off
	v_fmac_f64_e32 v[68:69], s[8:9], v[46:47]
	v_mul_f64 v[22:23], v[22:23], v[68:69]
	v_mul_f64 v[22:23], v[22:23], s[18:19]
	v_div_scale_f64 v[42:43], s[0:1], v[22:23], v[22:23], 1.0
	v_rcp_f64_e32 v[44:45], v[42:43]
	v_div_scale_f64 v[46:47], vcc, 1.0, v[22:23], 1.0
	s_mul_i32 s0, s33, 0xffffffed
	v_fma_f64 v[50:51], -v[42:43], v[44:45], 1.0
	v_fmac_f64_e32 v[44:45], v[44:45], v[50:51]
	v_fma_f64 v[50:51], -v[42:43], v[44:45], 1.0
	v_fmac_f64_e32 v[44:45], v[44:45], v[50:51]
	v_mul_f64 v[50:51], v[46:47], v[44:45]
	v_fma_f64 v[42:43], -v[42:43], v[50:51], v[46:47]
	v_div_fmas_f64 v[42:43], v[42:43], v[44:45], v[50:51]
	v_div_fixup_f64 v[22:23], v[42:43], v[22:23], 1.0
	v_mul_f64 v[16:17], v[16:17], v[22:23]
	v_add_u32_e32 v0, s0, v0
	s_waitcnt vmcnt(0)
	v_max_f64 v[22:23], v[48:49], v[48:49]
	v_max_f64 v[22:23], v[22:23], s[4:5]
	v_mul_f64 v[22:23], v[16:17], v[22:23]
	global_store_dwordx2 v[4:5], v[22:23], off
	global_load_dwordx2 v[4:5], v[6:7], off
	v_lshl_add_u64 v[22:23], v[0:1], 3, s[10:11]
	v_lshl_add_u32 v0, s33, 1, v0
	s_waitcnt vmcnt(0)
	v_max_f64 v[4:5], v[4:5], v[4:5]
	v_max_f64 v[4:5], v[4:5], s[4:5]
	v_mul_f64 v[4:5], v[16:17], v[4:5]
	global_store_dwordx2 v[6:7], v[4:5], off
	global_load_dwordx2 v[4:5], v[22:23], off
	v_lshl_add_u64 v[6:7], v[0:1], 3, s[10:11]
	v_lshl_add_u32 v0, s33, 2, v0
	s_waitcnt vmcnt(0)
	v_max_f64 v[4:5], v[4:5], v[4:5]
	v_max_f64 v[4:5], v[4:5], s[4:5]
	v_mul_f64 v[4:5], v[16:17], v[4:5]
	global_store_dwordx2 v[22:23], v[4:5], off
	global_load_dwordx2 v[4:5], v[8:9], off
	s_waitcnt vmcnt(0)
	v_max_f64 v[4:5], v[4:5], v[4:5]
	v_max_f64 v[4:5], v[4:5], s[4:5]
	v_mul_f64 v[4:5], v[16:17], v[4:5]
	global_store_dwordx2 v[8:9], v[4:5], off
	global_load_dwordx2 v[4:5], v[6:7], off
	;; [unrolled: 6-line block ×3, first 2 shown]
	v_lshl_add_u64 v[6:7], v[0:1], 3, s[10:11]
	v_lshl_add_u32 v0, s33, 3, v0
	v_lshl_add_u64 v[0:1], v[0:1], 3, s[10:11]
	s_waitcnt vmcnt(0)
	v_max_f64 v[4:5], v[4:5], v[4:5]
	v_max_f64 v[4:5], v[4:5], s[4:5]
	v_mul_f64 v[4:5], v[16:17], v[4:5]
	global_store_dwordx2 v[10:11], v[4:5], off
	global_load_dwordx2 v[4:5], v[14:15], off
	s_waitcnt vmcnt(0)
	v_max_f64 v[4:5], v[4:5], v[4:5]
	v_max_f64 v[4:5], v[4:5], s[4:5]
	v_mul_f64 v[4:5], v[16:17], v[4:5]
	global_store_dwordx2 v[14:15], v[4:5], off
	global_load_dwordx2 v[4:5], v[12:13], off
	;; [unrolled: 6-line block ×16, first 2 shown]
	s_waitcnt vmcnt(0)
	v_max_f64 v[0:1], v[0:1], v[0:1]
	v_max_f64 v[0:1], v[0:1], s[4:5]
	v_mul_f64 v[0:1], v[16:17], v[0:1]
	global_store_dwordx2 v[40:41], v[0:1], off
	s_endpgm
	.section	.rodata,"a",@progbits
	.p2align	6, 0x0
	.amdhsa_kernel _Z7gr_baseIdEvPKT_S2_S2_PS0_S0_S0_
		.amdhsa_group_segment_fixed_size 0
		.amdhsa_private_segment_fixed_size 0
		.amdhsa_kernarg_size 304
		.amdhsa_user_sgpr_count 2
		.amdhsa_user_sgpr_dispatch_ptr 0
		.amdhsa_user_sgpr_queue_ptr 0
		.amdhsa_user_sgpr_kernarg_segment_ptr 1
		.amdhsa_user_sgpr_dispatch_id 0
		.amdhsa_user_sgpr_kernarg_preload_length 0
		.amdhsa_user_sgpr_kernarg_preload_offset 0
		.amdhsa_user_sgpr_private_segment_size 0
		.amdhsa_uses_dynamic_stack 0
		.amdhsa_enable_private_segment 0
		.amdhsa_system_sgpr_workgroup_id_x 1
		.amdhsa_system_sgpr_workgroup_id_y 0
		.amdhsa_system_sgpr_workgroup_id_z 0
		.amdhsa_system_sgpr_workgroup_info 0
		.amdhsa_system_vgpr_workitem_id 0
		.amdhsa_next_free_vgpr 72
		.amdhsa_next_free_sgpr 44
		.amdhsa_accum_offset 72
		.amdhsa_reserve_vcc 1
		.amdhsa_float_round_mode_32 0
		.amdhsa_float_round_mode_16_64 0
		.amdhsa_float_denorm_mode_32 3
		.amdhsa_float_denorm_mode_16_64 3
		.amdhsa_dx10_clamp 1
		.amdhsa_ieee_mode 1
		.amdhsa_fp16_overflow 0
		.amdhsa_tg_split 0
		.amdhsa_exception_fp_ieee_invalid_op 0
		.amdhsa_exception_fp_denorm_src 0
		.amdhsa_exception_fp_ieee_div_zero 0
		.amdhsa_exception_fp_ieee_overflow 0
		.amdhsa_exception_fp_ieee_underflow 0
		.amdhsa_exception_fp_ieee_inexact 0
		.amdhsa_exception_int_div_zero 0
	.end_amdhsa_kernel
	.section	.text._Z7gr_baseIdEvPKT_S2_S2_PS0_S0_S0_,"axG",@progbits,_Z7gr_baseIdEvPKT_S2_S2_PS0_S0_S0_,comdat
.Lfunc_end29:
	.size	_Z7gr_baseIdEvPKT_S2_S2_PS0_S0_S0_, .Lfunc_end29-_Z7gr_baseIdEvPKT_S2_S2_PS0_S0_S0_
                                        ; -- End function
	.set _Z7gr_baseIdEvPKT_S2_S2_PS0_S0_S0_.num_vgpr, 72
	.set _Z7gr_baseIdEvPKT_S2_S2_PS0_S0_S0_.num_agpr, 0
	.set _Z7gr_baseIdEvPKT_S2_S2_PS0_S0_S0_.numbered_sgpr, 44
	.set _Z7gr_baseIdEvPKT_S2_S2_PS0_S0_S0_.num_named_barrier, 0
	.set _Z7gr_baseIdEvPKT_S2_S2_PS0_S0_S0_.private_seg_size, 0
	.set _Z7gr_baseIdEvPKT_S2_S2_PS0_S0_S0_.uses_vcc, 1
	.set _Z7gr_baseIdEvPKT_S2_S2_PS0_S0_S0_.uses_flat_scratch, 0
	.set _Z7gr_baseIdEvPKT_S2_S2_PS0_S0_S0_.has_dyn_sized_stack, 0
	.set _Z7gr_baseIdEvPKT_S2_S2_PS0_S0_S0_.has_recursion, 0
	.set _Z7gr_baseIdEvPKT_S2_S2_PS0_S0_S0_.has_indirect_call, 0
	.section	.AMDGPU.csdata,"",@progbits
; Kernel info:
; codeLenInByte = 2952
; TotalNumSgprs: 50
; NumVgprs: 72
; NumAgprs: 0
; TotalNumVgprs: 72
; ScratchSize: 0
; MemoryBound: 1
; FloatMode: 240
; IeeeMode: 1
; LDSByteSize: 0 bytes/workgroup (compile time only)
; SGPRBlocks: 6
; VGPRBlocks: 8
; NumSGPRsForWavesPerEU: 50
; NumVGPRsForWavesPerEU: 72
; AccumOffset: 72
; Occupancy: 7
; WaveLimiterHint : 1
; COMPUTE_PGM_RSRC2:SCRATCH_EN: 0
; COMPUTE_PGM_RSRC2:USER_SGPR: 2
; COMPUTE_PGM_RSRC2:TRAP_HANDLER: 0
; COMPUTE_PGM_RSRC2:TGID_X_EN: 1
; COMPUTE_PGM_RSRC2:TGID_Y_EN: 0
; COMPUTE_PGM_RSRC2:TGID_Z_EN: 0
; COMPUTE_PGM_RSRC2:TIDIG_COMP_CNT: 0
; COMPUTE_PGM_RSRC3_GFX90A:ACCUM_OFFSET: 17
; COMPUTE_PGM_RSRC3_GFX90A:TG_SPLIT: 0
	.section	.text._Z12ratt2_kernelIdEvPKT_S2_PS0_S2_S0_,"axG",@progbits,_Z12ratt2_kernelIdEvPKT_S2_PS0_S2_S0_,comdat
	.protected	_Z12ratt2_kernelIdEvPKT_S2_PS0_S2_S0_ ; -- Begin function _Z12ratt2_kernelIdEvPKT_S2_PS0_S2_S0_
	.globl	_Z12ratt2_kernelIdEvPKT_S2_PS0_S2_S0_
	.p2align	8
	.type	_Z12ratt2_kernelIdEvPKT_S2_PS0_S2_S0_,@function
_Z12ratt2_kernelIdEvPKT_S2_PS0_S2_S0_:  ; @_Z12ratt2_kernelIdEvPKT_S2_PS0_S2_S0_
; %bb.0:
	s_load_dword s3, s[0:1], 0x34
	s_load_dword s12, s[0:1], 0x28
	s_load_dwordx8 s[4:11], s[0:1], 0x0
	v_mov_b32_e32 v1, 0
	v_mov_b32_e32 v5, v1
	s_waitcnt lgkmcnt(0)
	s_and_b32 s3, s3, 0xffff
	s_mul_i32 s2, s2, s3
	v_add_u32_e32 v0, s2, v0
	v_lshlrev_b64 v[32:33], 3, v[0:1]
	v_lshl_add_u64 v[2:3], s[4:5], 0, v[32:33]
	global_load_dwordx2 v[38:39], v[2:3], off
	s_mul_i32 s4, s12, s3
	s_lshl_b32 s5, s4, 1
	v_add_u32_e32 v4, s4, v0
	v_add_u32_e32 v0, s5, v0
	v_lshlrev_b64 v[14:15], 3, v[0:1]
	v_add_u32_e32 v0, s5, v0
	v_lshlrev_b64 v[16:17], 3, v[4:5]
	v_lshl_add_u64 v[44:45], s[10:11], 0, v[14:15]
	v_lshlrev_b64 v[12:13], 3, v[0:1]
	v_lshl_add_u64 v[42:43], s[10:11], 0, v[16:17]
	v_lshl_add_u64 v[46:47], s[10:11], 0, v[12:13]
	global_load_dwordx2 v[8:9], v[44:45], off
	global_load_dwordx2 v[10:11], v[46:47], off
	;; [unrolled: 1-line block ×3, first 2 shown]
	v_add_u32_e32 v4, s5, v4
	v_lshl_add_u64 v[6:7], s[6:7], 0, v[32:33]
	v_lshl_add_u64 v[30:31], s[10:11], 0, v[32:33]
	v_lshlrev_b64 v[22:23], 3, v[4:5]
	global_load_dwordx2 v[28:29], v[6:7], off
	global_load_dwordx2 v[4:5], v[30:31], off
	v_add_u32_e32 v0, s4, v0
	v_lshl_add_u64 v[6:7], s[6:7], 0, v[16:17]
	v_lshl_add_u64 v[48:49], s[10:11], 0, v[22:23]
	v_lshlrev_b64 v[20:21], 3, v[0:1]
	global_load_dwordx2 v[34:35], v[6:7], off
	v_lshl_add_u64 v[36:37], s[10:11], 0, v[20:21]
	global_load_dwordx2 v[6:7], v[48:49], off
	global_load_dwordx2 v[26:27], v[48:49], off
	;; [unrolled: 1-line block ×6, first 2 shown]
	s_load_dwordx2 s[0:1], s[0:1], 0x20
	s_brev_b32 s2, 12
	s_mov_b32 s3, 0x4193d2c6
	global_load_dwordx2 v[30:31], v[30:31], off
	v_lshl_add_u64 v[16:17], s[8:9], 0, v[16:17]
	v_add_u32_e32 v0, s4, v0
	s_waitcnt vmcnt(13) lgkmcnt(0)
	v_mul_f64 v[38:39], s[0:1], v[38:39]
	v_mul_f64 v[42:43], v[38:39], s[2:3]
	v_div_scale_f64 v[44:45], s[0:1], v[42:43], v[42:43], 1.0
	v_rcp_f64_e32 v[48:49], v[44:45]
	v_div_scale_f64 v[46:47], vcc, 1.0, v[42:43], 1.0
	v_fma_f64 v[58:59], -v[44:45], v[48:49], 1.0
	v_fmac_f64_e32 v[48:49], v[48:49], v[58:59]
	v_fma_f64 v[58:59], -v[44:45], v[48:49], 1.0
	s_waitcnt vmcnt(11)
	v_mul_f64 v[52:53], v[8:9], v[10:11]
	v_fmac_f64_e32 v[48:49], v[48:49], v[58:59]
	v_div_scale_f64 v[54:55], s[0:1], v[52:53], v[52:53], 1.0
	v_mul_f64 v[58:59], v[46:47], v[48:49]
	v_fma_f64 v[44:45], -v[44:45], v[58:59], v[46:47]
	v_rcp_f64_e32 v[46:47], v[54:55]
	v_div_fmas_f64 v[44:45], v[44:45], v[48:49], v[58:59]
	s_waitcnt vmcnt(10)
	v_mul_f64 v[38:39], v[2:3], v[10:11]
	v_div_scale_f64 v[56:57], s[0:1], 1.0, v[52:53], 1.0
	v_fma_f64 v[58:59], -v[54:55], v[46:47], 1.0
	v_fmac_f64_e32 v[46:47], v[46:47], v[58:59]
	v_fma_f64 v[58:59], -v[54:55], v[46:47], 1.0
	v_fmac_f64_e32 v[46:47], v[46:47], v[58:59]
	v_div_scale_f64 v[48:49], s[2:3], v[38:39], v[38:39], 1.0
	v_mul_f64 v[58:59], v[56:57], v[46:47]
	v_fma_f64 v[54:55], -v[54:55], v[58:59], v[56:57]
	v_rcp_f64_e32 v[56:57], v[48:49]
	s_mov_b64 vcc, s[0:1]
	v_div_fmas_f64 v[54:55], v[54:55], v[46:47], v[58:59]
	v_div_scale_f64 v[46:47], vcc, 1.0, v[38:39], 1.0
	v_fma_f64 v[58:59], -v[48:49], v[56:57], 1.0
	v_fmac_f64_e32 v[56:57], v[56:57], v[58:59]
	v_fma_f64 v[58:59], -v[48:49], v[56:57], 1.0
	v_fmac_f64_e32 v[56:57], v[56:57], v[58:59]
	v_mul_f64 v[58:59], v[46:47], v[56:57]
	v_fma_f64 v[46:47], -v[48:49], v[58:59], v[46:47]
	v_lshl_add_u64 v[48:49], s[6:7], 0, v[14:15]
	global_load_dwordx2 v[48:49], v[48:49], off
	v_div_fmas_f64 v[56:57], v[46:47], v[56:57], v[58:59]
	v_lshl_add_u64 v[46:47], s[6:7], 0, v[22:23]
	global_load_dwordx2 v[46:47], v[46:47], off
	s_mov_b32 s0, 0x4357691b
	v_lshl_add_u64 v[58:59], s[8:9], 0, v[32:33]
	v_div_fixup_f64 v[52:53], v[54:55], v[52:53], 1.0
	s_waitcnt vmcnt(8)
	v_mul_f64 v[32:33], v[2:3], v[6:7]
	s_mov_b32 s1, 0x479e17b8
	v_mul_f64 v[52:53], v[32:33], v[52:53]
	v_mul_f64 v[60:61], v[8:9], v[4:5]
	v_div_fixup_f64 v[54:55], v[56:57], v[38:39], 1.0
	v_min_f64 v[52:53], v[52:53], s[0:1]
	v_mul_f64 v[54:55], v[54:55], v[60:61]
	v_mul_f64 v[28:29], v[28:29], v[52:53]
	v_min_f64 v[52:53], v[54:55], s[0:1]
	global_store_dwordx2 v[58:59], v[28:29], off
	global_load_dwordx2 v[28:29], v[36:37], off
	s_waitcnt vmcnt(5)
	v_mul_f64 v[36:37], v[2:3], v[50:51]
	v_mul_f64 v[34:35], v[34:35], v[52:53]
	v_div_scale_f64 v[52:53], s[2:3], v[36:37], v[36:37], 1.0
	v_rcp_f64_e32 v[54:55], v[52:53]
	global_store_dwordx2 v[16:17], v[34:35], off
	v_mul_f64 v[16:17], v[10:11], v[4:5]
	v_lshl_add_u64 v[14:15], s[8:9], 0, v[14:15]
	v_fma_f64 v[34:35], -v[52:53], v[54:55], 1.0
	v_fmac_f64_e32 v[54:55], v[54:55], v[34:35]
	v_fma_f64 v[34:35], -v[52:53], v[54:55], 1.0
	v_fmac_f64_e32 v[54:55], v[54:55], v[34:35]
	v_div_scale_f64 v[34:35], vcc, 1.0, v[36:37], 1.0
	v_mul_f64 v[56:57], v[34:35], v[54:55]
	v_fma_f64 v[34:35], -v[52:53], v[56:57], v[34:35]
	v_lshl_add_u64 v[22:23], s[8:9], 0, v[22:23]
	s_nop 0
	v_div_fmas_f64 v[34:35], v[34:35], v[54:55], v[56:57]
	v_div_fixup_f64 v[34:35], v[34:35], v[36:37], 1.0
	v_mul_f64 v[16:17], v[16:17], v[34:35]
	v_lshl_add_u64 v[34:35], s[6:7], 0, v[12:13]
	v_lshl_add_u64 v[36:37], s[6:7], 0, v[20:21]
	global_load_dwordx2 v[52:53], v[34:35], off
	global_load_dwordx2 v[54:55], v[36:37], off
	v_mul_f64 v[34:35], v[8:9], v[50:51]
	v_min_f64 v[16:17], v[16:17], s[0:1]
	v_div_scale_f64 v[36:37], s[2:3], v[34:35], v[34:35], 1.0
	v_lshl_add_u64 v[12:13], s[8:9], 0, v[12:13]
	v_lshl_add_u64 v[20:21], s[8:9], 0, v[20:21]
	s_waitcnt vmcnt(6)
	v_mul_f64 v[16:17], v[48:49], v[16:17]
	v_rcp_f64_e32 v[48:49], v[36:37]
	global_store_dwordx2 v[14:15], v[16:17], off
	v_mul_f64 v[16:17], v[10:11], v[10:11]
	v_fma_f64 v[14:15], -v[36:37], v[48:49], 1.0
	v_fmac_f64_e32 v[48:49], v[48:49], v[14:15]
	v_fma_f64 v[14:15], -v[36:37], v[48:49], 1.0
	v_fmac_f64_e32 v[48:49], v[48:49], v[14:15]
	v_div_scale_f64 v[14:15], vcc, 1.0, v[34:35], 1.0
	v_mul_f64 v[56:57], v[14:15], v[48:49]
	v_fma_f64 v[14:15], -v[36:37], v[56:57], v[14:15]
	v_div_scale_f64 v[36:37], s[2:3], v[4:5], v[4:5], 1.0
	s_nop 0
	v_div_fmas_f64 v[14:15], v[14:15], v[48:49], v[56:57]
	v_div_fixup_f64 v[14:15], v[14:15], v[34:35], 1.0
	v_rcp_f64_e32 v[48:49], v[36:37]
	v_mul_f64 v[34:35], v[16:17], v[14:15]
	v_min_f64 v[34:35], v[34:35], s[0:1]
	s_waitcnt vmcnt(6)
	v_mul_f64 v[34:35], v[46:47], v[34:35]
	global_store_dwordx2 v[22:23], v[34:35], off
	v_fma_f64 v[22:23], -v[36:37], v[48:49], 1.0
	v_fmac_f64_e32 v[48:49], v[48:49], v[22:23]
	v_fma_f64 v[22:23], -v[36:37], v[48:49], 1.0
	v_fmac_f64_e32 v[48:49], v[48:49], v[22:23]
	v_div_scale_f64 v[22:23], vcc, 1.0, v[4:5], 1.0
	v_mul_f64 v[34:35], v[22:23], v[48:49]
	v_fma_f64 v[22:23], -v[36:37], v[34:35], v[22:23]
	v_lshlrev_b64 v[36:37], 3, v[0:1]
	v_lshl_add_u64 v[46:47], s[6:7], 0, v[36:37]
	v_add_u32_e32 v0, s4, v0
	global_load_dwordx2 v[46:47], v[46:47], off
	v_lshlrev_b64 v[56:57], 3, v[0:1]
	v_lshl_add_u64 v[58:59], s[6:7], 0, v[56:57]
	global_load_dwordx2 v[58:59], v[58:59], off
	v_add_u32_e32 v0, s4, v0
	v_div_fmas_f64 v[34:35], v[22:23], v[48:49], v[34:35]
	v_lshlrev_b64 v[48:49], 3, v[0:1]
	v_lshl_add_u64 v[22:23], s[6:7], 0, v[48:49]
	global_load_dwordx2 v[60:61], v[22:23], off
	s_mov_b32 s2, 0
	v_div_fixup_f64 v[22:23], v[44:45], v[42:43], 1.0
	s_mov_b32 s3, 0x412eec04
	v_mul_f64 v[22:23], v[22:23], s[2:3]
	v_mul_f64 v[42:43], v[2:3], v[2:3]
	;; [unrolled: 1-line block ×3, first 2 shown]
	v_div_fixup_f64 v[34:35], v[34:35], v[4:5], 1.0
	v_mul_f64 v[34:35], v[42:43], v[34:35]
	v_min_f64 v[34:35], v[34:35], s[0:1]
	s_waitcnt vmcnt(6)
	v_mul_f64 v[42:43], v[34:35], v[52:53]
	v_add_u32_e32 v0, s4, v0
	global_store_dwordx2 v[12:13], v[42:43], off
	v_lshlrev_b64 v[42:43], 3, v[0:1]
	v_lshl_add_u64 v[12:13], s[6:7], 0, v[42:43]
	global_load_dwordx2 v[44:45], v[12:13], off
	s_waitcnt vmcnt(7)
	v_mul_f64 v[12:13], v[34:35], v[54:55]
	global_store_dwordx2 v[20:21], v[12:13], off
	v_lshl_add_u64 v[20:21], s[8:9], 0, v[36:37]
	v_mul_f64 v[38:39], v[22:23], v[38:39]
	v_add_u32_e32 v0, s4, v0
	v_mul_f64 v[32:33], v[32:33], v[22:23]
	v_mul_f64 v[4:5], v[6:7], v[4:5]
	s_waitcnt vmcnt(5)
	v_mul_f64 v[12:13], v[34:35], v[46:47]
	global_store_dwordx2 v[20:21], v[12:13], off
	v_div_scale_f64 v[20:21], s[2:3], v[50:51], v[50:51], 1.0
	s_waitcnt vmcnt(5)
	v_mul_f64 v[12:13], v[34:35], v[58:59]
	v_rcp_f64_e32 v[34:35], v[20:21]
	v_lshl_add_u64 v[46:47], s[8:9], 0, v[56:57]
	global_store_dwordx2 v[46:47], v[12:13], off
	v_lshlrev_b64 v[46:47], 3, v[0:1]
	v_fma_f64 v[12:13], -v[20:21], v[34:35], 1.0
	v_fmac_f64_e32 v[34:35], v[34:35], v[12:13]
	v_fma_f64 v[54:55], -v[20:21], v[34:35], 1.0
	v_lshl_add_u64 v[12:13], s[10:11], 0, v[36:37]
	v_fmac_f64_e32 v[34:35], v[34:35], v[54:55]
	v_div_scale_f64 v[36:37], vcc, 1.0, v[50:51], 1.0
	v_mul_f64 v[54:55], v[36:37], v[34:35]
	v_fma_f64 v[20:21], -v[20:21], v[54:55], v[36:37]
	v_div_scale_f64 v[36:37], s[2:3], v[10:11], v[10:11], 1.0
	s_nop 0
	v_div_fmas_f64 v[20:21], v[20:21], v[34:35], v[54:55]
	v_div_fixup_f64 v[20:21], v[20:21], v[50:51], 1.0
	v_mul_f64 v[20:21], v[38:39], v[20:21]
	v_rcp_f64_e32 v[38:39], v[36:37]
	v_min_f64 v[20:21], v[20:21], s[0:1]
	s_waitcnt vmcnt(5)
	v_mul_f64 v[20:21], v[20:21], v[60:61]
	v_lshl_add_u64 v[34:35], s[8:9], 0, v[48:49]
	global_store_dwordx2 v[34:35], v[20:21], off
	v_fma_f64 v[34:35], -v[36:37], v[38:39], 1.0
	v_lshl_add_u64 v[52:53], s[6:7], 0, v[46:47]
	v_fmac_f64_e32 v[38:39], v[38:39], v[34:35]
	global_load_dwordx2 v[52:53], v[52:53], off
	v_fma_f64 v[34:35], -v[36:37], v[38:39], 1.0
	global_load_dwordx2 v[12:13], v[12:13], off
	v_fmac_f64_e32 v[38:39], v[38:39], v[34:35]
	v_div_scale_f64 v[34:35], vcc, 1.0, v[10:11], 1.0
	v_mul_f64 v[48:49], v[34:35], v[38:39]
	v_fma_f64 v[34:35], -v[36:37], v[48:49], v[34:35]
	v_mul_f64 v[20:21], v[2:3], v[8:9]
	s_nop 0
	v_div_fmas_f64 v[34:35], v[34:35], v[38:39], v[48:49]
	v_mul_f64 v[20:21], v[20:21], v[22:23]
	v_div_fixup_f64 v[10:11], v[34:35], v[10:11], 1.0
	v_mul_f64 v[10:11], v[20:21], v[10:11]
	v_div_scale_f64 v[20:21], s[2:3], v[6:7], v[6:7], 1.0
	v_rcp_f64_e32 v[34:35], v[20:21]
	v_min_f64 v[10:11], v[10:11], s[0:1]
	s_waitcnt vmcnt(6)
	v_mul_f64 v[10:11], v[10:11], v[44:45]
	v_lshl_add_u64 v[36:37], s[8:9], 0, v[42:43]
	global_store_dwordx2 v[36:37], v[10:11], off
	v_fma_f64 v[10:11], -v[20:21], v[34:35], 1.0
	v_fmac_f64_e32 v[34:35], v[34:35], v[10:11]
	v_fma_f64 v[10:11], -v[20:21], v[34:35], 1.0
	v_fmac_f64_e32 v[34:35], v[34:35], v[10:11]
	v_div_scale_f64 v[10:11], vcc, 1.0, v[6:7], 1.0
	v_add_u32_e32 v0, s4, v0
	v_mul_f64 v[36:37], v[10:11], v[34:35]
	v_lshlrev_b64 v[38:39], 3, v[0:1]
	v_add_u32_e32 v0, s4, v0
	v_fma_f64 v[20:21], -v[20:21], v[36:37], v[10:11]
	v_lshl_add_u64 v[10:11], s[6:7], 0, v[38:39]
	v_lshlrev_b64 v[42:43], 3, v[0:1]
	v_lshl_add_u64 v[44:45], s[6:7], 0, v[42:43]
	global_load_dwordx2 v[48:49], v[10:11], off
	global_load_dwordx2 v[50:51], v[44:45], off
	v_mul_f64 v[8:9], v[8:9], v[8:9]
	v_div_fmas_f64 v[20:21], v[20:21], v[34:35], v[36:37]
	v_mul_f64 v[8:9], v[8:9], v[22:23]
	v_div_fixup_f64 v[20:21], v[20:21], v[6:7], 1.0
	v_mul_f64 v[8:9], v[20:21], v[8:9]
	v_min_f64 v[8:9], v[8:9], s[0:1]
	v_lshl_add_u64 v[20:21], s[8:9], 0, v[46:47]
	v_add_u32_e32 v0, s4, v0
	v_lshlrev_b64 v[44:45], 3, v[0:1]
	v_add_u32_e32 v0, s4, v0
	v_lshlrev_b64 v[58:59], 3, v[0:1]
	;; [unrolled: 2-line block ×3, first 2 shown]
	v_add_u32_e32 v0, s4, v0
	v_lshl_add_u64 v[38:39], s[8:9], 0, v[38:39]
	v_lshl_add_u64 v[42:43], s[8:9], 0, v[42:43]
	;; [unrolled: 1-line block ×4, first 2 shown]
	global_load_dwordx2 v[54:55], v[10:11], off
	v_div_scale_f64 v[6:7], s[2:3], v[4:5], v[4:5], 1.0
	global_load_dwordx2 v[36:37], v[36:37], off
	s_waitcnt vmcnt(6)
	v_mul_f64 v[8:9], v[8:9], v[52:53]
	global_store_dwordx2 v[20:21], v[8:9], off
	s_waitcnt vmcnt(6)
	v_div_scale_f64 v[8:9], s[2:3], v[12:13], v[12:13], 1.0
	v_rcp_f64_e32 v[20:21], v[8:9]
	v_mul_f64 v[2:3], v[2:3], v[12:13]
	v_fma_f64 v[46:47], -v[8:9], v[20:21], 1.0
	v_fmac_f64_e32 v[20:21], v[20:21], v[46:47]
	v_fma_f64 v[46:47], -v[8:9], v[20:21], 1.0
	v_fmac_f64_e32 v[20:21], v[20:21], v[46:47]
	v_div_scale_f64 v[46:47], vcc, 1.0, v[12:13], 1.0
	v_mul_f64 v[52:53], v[46:47], v[20:21]
	v_fma_f64 v[8:9], -v[8:9], v[52:53], v[46:47]
	s_nop 1
	v_div_fmas_f64 v[8:9], v[8:9], v[20:21], v[52:53]
	v_div_fixup_f64 v[8:9], v[8:9], v[12:13], 1.0
	v_mul_f64 v[8:9], v[32:33], v[8:9]
	v_min_f64 v[8:9], v[8:9], s[0:1]
	v_lshlrev_b64 v[20:21], 3, v[0:1]
	v_add_u32_e32 v0, s4, v0
	v_lshlrev_b64 v[32:33], 3, v[0:1]
	v_add_u32_e32 v0, s4, v0
	v_lshl_add_u64 v[46:47], s[6:7], 0, v[20:21]
	v_lshl_add_u64 v[52:53], s[6:7], 0, v[32:33]
	global_load_dwordx2 v[46:47], v[46:47], off
	v_lshl_add_u64 v[20:21], s[8:9], 0, v[20:21]
	global_load_dwordx2 v[52:53], v[52:53], off
	v_lshl_add_u64 v[32:33], s[8:9], 0, v[32:33]
	s_waitcnt vmcnt(6)
	v_mul_f64 v[48:49], v[48:49], v[8:9]
	global_store_dwordx2 v[38:39], v[48:49], off
	s_waitcnt vmcnt(6)
	v_mul_f64 v[38:39], v[50:51], v[8:9]
	global_store_dwordx2 v[42:43], v[38:39], off
	v_lshl_add_u64 v[42:43], s[8:9], 0, v[44:45]
	v_lshlrev_b64 v[44:45], 3, v[0:1]
	v_lshl_add_u64 v[48:49], s[6:7], 0, v[44:45]
	global_load_dwordx2 v[48:49], v[48:49], off
	v_lshl_add_u64 v[10:11], s[6:7], 0, v[58:59]
	global_load_dwordx2 v[60:61], v[10:11], off
	;; [unrolled: 2-line block ×3, first 2 shown]
	v_lshl_add_u64 v[50:51], s[8:9], 0, v[58:59]
	v_add_u32_e32 v0, s4, v0
	s_waitcnt vmcnt(9)
	v_mul_f64 v[38:39], v[8:9], v[54:55]
	global_store_dwordx2 v[42:43], v[38:39], off
	s_waitcnt vmcnt(2)
	v_mul_f64 v[8:9], v[8:9], v[60:61]
	global_store_dwordx2 v[50:51], v[8:9], off
	s_waitcnt vmcnt(2)
	v_div_scale_f64 v[38:39], s[2:3], v[10:11], v[10:11], 1.0
	v_rcp_f64_e32 v[42:43], v[38:39]
	v_mul_f64 v[8:9], v[22:23], v[16:17]
	v_fma_f64 v[16:17], -v[38:39], v[42:43], 1.0
	v_fmac_f64_e32 v[42:43], v[42:43], v[16:17]
	v_fma_f64 v[16:17], -v[38:39], v[42:43], 1.0
	v_fmac_f64_e32 v[42:43], v[42:43], v[16:17]
	v_div_scale_f64 v[16:17], vcc, 1.0, v[10:11], 1.0
	v_mul_f64 v[22:23], v[16:17], v[42:43]
	v_fma_f64 v[16:17], -v[38:39], v[22:23], v[16:17]
	s_nop 1
	v_div_fmas_f64 v[16:17], v[16:17], v[42:43], v[22:23]
	v_div_fixup_f64 v[16:17], v[16:17], v[10:11], 1.0
	v_mul_f64 v[8:9], v[8:9], v[16:17]
	v_min_f64 v[8:9], v[8:9], s[0:1]
	v_mul_f64 v[8:9], v[36:37], v[8:9]
	v_lshl_add_u64 v[16:17], s[8:9], 0, v[34:35]
	global_store_dwordx2 v[16:17], v[8:9], off
	v_mul_f64 v[8:9], v[14:15], v[2:3]
	v_lshlrev_b64 v[14:15], 3, v[0:1]
	v_lshl_add_u64 v[16:17], s[6:7], 0, v[14:15]
	v_rcp_f64_e32 v[22:23], v[6:7]
	global_load_dwordx2 v[16:17], v[16:17], off
	v_min_f64 v[8:9], v[8:9], s[0:1]
	v_mul_f64 v[8:9], v[8:9], v[46:47]
	global_store_dwordx2 v[20:21], v[8:9], off
	v_fma_f64 v[8:9], -v[6:7], v[22:23], 1.0
	v_fmac_f64_e32 v[22:23], v[22:23], v[8:9]
	v_fma_f64 v[8:9], -v[6:7], v[22:23], 1.0
	v_fmac_f64_e32 v[22:23], v[22:23], v[8:9]
	v_div_scale_f64 v[8:9], vcc, 1.0, v[4:5], 1.0
	v_mul_f64 v[20:21], v[8:9], v[22:23]
	v_fma_f64 v[6:7], -v[6:7], v[20:21], v[8:9]
	v_mul_f64 v[8:9], v[18:19], v[18:19]
	s_nop 0
	v_div_fmas_f64 v[6:7], v[6:7], v[22:23], v[20:21]
	v_div_scale_f64 v[20:21], s[2:3], v[8:9], v[8:9], 1.0
	v_div_fixup_f64 v[4:5], v[6:7], v[4:5], 1.0
	v_rcp_f64_e32 v[22:23], v[20:21]
	v_mul_f64 v[2:3], v[4:5], v[2:3]
	v_min_f64 v[2:3], v[2:3], s[0:1]
	v_mul_f64 v[2:3], v[2:3], v[52:53]
	global_store_dwordx2 v[32:33], v[2:3], off
	v_fma_f64 v[32:33], -v[20:21], v[22:23], 1.0
	v_fmac_f64_e32 v[22:23], v[22:23], v[32:33]
	v_fma_f64 v[32:33], -v[20:21], v[22:23], 1.0
	v_fmac_f64_e32 v[22:23], v[22:23], v[32:33]
	v_div_scale_f64 v[32:33], vcc, 1.0, v[8:9], 1.0
	v_mul_f64 v[34:35], v[32:33], v[22:23]
	v_fma_f64 v[20:21], -v[20:21], v[34:35], v[32:33]
	v_mul_f64 v[2:3], v[24:25], v[12:13]
	s_nop 0
	v_div_fmas_f64 v[20:21], v[20:21], v[22:23], v[34:35]
	v_div_fixup_f64 v[8:9], v[20:21], v[8:9], 1.0
	v_mul_f64 v[2:3], v[2:3], v[8:9]
	v_mul_f64 v[8:9], v[26:27], v[18:19]
	v_div_scale_f64 v[20:21], s[2:3], v[8:9], v[8:9], 1.0
	v_rcp_f64_e32 v[22:23], v[20:21]
	v_min_f64 v[2:3], v[2:3], s[0:1]
	v_mul_f64 v[2:3], v[48:49], v[2:3]
	v_lshl_add_u64 v[34:35], s[8:9], 0, v[44:45]
	global_store_dwordx2 v[34:35], v[2:3], off
	v_fma_f64 v[34:35], -v[20:21], v[22:23], 1.0
	v_add_u32_e32 v0, s4, v0
	v_fmac_f64_e32 v[22:23], v[22:23], v[34:35]
	v_lshlrev_b64 v[4:5], 3, v[0:1]
	v_add_u32_e32 v0, s4, v0
	v_fma_f64 v[34:35], -v[20:21], v[22:23], 1.0
	v_lshlrev_b64 v[32:33], 3, v[0:1]
	v_add_u32_e32 v0, s4, v0
	v_fmac_f64_e32 v[22:23], v[22:23], v[34:35]
	v_div_scale_f64 v[34:35], vcc, 1.0, v[8:9], 1.0
	v_lshlrev_b64 v[38:39], 3, v[0:1]
	v_mul_f64 v[2:3], v[40:41], v[12:13]
	v_mul_f64 v[40:41], v[34:35], v[22:23]
	v_add_u32_e32 v0, s4, v0
	v_fma_f64 v[20:21], -v[20:21], v[40:41], v[34:35]
	v_lshlrev_b64 v[34:35], 3, v[0:1]
	v_lshl_add_u64 v[6:7], s[6:7], 0, v[4:5]
	v_lshl_add_u64 v[36:37], s[6:7], 0, v[32:33]
	;; [unrolled: 1-line block ×3, first 2 shown]
	global_load_dwordx2 v[36:37], v[36:37], off
	v_lshl_add_u64 v[42:43], s[6:7], 0, v[38:39]
	global_load_dwordx2 v[44:45], v[44:45], off
	v_div_fmas_f64 v[20:21], v[20:21], v[22:23], v[40:41]
	global_load_dwordx2 v[6:7], v[6:7], off
	v_div_fixup_f64 v[8:9], v[20:21], v[8:9], 1.0
	global_load_dwordx2 v[42:43], v[42:43], off
	v_mul_f64 v[2:3], v[2:3], v[8:9]
	v_add_u32_e32 v0, s4, v0
	v_min_f64 v[2:3], v[2:3], s[0:1]
	v_lshlrev_b64 v[0:1], 3, v[0:1]
	v_lshl_add_u64 v[8:9], s[8:9], 0, v[14:15]
	v_mul_f64 v[20:21], v[18:19], v[12:13]
	v_lshl_add_u64 v[4:5], s[8:9], 0, v[4:5]
	s_waitcnt vmcnt(7)
	v_mul_f64 v[2:3], v[16:17], v[2:3]
	v_lshl_add_u64 v[16:17], s[6:7], 0, v[0:1]
	global_load_dwordx2 v[16:17], v[16:17], off
	v_lshl_add_u64 v[0:1], s[8:9], 0, v[0:1]
	global_store_dwordx2 v[8:9], v[2:3], off
	v_mul_f64 v[2:3], v[26:27], v[28:29]
	v_div_scale_f64 v[8:9], s[2:3], v[2:3], v[2:3], 1.0
	v_rcp_f64_e32 v[14:15], v[8:9]
	s_nop 0
	v_fma_f64 v[22:23], -v[8:9], v[14:15], 1.0
	v_fmac_f64_e32 v[14:15], v[14:15], v[22:23]
	v_fma_f64 v[22:23], -v[8:9], v[14:15], 1.0
	v_fmac_f64_e32 v[14:15], v[14:15], v[22:23]
	v_div_scale_f64 v[22:23], vcc, 1.0, v[2:3], 1.0
	v_mul_f64 v[40:41], v[22:23], v[14:15]
	v_fma_f64 v[8:9], -v[8:9], v[40:41], v[22:23]
	s_nop 1
	v_div_fmas_f64 v[8:9], v[8:9], v[14:15], v[40:41]
	v_div_fixup_f64 v[2:3], v[8:9], v[2:3], 1.0
	v_mul_f64 v[2:3], v[20:21], v[2:3]
	v_min_f64 v[2:3], v[2:3], s[0:1]
	s_waitcnt vmcnt(3)
	v_mul_f64 v[2:3], v[6:7], v[2:3]
	v_mul_f64 v[6:7], v[26:27], v[10:11]
	v_div_scale_f64 v[8:9], s[2:3], v[6:7], v[6:7], 1.0
	v_rcp_f64_e32 v[14:15], v[8:9]
	global_store_dwordx2 v[4:5], v[2:3], off
	v_mul_f64 v[2:3], v[12:13], v[12:13]
	v_fma_f64 v[4:5], -v[8:9], v[14:15], 1.0
	v_fmac_f64_e32 v[14:15], v[14:15], v[4:5]
	v_fma_f64 v[4:5], -v[8:9], v[14:15], 1.0
	v_fmac_f64_e32 v[14:15], v[14:15], v[4:5]
	v_div_scale_f64 v[4:5], vcc, 1.0, v[6:7], 1.0
	v_mul_f64 v[20:21], v[4:5], v[14:15]
	v_fma_f64 v[4:5], -v[8:9], v[20:21], v[4:5]
	s_nop 1
	v_div_fmas_f64 v[4:5], v[4:5], v[14:15], v[20:21]
	v_div_fixup_f64 v[4:5], v[4:5], v[6:7], 1.0
	v_mul_f64 v[2:3], v[2:3], v[4:5]
	v_min_f64 v[2:3], v[2:3], s[0:1]
	v_mul_f64 v[4:5], v[36:37], v[2:3]
	v_lshl_add_u64 v[6:7], s[8:9], 0, v[32:33]
	global_store_dwordx2 v[6:7], v[4:5], off
	v_mul_f64 v[4:5], v[30:31], v[12:13]
	v_div_scale_f64 v[6:7], s[2:3], v[4:5], v[4:5], 1.0
	v_rcp_f64_e32 v[8:9], v[6:7]
	s_waitcnt vmcnt(4)
	v_mul_f64 v[2:3], v[42:43], v[2:3]
	v_lshl_add_u64 v[12:13], s[8:9], 0, v[38:39]
	global_store_dwordx2 v[12:13], v[2:3], off
	v_mul_f64 v[2:3], v[24:25], v[10:11]
	v_fma_f64 v[10:11], -v[6:7], v[8:9], 1.0
	v_fmac_f64_e32 v[8:9], v[8:9], v[10:11]
	v_fma_f64 v[10:11], -v[6:7], v[8:9], 1.0
	v_fmac_f64_e32 v[8:9], v[8:9], v[10:11]
	v_div_scale_f64 v[10:11], vcc, 1.0, v[4:5], 1.0
	v_mul_f64 v[12:13], v[10:11], v[8:9]
	v_fma_f64 v[6:7], -v[6:7], v[12:13], v[10:11]
	s_nop 1
	v_div_fmas_f64 v[6:7], v[6:7], v[8:9], v[12:13]
	v_div_fixup_f64 v[4:5], v[6:7], v[4:5], 1.0
	v_mul_f64 v[6:7], v[18:19], v[28:29]
	v_div_scale_f64 v[8:9], s[2:3], v[6:7], v[6:7], 1.0
	v_rcp_f64_e32 v[10:11], v[8:9]
	v_mul_f64 v[4:5], v[2:3], v[4:5]
	v_min_f64 v[4:5], v[4:5], s[0:1]
	v_mul_f64 v[4:5], v[44:45], v[4:5]
	v_lshl_add_u64 v[12:13], s[8:9], 0, v[34:35]
	global_store_dwordx2 v[12:13], v[4:5], off
	v_fma_f64 v[4:5], -v[8:9], v[10:11], 1.0
	v_fmac_f64_e32 v[10:11], v[10:11], v[4:5]
	v_fma_f64 v[4:5], -v[8:9], v[10:11], 1.0
	v_fmac_f64_e32 v[10:11], v[10:11], v[4:5]
	v_div_scale_f64 v[4:5], vcc, 1.0, v[6:7], 1.0
	v_mul_f64 v[12:13], v[4:5], v[10:11]
	v_fma_f64 v[4:5], -v[8:9], v[12:13], v[4:5]
	s_nop 1
	v_div_fmas_f64 v[4:5], v[4:5], v[10:11], v[12:13]
	v_div_fixup_f64 v[4:5], v[4:5], v[6:7], 1.0
	v_mul_f64 v[2:3], v[2:3], v[4:5]
	v_min_f64 v[2:3], v[2:3], s[0:1]
	s_waitcnt vmcnt(5)
	v_mul_f64 v[2:3], v[16:17], v[2:3]
	global_store_dwordx2 v[0:1], v[2:3], off
	s_endpgm
	.section	.rodata,"a",@progbits
	.p2align	6, 0x0
	.amdhsa_kernel _Z12ratt2_kernelIdEvPKT_S2_PS0_S2_S0_
		.amdhsa_group_segment_fixed_size 0
		.amdhsa_private_segment_fixed_size 0
		.amdhsa_kernarg_size 296
		.amdhsa_user_sgpr_count 2
		.amdhsa_user_sgpr_dispatch_ptr 0
		.amdhsa_user_sgpr_queue_ptr 0
		.amdhsa_user_sgpr_kernarg_segment_ptr 1
		.amdhsa_user_sgpr_dispatch_id 0
		.amdhsa_user_sgpr_kernarg_preload_length 0
		.amdhsa_user_sgpr_kernarg_preload_offset 0
		.amdhsa_user_sgpr_private_segment_size 0
		.amdhsa_uses_dynamic_stack 0
		.amdhsa_enable_private_segment 0
		.amdhsa_system_sgpr_workgroup_id_x 1
		.amdhsa_system_sgpr_workgroup_id_y 0
		.amdhsa_system_sgpr_workgroup_id_z 0
		.amdhsa_system_sgpr_workgroup_info 0
		.amdhsa_system_vgpr_workitem_id 0
		.amdhsa_next_free_vgpr 62
		.amdhsa_next_free_sgpr 13
		.amdhsa_accum_offset 64
		.amdhsa_reserve_vcc 1
		.amdhsa_float_round_mode_32 0
		.amdhsa_float_round_mode_16_64 0
		.amdhsa_float_denorm_mode_32 3
		.amdhsa_float_denorm_mode_16_64 3
		.amdhsa_dx10_clamp 1
		.amdhsa_ieee_mode 1
		.amdhsa_fp16_overflow 0
		.amdhsa_tg_split 0
		.amdhsa_exception_fp_ieee_invalid_op 0
		.amdhsa_exception_fp_denorm_src 0
		.amdhsa_exception_fp_ieee_div_zero 0
		.amdhsa_exception_fp_ieee_overflow 0
		.amdhsa_exception_fp_ieee_underflow 0
		.amdhsa_exception_fp_ieee_inexact 0
		.amdhsa_exception_int_div_zero 0
	.end_amdhsa_kernel
	.section	.text._Z12ratt2_kernelIdEvPKT_S2_PS0_S2_S0_,"axG",@progbits,_Z12ratt2_kernelIdEvPKT_S2_PS0_S2_S0_,comdat
.Lfunc_end30:
	.size	_Z12ratt2_kernelIdEvPKT_S2_PS0_S2_S0_, .Lfunc_end30-_Z12ratt2_kernelIdEvPKT_S2_PS0_S2_S0_
                                        ; -- End function
	.set _Z12ratt2_kernelIdEvPKT_S2_PS0_S2_S0_.num_vgpr, 62
	.set _Z12ratt2_kernelIdEvPKT_S2_PS0_S2_S0_.num_agpr, 0
	.set _Z12ratt2_kernelIdEvPKT_S2_PS0_S2_S0_.numbered_sgpr, 13
	.set _Z12ratt2_kernelIdEvPKT_S2_PS0_S2_S0_.num_named_barrier, 0
	.set _Z12ratt2_kernelIdEvPKT_S2_PS0_S2_S0_.private_seg_size, 0
	.set _Z12ratt2_kernelIdEvPKT_S2_PS0_S2_S0_.uses_vcc, 1
	.set _Z12ratt2_kernelIdEvPKT_S2_PS0_S2_S0_.uses_flat_scratch, 0
	.set _Z12ratt2_kernelIdEvPKT_S2_PS0_S2_S0_.has_dyn_sized_stack, 0
	.set _Z12ratt2_kernelIdEvPKT_S2_PS0_S2_S0_.has_recursion, 0
	.set _Z12ratt2_kernelIdEvPKT_S2_PS0_S2_S0_.has_indirect_call, 0
	.section	.AMDGPU.csdata,"",@progbits
; Kernel info:
; codeLenInByte = 3672
; TotalNumSgprs: 19
; NumVgprs: 62
; NumAgprs: 0
; TotalNumVgprs: 62
; ScratchSize: 0
; MemoryBound: 0
; FloatMode: 240
; IeeeMode: 1
; LDSByteSize: 0 bytes/workgroup (compile time only)
; SGPRBlocks: 2
; VGPRBlocks: 7
; NumSGPRsForWavesPerEU: 19
; NumVGPRsForWavesPerEU: 62
; AccumOffset: 64
; Occupancy: 8
; WaveLimiterHint : 0
; COMPUTE_PGM_RSRC2:SCRATCH_EN: 0
; COMPUTE_PGM_RSRC2:USER_SGPR: 2
; COMPUTE_PGM_RSRC2:TRAP_HANDLER: 0
; COMPUTE_PGM_RSRC2:TGID_X_EN: 1
; COMPUTE_PGM_RSRC2:TGID_Y_EN: 0
; COMPUTE_PGM_RSRC2:TGID_Z_EN: 0
; COMPUTE_PGM_RSRC2:TIDIG_COMP_CNT: 0
; COMPUTE_PGM_RSRC3_GFX90A:ACCUM_OFFSET: 15
; COMPUTE_PGM_RSRC3_GFX90A:TG_SPLIT: 0
	.section	.text._Z12ratt3_kernelIdEvPKT_S2_PS0_S2_S0_,"axG",@progbits,_Z12ratt3_kernelIdEvPKT_S2_PS0_S2_S0_,comdat
	.protected	_Z12ratt3_kernelIdEvPKT_S2_PS0_S2_S0_ ; -- Begin function _Z12ratt3_kernelIdEvPKT_S2_PS0_S2_S0_
	.globl	_Z12ratt3_kernelIdEvPKT_S2_PS0_S2_S0_
	.p2align	8
	.type	_Z12ratt3_kernelIdEvPKT_S2_PS0_S2_S0_,@function
_Z12ratt3_kernelIdEvPKT_S2_PS0_S2_S0_:  ; @_Z12ratt3_kernelIdEvPKT_S2_PS0_S2_S0_
; %bb.0:
	s_load_dwordx8 s[4:11], s[0:1], 0x0
	s_load_dwordx2 s[12:13], s[0:1], 0x20
	s_load_dword s3, s[0:1], 0x28
	s_load_dword s14, s[0:1], 0x34
	v_mov_b32_e32 v1, 0
	s_brev_b32 s0, 12
	s_mov_b32 s1, 0x4193d2c6
	v_mov_b32_e32 v19, v1
	s_waitcnt lgkmcnt(0)
	s_and_b32 s14, s14, 0xffff
	s_mul_i32 s2, s2, s14
	v_add_u32_e32 v0, s2, v0
	v_lshlrev_b64 v[14:15], 3, v[0:1]
	v_lshl_add_u64 v[2:3], s[4:5], 0, v[14:15]
	global_load_dwordx2 v[2:3], v[2:3], off
	s_mul_i32 s2, s3, s14
	s_lshl_b32 s3, s2, 1
	v_lshl_add_u64 v[14:15], s[10:11], 0, v[14:15]
	s_mul_i32 s4, s2, 0xffffffec
	s_mul_i32 s14, s2, 28
	global_load_dwordx2 v[48:49], v[14:15], off
	s_waitcnt vmcnt(1)
	v_mul_f64 v[2:3], s[12:13], v[2:3]
	v_mul_f64 v[2:3], v[2:3], s[0:1]
	v_div_scale_f64 v[4:5], s[0:1], v[2:3], v[2:3], 1.0
	v_rcp_f64_e32 v[6:7], v[4:5]
	s_mov_b32 s0, 0
	s_mov_b32 s1, 0x412eec04
	v_fma_f64 v[8:9], -v[4:5], v[6:7], 1.0
	v_fmac_f64_e32 v[6:7], v[6:7], v[8:9]
	v_fma_f64 v[8:9], -v[4:5], v[6:7], 1.0
	v_fmac_f64_e32 v[6:7], v[6:7], v[8:9]
	v_div_scale_f64 v[8:9], vcc, 1.0, v[2:3], 1.0
	v_mul_f64 v[10:11], v[8:9], v[6:7]
	v_fma_f64 v[4:5], -v[4:5], v[10:11], v[8:9]
	s_nop 1
	v_div_fmas_f64 v[4:5], v[4:5], v[6:7], v[10:11]
	v_div_fixup_f64 v[2:3], v[4:5], v[2:3], 1.0
	v_add_u32_e32 v4, s3, v0
	v_mov_b32_e32 v5, v1
	v_mul_f64 v[6:7], v[2:3], s[0:1]
	v_lshl_add_u64 v[2:3], v[4:5], 3, s[10:11]
	v_mad_u64_u32 v[4:5], s[0:1], s2, 5, v[4:5]
	v_mov_b32_e32 v5, v1
	v_lshl_add_u64 v[8:9], v[4:5], 3, s[10:11]
	global_load_dwordx2 v[26:27], v[2:3], off
	global_load_dwordx2 v[12:13], v[8:9], off
	v_mad_u64_u32 v[8:9], s[0:1], s2, -3, v[4:5]
	v_mov_b32_e32 v9, v1
	v_add_u32_e32 v18, s3, v8
	v_lshl_add_u64 v[10:11], v[8:9], 3, s[10:11]
	v_lshl_add_u64 v[8:9], v[18:19], 3, s[10:11]
	global_load_dwordx2 v[4:5], v[10:11], off
	global_load_dwordx2 v[24:25], v[8:9], off
	s_mul_i32 s3, s2, 19
	v_add_u32_e32 v18, s3, v18
	v_add_u32_e32 v0, s2, v0
	s_waitcnt vmcnt(2)
	v_mul_f64 v[16:17], v[26:27], v[12:13]
	s_waitcnt vmcnt(0)
	v_mul_f64 v[20:21], v[4:5], v[24:25]
	v_div_scale_f64 v[22:23], s[0:1], v[20:21], v[20:21], 1.0
	v_rcp_f64_e32 v[28:29], v[22:23]
	s_mov_b32 s0, 0x4357691b
	s_mov_b32 s1, 0x479e17b8
	v_fma_f64 v[30:31], -v[22:23], v[28:29], 1.0
	v_fmac_f64_e32 v[28:29], v[28:29], v[30:31]
	v_fma_f64 v[30:31], -v[22:23], v[28:29], 1.0
	v_fmac_f64_e32 v[28:29], v[28:29], v[30:31]
	v_div_scale_f64 v[30:31], vcc, 1.0, v[20:21], 1.0
	v_mul_f64 v[32:33], v[30:31], v[28:29]
	v_fma_f64 v[22:23], -v[22:23], v[32:33], v[30:31]
	s_nop 1
	v_div_fmas_f64 v[22:23], v[22:23], v[28:29], v[32:33]
	v_div_fixup_f64 v[20:21], v[22:23], v[20:21], 1.0
	v_mul_f64 v[16:17], v[16:17], v[20:21]
	v_lshlrev_b64 v[20:21], 3, v[18:19]
	v_lshl_add_u64 v[22:23], s[6:7], 0, v[20:21]
	global_load_dwordx2 v[22:23], v[22:23], off
	v_min_f64 v[16:17], v[16:17], s[0:1]
	v_lshl_add_u64 v[20:21], s[8:9], 0, v[20:21]
	v_add_u32_e32 v18, s4, v18
	s_waitcnt vmcnt(0)
	v_mul_f64 v[16:17], v[22:23], v[16:17]
	global_store_dwordx2 v[20:21], v[16:17], off
	v_mul_f64 v[16:17], v[12:13], v[4:5]
	v_lshl_add_u64 v[12:13], v[18:19], 3, s[10:11]
	global_load_dwordx2 v[28:29], v[12:13], off
	v_mad_u64_u32 v[18:19], s[4:5], s2, 21, v[18:19]
	v_mov_b32_e32 v19, v1
	s_waitcnt vmcnt(0)
	v_mul_f64 v[20:21], v[24:25], v[28:29]
	v_div_scale_f64 v[22:23], s[4:5], v[20:21], v[20:21], 1.0
	v_rcp_f64_e32 v[30:31], v[22:23]
	s_nop 0
	v_fma_f64 v[32:33], -v[22:23], v[30:31], 1.0
	v_fmac_f64_e32 v[30:31], v[30:31], v[32:33]
	v_fma_f64 v[32:33], -v[22:23], v[30:31], 1.0
	v_fmac_f64_e32 v[30:31], v[30:31], v[32:33]
	v_div_scale_f64 v[32:33], vcc, 1.0, v[20:21], 1.0
	v_mul_f64 v[34:35], v[32:33], v[30:31]
	v_fma_f64 v[22:23], -v[22:23], v[34:35], v[32:33]
	s_nop 1
	v_div_fmas_f64 v[22:23], v[22:23], v[30:31], v[34:35]
	v_div_fixup_f64 v[20:21], v[22:23], v[20:21], 1.0
	v_mul_f64 v[16:17], v[16:17], v[20:21]
	v_lshlrev_b64 v[20:21], 3, v[18:19]
	v_lshl_add_u64 v[22:23], s[6:7], 0, v[20:21]
	global_load_dwordx2 v[22:23], v[22:23], off
	v_min_f64 v[16:17], v[16:17], s[0:1]
	v_lshl_add_u64 v[20:21], s[8:9], 0, v[20:21]
	v_add_u32_e32 v18, s2, v18
	s_waitcnt vmcnt(0)
	v_mul_f64 v[22:23], v[22:23], v[16:17]
	global_store_dwordx2 v[20:21], v[22:23], off
	v_lshlrev_b64 v[20:21], 3, v[18:19]
	v_lshl_add_u64 v[22:23], s[6:7], 0, v[20:21]
	global_load_dwordx2 v[22:23], v[22:23], off
	v_lshl_add_u64 v[20:21], s[8:9], 0, v[20:21]
	s_waitcnt vmcnt(0)
	v_mul_f64 v[16:17], v[22:23], v[16:17]
	global_store_dwordx2 v[20:21], v[16:17], off
	v_mad_u64_u32 v[16:17], s[4:5], s2, -14, v[18:19]
	v_mov_b32_e32 v17, v1
	v_add_u32_e32 v22, s2, v16
	v_mov_b32_e32 v23, v1
	v_lshl_add_u64 v[18:19], v[16:17], 3, s[10:11]
	v_lshl_add_u64 v[16:17], v[22:23], 3, s[10:11]
	global_load_dwordx2 v[30:31], v[18:19], off
	global_load_dwordx2 v[32:33], v[16:17], off
	s_waitcnt vmcnt(1)
	v_mul_f64 v[20:21], v[26:27], v[30:31]
	s_waitcnt vmcnt(0)
	v_div_scale_f64 v[34:35], s[4:5], v[32:33], v[32:33], 1.0
	v_rcp_f64_e32 v[36:37], v[34:35]
	s_mul_i32 s4, s2, 14
	v_add_u32_e32 v22, s4, v22
	v_mul_f64 v[20:21], v[6:7], v[20:21]
	v_fma_f64 v[38:39], -v[34:35], v[36:37], 1.0
	v_fmac_f64_e32 v[36:37], v[36:37], v[38:39]
	v_fma_f64 v[38:39], -v[34:35], v[36:37], 1.0
	v_fmac_f64_e32 v[36:37], v[36:37], v[38:39]
	v_div_scale_f64 v[38:39], vcc, 1.0, v[32:33], 1.0
	v_mul_f64 v[40:41], v[38:39], v[36:37]
	v_fma_f64 v[34:35], -v[34:35], v[40:41], v[38:39]
	v_lshlrev_b64 v[22:23], 3, v[22:23]
	s_nop 0
	v_div_fmas_f64 v[34:35], v[34:35], v[36:37], v[40:41]
	v_div_fixup_f64 v[34:35], v[34:35], v[32:33], 1.0
	v_mul_f64 v[20:21], v[20:21], v[34:35]
	v_lshl_add_u64 v[34:35], s[6:7], 0, v[22:23]
	global_load_dwordx2 v[34:35], v[34:35], off
	v_min_f64 v[20:21], v[20:21], s[0:1]
	v_lshl_add_u64 v[22:23], s[8:9], 0, v[22:23]
	s_mul_i32 s5, s2, -13
	v_mul_f64 v[24:25], v[24:25], v[30:31]
	s_waitcnt vmcnt(0)
	v_mul_f64 v[20:21], v[34:35], v[20:21]
	global_store_dwordx2 v[22:23], v[20:21], off
	v_lshl_add_u64 v[22:23], v[0:1], 3, s[10:11]
	global_load_dwordx2 v[38:39], v[22:23], off
	v_mul_f64 v[20:21], v[4:5], v[30:31]
	v_add_u32_e32 v0, s14, v0
	s_waitcnt vmcnt(0)
	v_mul_f64 v[34:35], v[32:33], v[38:39]
	v_div_scale_f64 v[36:37], s[12:13], v[34:35], v[34:35], 1.0
	v_rcp_f64_e32 v[40:41], v[36:37]
	s_nop 0
	v_fma_f64 v[42:43], -v[36:37], v[40:41], 1.0
	v_fmac_f64_e32 v[40:41], v[40:41], v[42:43]
	v_fma_f64 v[42:43], -v[36:37], v[40:41], 1.0
	v_fmac_f64_e32 v[40:41], v[40:41], v[42:43]
	v_div_scale_f64 v[42:43], vcc, 1.0, v[34:35], 1.0
	v_mul_f64 v[44:45], v[42:43], v[40:41]
	v_fma_f64 v[36:37], -v[36:37], v[44:45], v[42:43]
	s_nop 1
	v_div_fmas_f64 v[36:37], v[36:37], v[40:41], v[44:45]
	v_div_fixup_f64 v[34:35], v[36:37], v[34:35], 1.0
	v_mul_f64 v[20:21], v[20:21], v[34:35]
	v_lshlrev_b64 v[34:35], 3, v[0:1]
	v_lshl_add_u64 v[36:37], s[6:7], 0, v[34:35]
	global_load_dwordx2 v[36:37], v[36:37], off
	v_min_f64 v[20:21], v[20:21], s[0:1]
	v_add_u32_e32 v0, s5, v0
	v_lshl_add_u64 v[34:35], s[8:9], 0, v[34:35]
	s_waitcnt vmcnt(0)
	v_mul_f64 v[20:21], v[36:37], v[20:21]
	v_lshl_add_u64 v[36:37], v[0:1], 3, s[10:11]
	global_load_dwordx2 v[42:43], v[36:37], off
	v_add_u32_e32 v0, s4, v0
	global_store_dwordx2 v[34:35], v[20:21], off
	v_mul_f64 v[34:35], v[30:31], v[48:49]
	v_mul_f64 v[20:21], v[6:7], v[34:35]
	s_waitcnt vmcnt(1)
	v_div_scale_f64 v[36:37], s[12:13], v[42:43], v[42:43], 1.0
	v_rcp_f64_e32 v[40:41], v[36:37]
	s_mul_i32 s12, s2, 0xffffffe5
	v_fma_f64 v[44:45], -v[36:37], v[40:41], 1.0
	v_fmac_f64_e32 v[40:41], v[40:41], v[44:45]
	v_fma_f64 v[44:45], -v[36:37], v[40:41], 1.0
	v_fmac_f64_e32 v[40:41], v[40:41], v[44:45]
	v_div_scale_f64 v[44:45], vcc, 1.0, v[42:43], 1.0
	v_mul_f64 v[46:47], v[44:45], v[40:41]
	v_fma_f64 v[36:37], -v[36:37], v[46:47], v[44:45]
	s_nop 1
	v_div_fmas_f64 v[36:37], v[36:37], v[40:41], v[46:47]
	v_lshlrev_b64 v[40:41], 3, v[0:1]
	v_lshl_add_u64 v[44:45], s[6:7], 0, v[40:41]
	global_load_dwordx2 v[44:45], v[44:45], off
	v_div_fixup_f64 v[36:37], v[36:37], v[42:43], 1.0
	v_mul_f64 v[20:21], v[20:21], v[36:37]
	v_min_f64 v[20:21], v[20:21], s[0:1]
	v_lshl_add_u64 v[40:41], s[8:9], 0, v[40:41]
	v_add_u32_e32 v0, s12, v0
	v_mul_f64 v[46:47], v[26:27], v[32:33]
	v_div_scale_f64 v[50:51], s[12:13], v[46:47], v[46:47], 1.0
	v_rcp_f64_e32 v[52:53], v[50:51]
	s_waitcnt vmcnt(0)
	v_mul_f64 v[20:21], v[44:45], v[20:21]
	global_store_dwordx2 v[40:41], v[20:21], off
	v_lshl_add_u64 v[20:21], v[0:1], 3, s[10:11]
	global_load_dwordx2 v[44:45], v[20:21], off
	v_fma_f64 v[54:55], -v[50:51], v[52:53], 1.0
	v_fmac_f64_e32 v[52:53], v[52:53], v[54:55]
	v_fma_f64 v[54:55], -v[50:51], v[52:53], 1.0
	v_fmac_f64_e32 v[52:53], v[52:53], v[54:55]
	v_div_scale_f64 v[54:55], vcc, 1.0, v[46:47], 1.0
	v_mul_f64 v[56:57], v[54:55], v[52:53]
	v_fma_f64 v[50:51], -v[50:51], v[56:57], v[54:55]
	v_add_u32_e32 v0, s14, v0
	s_nop 0
	v_div_fmas_f64 v[50:51], v[50:51], v[52:53], v[56:57]
	v_div_fixup_f64 v[46:47], v[50:51], v[46:47], 1.0
	s_waitcnt vmcnt(0)
	v_mul_f64 v[40:41], v[30:31], v[44:45]
	v_mul_f64 v[40:41], v[46:47], v[40:41]
	v_lshlrev_b64 v[46:47], 3, v[0:1]
	v_lshl_add_u64 v[50:51], s[6:7], 0, v[46:47]
	global_load_dwordx2 v[50:51], v[50:51], off
	v_min_f64 v[40:41], v[40:41], s[0:1]
	v_lshl_add_u64 v[46:47], s[8:9], 0, v[46:47]
	v_add_u32_e32 v0, s2, v0
	s_waitcnt vmcnt(0)
	v_mul_f64 v[40:41], v[50:51], v[40:41]
	global_store_dwordx2 v[46:47], v[40:41], off
	v_mul_f64 v[40:41], v[4:5], v[32:33]
	v_div_scale_f64 v[46:47], s[12:13], v[40:41], v[40:41], 1.0
	v_rcp_f64_e32 v[50:51], v[46:47]
	s_mul_i32 s12, s2, 0xffffffe8
	v_fma_f64 v[52:53], -v[46:47], v[50:51], 1.0
	v_fmac_f64_e32 v[50:51], v[50:51], v[52:53]
	v_fma_f64 v[52:53], -v[46:47], v[50:51], 1.0
	v_fmac_f64_e32 v[50:51], v[50:51], v[52:53]
	v_div_scale_f64 v[52:53], vcc, 1.0, v[40:41], 1.0
	v_mul_f64 v[54:55], v[52:53], v[50:51]
	v_fma_f64 v[46:47], -v[46:47], v[54:55], v[52:53]
	s_nop 1
	v_div_fmas_f64 v[46:47], v[46:47], v[50:51], v[54:55]
	v_div_fixup_f64 v[40:41], v[46:47], v[40:41], 1.0
	v_mul_f64 v[24:25], v[24:25], v[40:41]
	v_lshlrev_b64 v[40:41], 3, v[0:1]
	v_lshl_add_u64 v[46:47], s[6:7], 0, v[40:41]
	global_load_dwordx2 v[46:47], v[46:47], off
	v_min_f64 v[24:25], v[24:25], s[0:1]
	v_lshl_add_u64 v[40:41], s[8:9], 0, v[40:41]
	v_add_u32_e32 v0, s12, v0
	s_waitcnt vmcnt(0)
	v_mul_f64 v[24:25], v[24:25], v[46:47]
	global_store_dwordx2 v[40:41], v[24:25], off
	v_lshl_add_u64 v[24:25], v[0:1], 3, s[10:11]
	global_load_dwordx2 v[46:47], v[24:25], off
	v_mul_f64 v[40:41], v[30:31], v[38:39]
	v_div_scale_f64 v[50:51], s[12:13], v[40:41], v[40:41], 1.0
	v_rcp_f64_e32 v[52:53], v[50:51]
	s_waitcnt vmcnt(0)
	v_mul_f64 v[24:25], v[26:27], v[46:47]
	v_fma_f64 v[54:55], -v[50:51], v[52:53], 1.0
	v_fmac_f64_e32 v[52:53], v[52:53], v[54:55]
	v_fma_f64 v[54:55], -v[50:51], v[52:53], 1.0
	v_fmac_f64_e32 v[52:53], v[52:53], v[54:55]
	v_div_scale_f64 v[54:55], vcc, 1.0, v[40:41], 1.0
	v_mul_f64 v[56:57], v[54:55], v[52:53]
	v_fma_f64 v[50:51], -v[50:51], v[56:57], v[54:55]
	v_mul_f64 v[48:49], v[48:49], v[46:47]
	s_nop 0
	v_div_fmas_f64 v[50:51], v[50:51], v[52:53], v[56:57]
	v_div_fixup_f64 v[40:41], v[50:51], v[40:41], 1.0
	v_mul_f64 v[24:25], v[40:41], v[24:25]
	v_mad_u64_u32 v[40:41], s[12:13], s2, 25, v[0:1]
	v_mov_b32_e32 v41, v1
	v_lshlrev_b64 v[50:51], 3, v[40:41]
	v_lshl_add_u64 v[52:53], s[6:7], 0, v[50:51]
	global_load_dwordx2 v[52:53], v[52:53], off
	v_min_f64 v[24:25], v[24:25], s[0:1]
	s_mul_i32 s12, s2, 0xffffffee
	v_lshl_add_u64 v[50:51], s[8:9], 0, v[50:51]
	v_add_u32_e32 v0, s12, v40
	v_mul_f64 v[28:29], v[28:29], v[46:47]
	s_waitcnt vmcnt(0)
	v_mul_f64 v[24:25], v[52:53], v[24:25]
	global_store_dwordx2 v[50:51], v[24:25], off
	v_mul_f64 v[24:25], v[4:5], v[46:47]
	v_lshl_add_u64 v[4:5], v[0:1], 3, s[10:11]
	global_load_dwordx2 v[50:51], v[4:5], off
	v_add_u32_e32 v0, s3, v0
	s_mul_i32 s3, s2, 0xffffffe7
	s_waitcnt vmcnt(0)
	v_mul_f64 v[40:41], v[38:39], v[50:51]
	v_div_scale_f64 v[52:53], s[12:13], v[40:41], v[40:41], 1.0
	v_rcp_f64_e32 v[54:55], v[52:53]
	v_mul_f64 v[26:27], v[26:27], v[50:51]
	v_fma_f64 v[56:57], -v[52:53], v[54:55], 1.0
	v_fmac_f64_e32 v[54:55], v[54:55], v[56:57]
	v_fma_f64 v[56:57], -v[52:53], v[54:55], 1.0
	v_fmac_f64_e32 v[54:55], v[54:55], v[56:57]
	v_div_scale_f64 v[56:57], vcc, 1.0, v[40:41], 1.0
	v_mul_f64 v[58:59], v[56:57], v[54:55]
	v_fma_f64 v[52:53], -v[52:53], v[58:59], v[56:57]
	s_nop 1
	v_div_fmas_f64 v[52:53], v[52:53], v[54:55], v[58:59]
	v_div_fixup_f64 v[52:53], v[52:53], v[40:41], 1.0
	v_mul_f64 v[24:25], v[24:25], v[52:53]
	v_lshlrev_b64 v[52:53], 3, v[0:1]
	v_lshl_add_u64 v[54:55], s[6:7], 0, v[52:53]
	global_load_dwordx2 v[54:55], v[54:55], off
	v_min_f64 v[24:25], v[24:25], s[0:1]
	v_lshl_add_u64 v[52:53], s[8:9], 0, v[52:53]
	v_add_u32_e32 v0, s3, v0
	s_mul_i32 s3, s2, 0xffffffdd
	s_waitcnt vmcnt(0)
	v_mul_f64 v[24:25], v[54:55], v[24:25]
	global_store_dwordx2 v[52:53], v[24:25], off
	v_lshl_add_u64 v[24:25], v[0:1], 3, s[10:11]
	global_load_dwordx2 v[52:53], v[24:25], off
	s_waitcnt vmcnt(0)
	v_mul_f64 v[52:53], v[38:39], v[52:53]
	v_div_scale_f64 v[54:55], s[12:13], v[52:53], v[52:53], 1.0
	v_rcp_f64_e32 v[56:57], v[54:55]
	v_mul_f64 v[38:39], v[38:39], v[42:43]
	v_div_scale_f64 v[42:43], s[12:13], v[38:39], v[38:39], 1.0
	v_fma_f64 v[58:59], -v[54:55], v[56:57], 1.0
	v_fmac_f64_e32 v[56:57], v[56:57], v[58:59]
	v_fma_f64 v[58:59], -v[54:55], v[56:57], 1.0
	v_fmac_f64_e32 v[56:57], v[56:57], v[58:59]
	v_div_scale_f64 v[58:59], vcc, 1.0, v[52:53], 1.0
	v_mul_f64 v[60:61], v[58:59], v[56:57]
	v_fma_f64 v[54:55], -v[54:55], v[60:61], v[58:59]
	s_nop 1
	v_div_fmas_f64 v[54:55], v[54:55], v[56:57], v[60:61]
	v_div_fixup_f64 v[52:53], v[54:55], v[52:53], 1.0
	v_mul_f64 v[48:49], v[48:49], v[52:53]
	v_mad_u64_u32 v[52:53], s[12:13], s2, 26, v[0:1]
	v_mov_b32_e32 v53, v1
	v_lshlrev_b64 v[54:55], 3, v[52:53]
	v_lshl_add_u64 v[56:57], s[6:7], 0, v[54:55]
	global_load_dwordx2 v[56:57], v[56:57], off
	v_min_f64 v[48:49], v[48:49], s[0:1]
	v_lshl_add_u64 v[54:55], s[8:9], 0, v[54:55]
	v_add_u32_e32 v0, s2, v52
	s_waitcnt vmcnt(0)
	v_mul_f64 v[48:49], v[56:57], v[48:49]
	global_store_dwordx2 v[54:55], v[48:49], off
	v_rcp_f64_e32 v[48:49], v[42:43]
	s_nop 0
	v_fma_f64 v[54:55], -v[42:43], v[48:49], 1.0
	v_fmac_f64_e32 v[48:49], v[48:49], v[54:55]
	v_fma_f64 v[54:55], -v[42:43], v[48:49], 1.0
	v_fmac_f64_e32 v[48:49], v[48:49], v[54:55]
	v_div_scale_f64 v[54:55], vcc, 1.0, v[38:39], 1.0
	v_mul_f64 v[56:57], v[54:55], v[48:49]
	v_fma_f64 v[42:43], -v[42:43], v[56:57], v[54:55]
	s_nop 1
	v_div_fmas_f64 v[42:43], v[42:43], v[48:49], v[56:57]
	v_div_fixup_f64 v[38:39], v[42:43], v[38:39], 1.0
	v_mul_f64 v[28:29], v[38:39], v[28:29]
	v_lshlrev_b64 v[38:39], 3, v[0:1]
	v_lshl_add_u64 v[42:43], s[6:7], 0, v[38:39]
	global_load_dwordx2 v[42:43], v[42:43], off
	v_min_f64 v[28:29], v[28:29], s[0:1]
	v_lshl_add_u64 v[38:39], s[8:9], 0, v[38:39]
	v_add_u32_e32 v0, s2, v0
	s_waitcnt vmcnt(0)
	v_mul_f64 v[28:29], v[28:29], v[42:43]
	global_store_dwordx2 v[38:39], v[28:29], off
	v_div_scale_f64 v[38:39], s[12:13], v[26:27], v[26:27], 1.0
	v_rcp_f64_e32 v[42:43], v[38:39]
	v_mul_f64 v[28:29], v[44:45], v[46:47]
	v_fma_f64 v[44:45], -v[38:39], v[42:43], 1.0
	v_fmac_f64_e32 v[42:43], v[42:43], v[44:45]
	v_fma_f64 v[44:45], -v[38:39], v[42:43], 1.0
	v_fmac_f64_e32 v[42:43], v[42:43], v[44:45]
	v_div_scale_f64 v[44:45], vcc, 1.0, v[26:27], 1.0
	v_mul_f64 v[48:49], v[44:45], v[42:43]
	v_fma_f64 v[38:39], -v[38:39], v[48:49], v[44:45]
	s_nop 1
	v_div_fmas_f64 v[38:39], v[38:39], v[42:43], v[48:49]
	v_div_fixup_f64 v[26:27], v[38:39], v[26:27], 1.0
	v_mul_f64 v[26:27], v[28:29], v[26:27]
	v_lshlrev_b64 v[28:29], 3, v[0:1]
	v_lshl_add_u64 v[38:39], s[6:7], 0, v[28:29]
	global_load_dwordx2 v[38:39], v[38:39], off
	v_min_f64 v[26:27], v[26:27], s[0:1]
	v_lshl_add_u64 v[28:29], s[8:9], 0, v[28:29]
	v_add_u32_e32 v0, s5, v0
	s_waitcnt vmcnt(0)
	v_mul_f64 v[26:27], v[26:27], v[38:39]
	global_store_dwordx2 v[28:29], v[26:27], off
	v_lshl_add_u64 v[28:29], v[0:1], 3, s[10:11]
	global_load_dwordx2 v[28:29], v[28:29], off
	v_mul_f64 v[26:27], v[30:31], v[46:47]
	v_mul_f64 v[26:27], v[6:7], v[26:27]
	v_add_u32_e32 v0, s4, v0
	s_waitcnt vmcnt(0)
	v_div_scale_f64 v[38:39], s[12:13], v[28:29], v[28:29], 1.0
	v_rcp_f64_e32 v[42:43], v[38:39]
	s_nop 0
	v_fma_f64 v[44:45], -v[38:39], v[42:43], 1.0
	v_fmac_f64_e32 v[42:43], v[42:43], v[44:45]
	v_fma_f64 v[44:45], -v[38:39], v[42:43], 1.0
	v_fmac_f64_e32 v[42:43], v[42:43], v[44:45]
	v_div_scale_f64 v[44:45], vcc, 1.0, v[28:29], 1.0
	v_mul_f64 v[48:49], v[44:45], v[42:43]
	v_fma_f64 v[38:39], -v[38:39], v[48:49], v[44:45]
	s_nop 1
	v_div_fmas_f64 v[38:39], v[38:39], v[42:43], v[48:49]
	v_div_fixup_f64 v[28:29], v[38:39], v[28:29], 1.0
	v_mul_f64 v[26:27], v[26:27], v[28:29]
	v_lshlrev_b64 v[28:29], 3, v[0:1]
	v_lshl_add_u64 v[38:39], s[6:7], 0, v[28:29]
	global_load_dwordx2 v[38:39], v[38:39], off
	v_min_f64 v[26:27], v[26:27], s[0:1]
	v_lshl_add_u64 v[28:29], s[8:9], 0, v[28:29]
	v_add_u32_e32 v0, s2, v0
	s_waitcnt vmcnt(0)
	v_mul_f64 v[26:27], v[38:39], v[26:27]
	global_store_dwordx2 v[28:29], v[26:27], off
	v_mul_f64 v[28:29], v[30:31], v[50:51]
	v_div_scale_f64 v[30:31], s[4:5], v[28:29], v[28:29], 1.0
	v_mul_f64 v[26:27], v[32:33], v[46:47]
	v_rcp_f64_e32 v[32:33], v[30:31]
	s_nop 0
	v_fma_f64 v[38:39], -v[30:31], v[32:33], 1.0
	v_fmac_f64_e32 v[32:33], v[32:33], v[38:39]
	v_fma_f64 v[38:39], -v[30:31], v[32:33], 1.0
	v_fmac_f64_e32 v[32:33], v[32:33], v[38:39]
	v_div_scale_f64 v[38:39], vcc, 1.0, v[28:29], 1.0
	v_mul_f64 v[42:43], v[38:39], v[32:33]
	v_fma_f64 v[30:31], -v[30:31], v[42:43], v[38:39]
	s_nop 1
	v_div_fmas_f64 v[30:31], v[30:31], v[32:33], v[42:43]
	v_div_fixup_f64 v[28:29], v[30:31], v[28:29], 1.0
	v_mul_f64 v[26:27], v[26:27], v[28:29]
	v_lshlrev_b64 v[28:29], 3, v[0:1]
	v_lshl_add_u64 v[30:31], s[6:7], 0, v[28:29]
	global_load_dwordx2 v[30:31], v[30:31], off
	v_min_f64 v[26:27], v[26:27], s[0:1]
	v_lshl_add_u64 v[28:29], s[8:9], 0, v[28:29]
	v_add_u32_e32 v0, s2, v0
	s_waitcnt vmcnt(0)
	v_mul_f64 v[26:27], v[26:27], v[30:31]
	global_store_dwordx2 v[28:29], v[26:27], off
	v_lshlrev_b64 v[28:29], 3, v[0:1]
	v_lshl_add_u64 v[30:31], s[6:7], 0, v[28:29]
	global_load_dwordx2 v[30:31], v[30:31], off
	v_mul_f64 v[26:27], v[6:7], v[40:41]
	v_mul_f64 v[26:27], v[36:37], v[26:27]
	v_min_f64 v[26:27], v[26:27], s[0:1]
	v_lshl_add_u64 v[28:29], s[8:9], 0, v[28:29]
	v_add_u32_e32 v0, s2, v0
	s_waitcnt vmcnt(0)
	v_mul_f64 v[26:27], v[26:27], v[30:31]
	global_store_dwordx2 v[28:29], v[26:27], off
	v_div_scale_f64 v[26:27], s[4:5], v[34:35], v[34:35], 1.0
	v_rcp_f64_e32 v[28:29], v[26:27]
	s_nop 0
	v_fma_f64 v[30:31], -v[26:27], v[28:29], 1.0
	v_fmac_f64_e32 v[28:29], v[28:29], v[30:31]
	v_fma_f64 v[30:31], -v[26:27], v[28:29], 1.0
	v_fmac_f64_e32 v[28:29], v[28:29], v[30:31]
	v_div_scale_f64 v[30:31], vcc, 1.0, v[34:35], 1.0
	v_mul_f64 v[32:33], v[30:31], v[28:29]
	v_fma_f64 v[26:27], -v[26:27], v[32:33], v[30:31]
	s_nop 1
	v_div_fmas_f64 v[26:27], v[26:27], v[28:29], v[32:33]
	v_lshlrev_b64 v[28:29], 3, v[0:1]
	v_lshl_add_u64 v[30:31], s[6:7], 0, v[28:29]
	global_load_dwordx2 v[30:31], v[30:31], off
	v_div_fixup_f64 v[26:27], v[26:27], v[34:35], 1.0
	v_mul_f64 v[26:27], v[26:27], v[40:41]
	v_min_f64 v[26:27], v[26:27], s[0:1]
	v_lshl_add_u64 v[28:29], s[8:9], 0, v[28:29]
	v_add_u32_e32 v0, s2, v0
	s_waitcnt vmcnt(0)
	v_mul_f64 v[26:27], v[26:27], v[30:31]
	global_store_dwordx2 v[28:29], v[26:27], off
	global_load_dwordx2 v[26:27], v[2:3], off
	s_nop 0
	global_load_dwordx2 v[28:29], v[4:5], off
	global_load_dwordx2 v[30:31], v[10:11], off
	;; [unrolled: 1-line block ×3, first 2 shown]
	s_waitcnt vmcnt(2)
	v_mul_f64 v[26:27], v[26:27], v[28:29]
	s_waitcnt vmcnt(0)
	v_mul_f64 v[10:11], v[30:31], v[32:33]
	v_div_scale_f64 v[18:19], s[4:5], v[10:11], v[10:11], 1.0
	v_rcp_f64_e32 v[34:35], v[18:19]
	s_nop 0
	v_fma_f64 v[36:37], -v[18:19], v[34:35], 1.0
	v_fmac_f64_e32 v[34:35], v[34:35], v[36:37]
	v_fma_f64 v[36:37], -v[18:19], v[34:35], 1.0
	v_fmac_f64_e32 v[34:35], v[34:35], v[36:37]
	v_div_scale_f64 v[36:37], vcc, 1.0, v[10:11], 1.0
	v_mul_f64 v[38:39], v[36:37], v[34:35]
	v_fma_f64 v[18:19], -v[18:19], v[38:39], v[36:37]
	s_nop 1
	v_div_fmas_f64 v[18:19], v[18:19], v[34:35], v[38:39]
	v_div_fixup_f64 v[10:11], v[18:19], v[10:11], 1.0
	v_lshlrev_b64 v[18:19], 3, v[0:1]
	v_lshl_add_u64 v[34:35], s[6:7], 0, v[18:19]
	global_load_dwordx2 v[34:35], v[34:35], off
	v_mul_f64 v[10:11], v[26:27], v[10:11]
	v_min_f64 v[10:11], v[10:11], s[0:1]
	v_lshl_add_u64 v[18:19], s[8:9], 0, v[18:19]
	v_add_u32_e32 v0, s2, v0
	s_waitcnt vmcnt(0)
	v_mul_f64 v[10:11], v[34:35], v[10:11]
	global_store_dwordx2 v[18:19], v[10:11], off
	global_load_dwordx2 v[10:11], v[22:23], off
	s_nop 0
	global_load_dwordx2 v[18:19], v[16:17], off
	s_waitcnt vmcnt(0)
	v_mul_f64 v[16:17], v[10:11], v[18:19]
	v_div_scale_f64 v[18:19], s[4:5], v[16:17], v[16:17], 1.0
	v_rcp_f64_e32 v[22:23], v[18:19]
	global_load_dwordx2 v[12:13], v[12:13], off
	v_fma_f64 v[34:35], -v[18:19], v[22:23], 1.0
	v_fmac_f64_e32 v[22:23], v[22:23], v[34:35]
	v_fma_f64 v[34:35], -v[18:19], v[22:23], 1.0
	v_fmac_f64_e32 v[22:23], v[22:23], v[34:35]
	v_div_scale_f64 v[34:35], vcc, 1.0, v[16:17], 1.0
	v_mul_f64 v[36:37], v[34:35], v[22:23]
	v_fma_f64 v[18:19], -v[18:19], v[36:37], v[34:35]
	global_load_dwordx2 v[8:9], v[8:9], off
	s_nop 0
	v_div_fmas_f64 v[18:19], v[18:19], v[22:23], v[36:37]
	v_div_fixup_f64 v[16:17], v[18:19], v[16:17], 1.0
	v_lshlrev_b64 v[18:19], 3, v[0:1]
	v_lshl_add_u64 v[22:23], s[6:7], 0, v[18:19]
	global_load_dwordx2 v[22:23], v[22:23], off
	v_mul_f64 v[16:17], v[26:27], v[16:17]
	v_min_f64 v[16:17], v[16:17], s[0:1]
	v_lshl_add_u64 v[18:19], s[8:9], 0, v[18:19]
	v_add_u32_e32 v0, s2, v0
	global_load_dwordx2 v[2:3], v[2:3], off
	s_waitcnt vmcnt(3)
	v_mul_f64 v[12:13], v[12:13], v[32:33]
	global_load_dwordx2 v[4:5], v[4:5], off
	s_waitcnt vmcnt(3)
	v_mul_f64 v[8:9], v[8:9], v[32:33]
	s_waitcnt vmcnt(2)
	v_mul_f64 v[16:17], v[22:23], v[16:17]
	global_store_dwordx2 v[18:19], v[16:17], off
	v_div_scale_f64 v[18:19], s[4:5], v[12:13], v[12:13], 1.0
	v_rcp_f64_e32 v[22:23], v[18:19]
	v_mul_f64 v[16:17], v[30:31], v[28:29]
	v_fma_f64 v[26:27], -v[18:19], v[22:23], 1.0
	v_fmac_f64_e32 v[22:23], v[22:23], v[26:27]
	v_fma_f64 v[26:27], -v[18:19], v[22:23], 1.0
	v_fmac_f64_e32 v[22:23], v[22:23], v[26:27]
	v_div_scale_f64 v[26:27], vcc, 1.0, v[12:13], 1.0
	v_mul_f64 v[30:31], v[26:27], v[22:23]
	v_fma_f64 v[18:19], -v[18:19], v[30:31], v[26:27]
	s_waitcnt vmcnt(1)
	v_mul_f64 v[4:5], v[10:11], v[4:5]
	v_div_fmas_f64 v[18:19], v[18:19], v[22:23], v[30:31]
	v_div_fixup_f64 v[12:13], v[18:19], v[12:13], 1.0
	v_mul_f64 v[12:13], v[16:17], v[12:13]
	v_lshlrev_b64 v[16:17], 3, v[0:1]
	v_lshl_add_u64 v[18:19], s[6:7], 0, v[16:17]
	global_load_dwordx2 v[18:19], v[18:19], off
	v_min_f64 v[12:13], v[12:13], s[0:1]
	v_lshl_add_u64 v[16:17], s[8:9], 0, v[16:17]
	v_add_u32_e32 v0, s2, v0
	s_waitcnt vmcnt(0)
	v_mul_f64 v[12:13], v[18:19], v[12:13]
	global_store_dwordx2 v[16:17], v[12:13], off
	v_mul_f64 v[16:17], v[10:11], v[32:33]
	v_div_scale_f64 v[18:19], s[4:5], v[16:17], v[16:17], 1.0
	v_rcp_f64_e32 v[22:23], v[18:19]
	v_mul_f64 v[12:13], v[6:7], v[28:29]
	v_fma_f64 v[26:27], -v[18:19], v[22:23], 1.0
	v_fmac_f64_e32 v[22:23], v[22:23], v[26:27]
	v_fma_f64 v[26:27], -v[18:19], v[22:23], 1.0
	v_fmac_f64_e32 v[22:23], v[22:23], v[26:27]
	v_div_scale_f64 v[26:27], vcc, 1.0, v[16:17], 1.0
	v_mul_f64 v[30:31], v[26:27], v[22:23]
	v_fma_f64 v[18:19], -v[18:19], v[30:31], v[26:27]
	s_nop 1
	v_div_fmas_f64 v[18:19], v[18:19], v[22:23], v[30:31]
	v_div_fixup_f64 v[16:17], v[18:19], v[16:17], 1.0
	v_mul_f64 v[12:13], v[12:13], v[16:17]
	v_lshlrev_b64 v[16:17], 3, v[0:1]
	v_lshl_add_u64 v[18:19], s[6:7], 0, v[16:17]
	global_load_dwordx2 v[18:19], v[18:19], off
	v_min_f64 v[12:13], v[12:13], s[0:1]
	v_lshl_add_u64 v[16:17], s[8:9], 0, v[16:17]
	v_add_u32_e32 v0, s2, v0
	s_waitcnt vmcnt(0)
	v_mul_f64 v[12:13], v[18:19], v[12:13]
	global_store_dwordx2 v[16:17], v[12:13], off
	global_load_dwordx2 v[12:13], v[20:21], off
	v_div_scale_f64 v[16:17], s[4:5], v[8:9], v[8:9], 1.0
	v_rcp_f64_e32 v[18:19], v[16:17]
	s_waitcnt vmcnt(0)
	v_mul_f64 v[12:13], v[12:13], v[28:29]
	v_fma_f64 v[20:21], -v[16:17], v[18:19], 1.0
	v_fmac_f64_e32 v[18:19], v[18:19], v[20:21]
	v_fma_f64 v[20:21], -v[16:17], v[18:19], 1.0
	v_fmac_f64_e32 v[18:19], v[18:19], v[20:21]
	v_div_scale_f64 v[20:21], vcc, 1.0, v[8:9], 1.0
	v_mul_f64 v[22:23], v[20:21], v[18:19]
	v_fma_f64 v[16:17], -v[16:17], v[22:23], v[20:21]
	s_nop 1
	v_div_fmas_f64 v[16:17], v[16:17], v[18:19], v[22:23]
	v_div_fixup_f64 v[8:9], v[16:17], v[8:9], 1.0
	v_mul_f64 v[8:9], v[12:13], v[8:9]
	v_lshlrev_b64 v[12:13], 3, v[0:1]
	v_lshl_add_u64 v[16:17], s[6:7], 0, v[12:13]
	global_load_dwordx2 v[16:17], v[16:17], off
	v_min_f64 v[8:9], v[8:9], s[0:1]
	v_lshl_add_u64 v[12:13], s[8:9], 0, v[12:13]
	v_add_u32_e32 v0, s3, v0
	s_waitcnt vmcnt(0)
	v_mul_f64 v[8:9], v[16:17], v[8:9]
	global_store_dwordx2 v[12:13], v[8:9], off
	global_load_dwordx2 v[8:9], v[24:25], off
	s_waitcnt vmcnt(0)
	v_mul_f64 v[12:13], v[10:11], v[8:9]
	v_mul_f64 v[6:7], v[6:7], v[12:13]
	v_lshl_add_u64 v[12:13], v[0:1], 3, s[10:11]
	global_load_dwordx2 v[12:13], v[12:13], off
	v_mul_f64 v[2:3], v[2:3], v[8:9]
	s_waitcnt vmcnt(0)
	v_div_scale_f64 v[16:17], s[4:5], v[12:13], v[12:13], 1.0
	v_rcp_f64_e32 v[18:19], v[16:17]
	s_nop 0
	v_fma_f64 v[20:21], -v[16:17], v[18:19], 1.0
	v_fmac_f64_e32 v[18:19], v[18:19], v[20:21]
	v_fma_f64 v[20:21], -v[16:17], v[18:19], 1.0
	v_fmac_f64_e32 v[18:19], v[18:19], v[20:21]
	v_div_scale_f64 v[20:21], vcc, 1.0, v[12:13], 1.0
	v_mul_f64 v[22:23], v[20:21], v[18:19]
	v_fma_f64 v[16:17], -v[16:17], v[22:23], v[20:21]
	s_nop 1
	v_div_fmas_f64 v[16:17], v[16:17], v[18:19], v[22:23]
	v_div_fixup_f64 v[16:17], v[16:17], v[12:13], 1.0
	v_mul_f64 v[6:7], v[6:7], v[16:17]
	v_mad_u64_u32 v[16:17], s[4:5], s2, 36, v[0:1]
	v_mov_b32_e32 v17, v1
	v_lshlrev_b64 v[18:19], 3, v[16:17]
	v_lshl_add_u64 v[20:21], s[6:7], 0, v[18:19]
	global_load_dwordx2 v[20:21], v[20:21], off
	v_min_f64 v[6:7], v[6:7], s[0:1]
	v_lshl_add_u64 v[18:19], s[8:9], 0, v[18:19]
	v_mul_f64 v[12:13], v[10:11], v[12:13]
	v_add_u32_e32 v0, s2, v16
	s_waitcnt vmcnt(0)
	v_mul_f64 v[6:7], v[20:21], v[6:7]
	global_store_dwordx2 v[18:19], v[6:7], off
	global_load_dwordx2 v[6:7], v[14:15], off
	v_div_scale_f64 v[14:15], s[4:5], v[12:13], v[12:13], 1.0
	v_rcp_f64_e32 v[18:19], v[14:15]
	s_waitcnt vmcnt(0)
	v_mul_f64 v[6:7], v[6:7], v[8:9]
	v_fma_f64 v[20:21], -v[14:15], v[18:19], 1.0
	v_fmac_f64_e32 v[18:19], v[18:19], v[20:21]
	v_fma_f64 v[20:21], -v[14:15], v[18:19], 1.0
	v_fmac_f64_e32 v[18:19], v[18:19], v[20:21]
	v_div_scale_f64 v[20:21], vcc, 1.0, v[12:13], 1.0
	v_mul_f64 v[22:23], v[20:21], v[18:19]
	v_fma_f64 v[14:15], -v[14:15], v[22:23], v[20:21]
	s_nop 1
	v_div_fmas_f64 v[14:15], v[14:15], v[18:19], v[22:23]
	v_div_fixup_f64 v[12:13], v[14:15], v[12:13], 1.0
	v_mul_f64 v[6:7], v[6:7], v[12:13]
	v_lshlrev_b64 v[12:13], 3, v[0:1]
	v_lshl_add_u64 v[14:15], s[6:7], 0, v[12:13]
	global_load_dwordx2 v[14:15], v[14:15], off
	v_min_f64 v[6:7], v[6:7], s[0:1]
	v_lshl_add_u64 v[12:13], s[8:9], 0, v[12:13]
	v_add_u32_e32 v0, s2, v0
	v_lshlrev_b64 v[0:1], 3, v[0:1]
	s_waitcnt vmcnt(0)
	v_mul_f64 v[6:7], v[14:15], v[6:7]
	global_store_dwordx2 v[12:13], v[6:7], off
	v_div_scale_f64 v[6:7], s[4:5], v[4:5], v[4:5], 1.0
	v_rcp_f64_e32 v[8:9], v[6:7]
	s_nop 0
	v_fma_f64 v[10:11], -v[6:7], v[8:9], 1.0
	v_fmac_f64_e32 v[8:9], v[8:9], v[10:11]
	v_fma_f64 v[10:11], -v[6:7], v[8:9], 1.0
	v_fmac_f64_e32 v[8:9], v[8:9], v[10:11]
	v_div_scale_f64 v[10:11], vcc, 1.0, v[4:5], 1.0
	v_mul_f64 v[12:13], v[10:11], v[8:9]
	v_fma_f64 v[6:7], -v[6:7], v[12:13], v[10:11]
	s_nop 1
	v_div_fmas_f64 v[6:7], v[6:7], v[8:9], v[12:13]
	v_div_fixup_f64 v[4:5], v[6:7], v[4:5], 1.0
	v_mul_f64 v[2:3], v[2:3], v[4:5]
	v_lshl_add_u64 v[4:5], s[6:7], 0, v[0:1]
	global_load_dwordx2 v[4:5], v[4:5], off
	v_min_f64 v[2:3], v[2:3], s[0:1]
	v_lshl_add_u64 v[0:1], s[8:9], 0, v[0:1]
	s_waitcnt vmcnt(0)
	v_mul_f64 v[2:3], v[4:5], v[2:3]
	global_store_dwordx2 v[0:1], v[2:3], off
	s_endpgm
	.section	.rodata,"a",@progbits
	.p2align	6, 0x0
	.amdhsa_kernel _Z12ratt3_kernelIdEvPKT_S2_PS0_S2_S0_
		.amdhsa_group_segment_fixed_size 0
		.amdhsa_private_segment_fixed_size 0
		.amdhsa_kernarg_size 296
		.amdhsa_user_sgpr_count 2
		.amdhsa_user_sgpr_dispatch_ptr 0
		.amdhsa_user_sgpr_queue_ptr 0
		.amdhsa_user_sgpr_kernarg_segment_ptr 1
		.amdhsa_user_sgpr_dispatch_id 0
		.amdhsa_user_sgpr_kernarg_preload_length 0
		.amdhsa_user_sgpr_kernarg_preload_offset 0
		.amdhsa_user_sgpr_private_segment_size 0
		.amdhsa_uses_dynamic_stack 0
		.amdhsa_enable_private_segment 0
		.amdhsa_system_sgpr_workgroup_id_x 1
		.amdhsa_system_sgpr_workgroup_id_y 0
		.amdhsa_system_sgpr_workgroup_id_z 0
		.amdhsa_system_sgpr_workgroup_info 0
		.amdhsa_system_vgpr_workitem_id 0
		.amdhsa_next_free_vgpr 62
		.amdhsa_next_free_sgpr 15
		.amdhsa_accum_offset 64
		.amdhsa_reserve_vcc 1
		.amdhsa_float_round_mode_32 0
		.amdhsa_float_round_mode_16_64 0
		.amdhsa_float_denorm_mode_32 3
		.amdhsa_float_denorm_mode_16_64 3
		.amdhsa_dx10_clamp 1
		.amdhsa_ieee_mode 1
		.amdhsa_fp16_overflow 0
		.amdhsa_tg_split 0
		.amdhsa_exception_fp_ieee_invalid_op 0
		.amdhsa_exception_fp_denorm_src 0
		.amdhsa_exception_fp_ieee_div_zero 0
		.amdhsa_exception_fp_ieee_overflow 0
		.amdhsa_exception_fp_ieee_underflow 0
		.amdhsa_exception_fp_ieee_inexact 0
		.amdhsa_exception_int_div_zero 0
	.end_amdhsa_kernel
	.section	.text._Z12ratt3_kernelIdEvPKT_S2_PS0_S2_S0_,"axG",@progbits,_Z12ratt3_kernelIdEvPKT_S2_PS0_S2_S0_,comdat
.Lfunc_end31:
	.size	_Z12ratt3_kernelIdEvPKT_S2_PS0_S2_S0_, .Lfunc_end31-_Z12ratt3_kernelIdEvPKT_S2_PS0_S2_S0_
                                        ; -- End function
	.set _Z12ratt3_kernelIdEvPKT_S2_PS0_S2_S0_.num_vgpr, 62
	.set _Z12ratt3_kernelIdEvPKT_S2_PS0_S2_S0_.num_agpr, 0
	.set _Z12ratt3_kernelIdEvPKT_S2_PS0_S2_S0_.numbered_sgpr, 15
	.set _Z12ratt3_kernelIdEvPKT_S2_PS0_S2_S0_.num_named_barrier, 0
	.set _Z12ratt3_kernelIdEvPKT_S2_PS0_S2_S0_.private_seg_size, 0
	.set _Z12ratt3_kernelIdEvPKT_S2_PS0_S2_S0_.uses_vcc, 1
	.set _Z12ratt3_kernelIdEvPKT_S2_PS0_S2_S0_.uses_flat_scratch, 0
	.set _Z12ratt3_kernelIdEvPKT_S2_PS0_S2_S0_.has_dyn_sized_stack, 0
	.set _Z12ratt3_kernelIdEvPKT_S2_PS0_S2_S0_.has_recursion, 0
	.set _Z12ratt3_kernelIdEvPKT_S2_PS0_S2_S0_.has_indirect_call, 0
	.section	.AMDGPU.csdata,"",@progbits
; Kernel info:
; codeLenInByte = 4896
; TotalNumSgprs: 21
; NumVgprs: 62
; NumAgprs: 0
; TotalNumVgprs: 62
; ScratchSize: 0
; MemoryBound: 0
; FloatMode: 240
; IeeeMode: 1
; LDSByteSize: 0 bytes/workgroup (compile time only)
; SGPRBlocks: 2
; VGPRBlocks: 7
; NumSGPRsForWavesPerEU: 21
; NumVGPRsForWavesPerEU: 62
; AccumOffset: 64
; Occupancy: 8
; WaveLimiterHint : 0
; COMPUTE_PGM_RSRC2:SCRATCH_EN: 0
; COMPUTE_PGM_RSRC2:USER_SGPR: 2
; COMPUTE_PGM_RSRC2:TRAP_HANDLER: 0
; COMPUTE_PGM_RSRC2:TGID_X_EN: 1
; COMPUTE_PGM_RSRC2:TGID_Y_EN: 0
; COMPUTE_PGM_RSRC2:TGID_Z_EN: 0
; COMPUTE_PGM_RSRC2:TIDIG_COMP_CNT: 0
; COMPUTE_PGM_RSRC3_GFX90A:ACCUM_OFFSET: 15
; COMPUTE_PGM_RSRC3_GFX90A:TG_SPLIT: 0
	.section	.text._Z12ratt4_kernelIdEvPKT_S2_PS0_S2_S0_,"axG",@progbits,_Z12ratt4_kernelIdEvPKT_S2_PS0_S2_S0_,comdat
	.protected	_Z12ratt4_kernelIdEvPKT_S2_PS0_S2_S0_ ; -- Begin function _Z12ratt4_kernelIdEvPKT_S2_PS0_S2_S0_
	.globl	_Z12ratt4_kernelIdEvPKT_S2_PS0_S2_S0_
	.p2align	8
	.type	_Z12ratt4_kernelIdEvPKT_S2_PS0_S2_S0_,@function
_Z12ratt4_kernelIdEvPKT_S2_PS0_S2_S0_:  ; @_Z12ratt4_kernelIdEvPKT_S2_PS0_S2_S0_
; %bb.0:
	s_load_dwordx8 s[4:11], s[0:1], 0x0
	s_load_dwordx2 s[12:13], s[0:1], 0x20
	s_load_dword s3, s[0:1], 0x28
	s_load_dword s14, s[0:1], 0x34
	v_mov_b32_e32 v1, 0
	s_brev_b32 s0, 12
	s_mov_b32 s1, 0x4193d2c6
	s_waitcnt lgkmcnt(0)
	s_and_b32 s14, s14, 0xffff
	s_mul_i32 s2, s2, s14
	v_add_u32_e32 v0, s2, v0
	v_lshlrev_b64 v[20:21], 3, v[0:1]
	v_lshl_add_u64 v[2:3], s[4:5], 0, v[20:21]
	global_load_dwordx2 v[2:3], v[2:3], off
	s_mul_i32 s2, s3, s14
	s_mul_i32 s3, s2, 3
	v_lshl_add_u64 v[20:21], s[10:11], 0, v[20:21]
	s_waitcnt vmcnt(0)
	v_mul_f64 v[2:3], s[12:13], v[2:3]
	v_mul_f64 v[2:3], v[2:3], s[0:1]
	v_div_scale_f64 v[4:5], s[0:1], v[2:3], v[2:3], 1.0
	v_rcp_f64_e32 v[6:7], v[4:5]
	s_mov_b32 s0, 0
	s_mov_b32 s1, 0x412eec04
	s_mul_i32 s12, s2, 0xffffffd1
	v_fma_f64 v[8:9], -v[4:5], v[6:7], 1.0
	v_fmac_f64_e32 v[6:7], v[6:7], v[8:9]
	v_fma_f64 v[8:9], -v[4:5], v[6:7], 1.0
	v_fmac_f64_e32 v[6:7], v[6:7], v[8:9]
	v_div_scale_f64 v[8:9], vcc, 1.0, v[2:3], 1.0
	v_mul_f64 v[10:11], v[8:9], v[6:7]
	v_fma_f64 v[4:5], -v[4:5], v[10:11], v[8:9]
	s_nop 1
	v_div_fmas_f64 v[4:5], v[4:5], v[6:7], v[10:11]
	v_div_fixup_f64 v[2:3], v[4:5], v[2:3], 1.0
	v_add_u32_e32 v4, s3, v0
	v_mov_b32_e32 v5, v1
	v_mul_f64 v[8:9], v[2:3], s[0:1]
	v_lshl_add_u64 v[2:3], v[4:5], 3, s[10:11]
	v_mad_u64_u32 v[4:5], s[0:1], s2, 6, v[4:5]
	v_mov_b32_e32 v5, v1
	v_lshl_add_u64 v[26:27], v[4:5], 3, s[10:11]
	v_mad_u64_u32 v[4:5], s[0:1], s2, -5, v[4:5]
	v_mov_b32_e32 v5, v1
	v_lshl_add_u64 v[6:7], v[4:5], 3, s[10:11]
	v_mad_u64_u32 v[4:5], s[0:1], s2, 11, v[4:5]
	v_mov_b32_e32 v5, v1
	v_lshl_add_u64 v[10:11], v[4:5], 3, s[10:11]
	global_load_dwordx2 v[28:29], v[2:3], off
	global_load_dwordx2 v[24:25], v[26:27], off
	;; [unrolled: 1-line block ×4, first 2 shown]
	v_mad_u64_u32 v[4:5], s[0:1], s2, 35, v[4:5]
	v_mov_b32_e32 v5, v1
	v_lshlrev_b64 v[4:5], 3, v[4:5]
	v_add_u32_e32 v0, s2, v0
	global_load_dwordx2 v[26:27], v[26:27], off
	s_waitcnt vmcnt(3)
	v_mul_f64 v[14:15], v[28:29], v[24:25]
	s_waitcnt vmcnt(1)
	v_mul_f64 v[12:13], v[30:31], v[32:33]
	v_div_scale_f64 v[16:17], s[0:1], v[12:13], v[12:13], 1.0
	v_rcp_f64_e32 v[18:19], v[16:17]
	s_mov_b32 s0, 0x4357691b
	s_mov_b32 s1, 0x479e17b8
	v_fma_f64 v[22:23], -v[16:17], v[18:19], 1.0
	v_fmac_f64_e32 v[18:19], v[18:19], v[22:23]
	v_fma_f64 v[22:23], -v[16:17], v[18:19], 1.0
	v_fmac_f64_e32 v[18:19], v[18:19], v[22:23]
	v_div_scale_f64 v[22:23], vcc, 1.0, v[12:13], 1.0
	v_mul_f64 v[34:35], v[22:23], v[18:19]
	v_fma_f64 v[16:17], -v[16:17], v[34:35], v[22:23]
	s_nop 1
	v_div_fmas_f64 v[16:17], v[16:17], v[18:19], v[34:35]
	v_div_fixup_f64 v[12:13], v[16:17], v[12:13], 1.0
	v_lshl_add_u64 v[16:17], s[6:7], 0, v[4:5]
	global_load_dwordx2 v[16:17], v[16:17], off
	v_mul_f64 v[12:13], v[14:15], v[12:13]
	v_min_f64 v[12:13], v[12:13], s[0:1]
	v_lshl_add_u64 v[4:5], s[8:9], 0, v[4:5]
	v_mad_u64_u32 v[18:19], s[4:5], s2, 13, v[0:1]
	v_mov_b32_e32 v19, v1
	s_waitcnt vmcnt(0)
	v_mul_f64 v[12:13], v[16:17], v[12:13]
	global_store_dwordx2 v[4:5], v[12:13], off
	v_lshl_add_u64 v[12:13], v[0:1], 3, s[10:11]
	global_load_dwordx2 v[34:35], v[12:13], off
	v_lshl_add_u64 v[16:17], v[18:19], 3, s[10:11]
	global_load_dwordx2 v[22:23], v[16:17], off
	s_waitcnt vmcnt(1)
	v_mul_f64 v[4:5], v[34:35], v[34:35]
	v_mul_f64 v[32:33], v[32:33], v[34:35]
	s_waitcnt vmcnt(0)
	v_mul_f64 v[4:5], v[4:5], v[22:23]
	v_mul_f64 v[4:5], v[8:9], v[4:5]
	v_div_scale_f64 v[22:23], s[4:5], v[4:5], v[4:5], 1.0
	v_rcp_f64_e32 v[36:37], v[22:23]
	global_load_dwordx2 v[16:17], v[16:17], off
	v_fma_f64 v[38:39], -v[22:23], v[36:37], 1.0
	v_fmac_f64_e32 v[36:37], v[36:37], v[38:39]
	v_fma_f64 v[38:39], -v[22:23], v[36:37], 1.0
	v_fmac_f64_e32 v[36:37], v[36:37], v[38:39]
	v_div_scale_f64 v[38:39], vcc, 1.0, v[4:5], 1.0
	v_mul_f64 v[40:41], v[38:39], v[36:37]
	v_fma_f64 v[22:23], -v[22:23], v[40:41], v[38:39]
	s_nop 1
	v_div_fmas_f64 v[22:23], v[22:23], v[36:37], v[40:41]
	v_div_fixup_f64 v[4:5], v[22:23], v[4:5], 1.0
	v_mul_f64 v[4:5], v[14:15], v[4:5]
	v_mad_u64_u32 v[14:15], s[4:5], s2, 37, v[18:19]
	v_mov_b32_e32 v15, v1
	v_lshlrev_b64 v[18:19], 3, v[14:15]
	v_lshl_add_u64 v[22:23], s[6:7], 0, v[18:19]
	global_load_dwordx2 v[22:23], v[22:23], off
	v_min_f64 v[4:5], v[4:5], s[0:1]
	s_mul_i32 s4, s2, 0xffffffdd
	v_lshl_add_u64 v[18:19], s[8:9], 0, v[18:19]
	v_add_u32_e32 v0, s4, v14
	s_waitcnt vmcnt(0)
	v_mul_f64 v[4:5], v[22:23], v[4:5]
	global_store_dwordx2 v[18:19], v[4:5], off
	v_lshl_add_u64 v[18:19], v[0:1], 3, s[10:11]
	global_load_dwordx2 v[22:23], v[18:19], off
	v_mul_f64 v[4:5], v[24:25], v[30:31]
	s_waitcnt vmcnt(0)
	v_mul_f64 v[14:15], v[34:35], v[22:23]
	v_div_scale_f64 v[36:37], s[4:5], v[14:15], v[14:15], 1.0
	v_rcp_f64_e32 v[38:39], v[36:37]
	v_mul_f64 v[22:23], v[30:31], v[22:23]
	v_fma_f64 v[40:41], -v[36:37], v[38:39], 1.0
	v_fmac_f64_e32 v[38:39], v[38:39], v[40:41]
	v_fma_f64 v[40:41], -v[36:37], v[38:39], 1.0
	v_fmac_f64_e32 v[38:39], v[38:39], v[40:41]
	v_div_scale_f64 v[40:41], vcc, 1.0, v[14:15], 1.0
	v_mul_f64 v[42:43], v[40:41], v[38:39]
	v_fma_f64 v[36:37], -v[36:37], v[42:43], v[40:41]
	s_nop 1
	v_div_fmas_f64 v[36:37], v[36:37], v[38:39], v[42:43]
	v_div_fixup_f64 v[38:39], v[36:37], v[14:15], 1.0
	v_mad_u64_u32 v[36:37], s[4:5], s2, 36, v[0:1]
	v_mov_b32_e32 v37, v1
	v_lshlrev_b64 v[40:41], 3, v[36:37]
	v_lshl_add_u64 v[42:43], s[6:7], 0, v[40:41]
	global_load_dwordx2 v[42:43], v[42:43], off
	v_mul_f64 v[14:15], v[4:5], v[38:39]
	v_min_f64 v[14:15], v[14:15], s[0:1]
	v_lshl_add_u64 v[40:41], s[8:9], 0, v[40:41]
	v_add_u32_e32 v0, s12, v36
	s_waitcnt vmcnt(0)
	v_mul_f64 v[14:15], v[42:43], v[14:15]
	global_store_dwordx2 v[40:41], v[14:15], off
	v_lshl_add_u64 v[14:15], v[0:1], 3, s[10:11]
	v_add_u32_e32 v0, s3, v0
	v_lshl_add_u64 v[40:41], v[0:1], 3, s[10:11]
	global_load_dwordx2 v[36:37], v[14:15], off
	global_load_dwordx2 v[46:47], v[40:41], off
	s_mul_i32 s3, s2, 48
	s_waitcnt vmcnt(0)
	v_mul_f64 v[40:41], v[36:37], v[46:47]
	v_div_scale_f64 v[42:43], s[4:5], v[40:41], v[40:41], 1.0
	v_rcp_f64_e32 v[44:45], v[42:43]
	s_nop 0
	v_fma_f64 v[48:49], -v[42:43], v[44:45], 1.0
	v_fmac_f64_e32 v[44:45], v[44:45], v[48:49]
	v_fma_f64 v[48:49], -v[42:43], v[44:45], 1.0
	v_fmac_f64_e32 v[44:45], v[44:45], v[48:49]
	v_div_scale_f64 v[48:49], vcc, 1.0, v[40:41], 1.0
	v_mul_f64 v[50:51], v[48:49], v[44:45]
	v_fma_f64 v[42:43], -v[42:43], v[50:51], v[48:49]
	s_nop 1
	v_div_fmas_f64 v[42:43], v[42:43], v[44:45], v[50:51]
	v_div_fixup_f64 v[40:41], v[42:43], v[40:41], 1.0
	v_mul_f64 v[4:5], v[4:5], v[40:41]
	v_mad_u64_u32 v[40:41], s[4:5], s2, 45, v[0:1]
	v_mov_b32_e32 v41, v1
	v_lshlrev_b64 v[42:43], 3, v[40:41]
	v_lshl_add_u64 v[44:45], s[6:7], 0, v[42:43]
	global_load_dwordx2 v[44:45], v[44:45], off
	v_min_f64 v[4:5], v[4:5], s[0:1]
	v_lshl_add_u64 v[42:43], s[8:9], 0, v[42:43]
	v_add_u32_e32 v0, s12, v40
	s_waitcnt vmcnt(0)
	v_mul_f64 v[4:5], v[44:45], v[4:5]
	global_store_dwordx2 v[42:43], v[4:5], off
	v_lshl_add_u64 v[4:5], v[0:1], 3, s[10:11]
	global_load_dwordx2 v[40:41], v[4:5], off
	v_div_scale_f64 v[42:43], s[4:5], v[22:23], v[22:23], 1.0
	v_rcp_f64_e32 v[44:45], v[42:43]
	v_add_u32_e32 v0, s3, v0
	s_mul_i32 s4, s2, 0xffffffd7
	v_fma_f64 v[48:49], -v[42:43], v[44:45], 1.0
	v_fmac_f64_e32 v[44:45], v[44:45], v[48:49]
	v_fma_f64 v[48:49], -v[42:43], v[44:45], 1.0
	v_fmac_f64_e32 v[44:45], v[44:45], v[48:49]
	v_div_scale_f64 v[48:49], vcc, 1.0, v[22:23], 1.0
	v_mul_f64 v[50:51], v[48:49], v[44:45]
	v_fma_f64 v[42:43], -v[42:43], v[50:51], v[48:49]
	s_waitcnt vmcnt(0)
	v_mul_f64 v[40:41], v[24:25], v[40:41]
	v_div_fmas_f64 v[42:43], v[42:43], v[44:45], v[50:51]
	v_div_fixup_f64 v[22:23], v[42:43], v[22:23], 1.0
	v_mul_f64 v[22:23], v[22:23], v[40:41]
	v_lshlrev_b64 v[40:41], 3, v[0:1]
	v_lshl_add_u64 v[42:43], s[6:7], 0, v[40:41]
	global_load_dwordx2 v[42:43], v[42:43], off
	v_add_u32_e32 v0, s4, v0
	v_min_f64 v[22:23], v[22:23], s[0:1]
	v_mad_u64_u32 v[44:45], s[4:5], s2, 12, v[0:1]
	v_lshl_add_u64 v[40:41], s[8:9], 0, v[40:41]
	v_mov_b32_e32 v45, v1
	v_lshl_add_u64 v[48:49], v[44:45], 3, s[10:11]
	v_mad_u64_u32 v[44:45], s[4:5], s2, 30, v[44:45]
	v_mov_b32_e32 v45, v1
	global_load_dwordx2 v[48:49], v[48:49], off
	s_waitcnt vmcnt(1)
	v_mul_f64 v[22:23], v[42:43], v[22:23]
	global_store_dwordx2 v[40:41], v[22:23], off
	v_lshl_add_u64 v[22:23], v[0:1], 3, s[10:11]
	global_load_dwordx2 v[40:41], v[22:23], off
	s_waitcnt vmcnt(2)
	v_div_scale_f64 v[50:51], s[4:5], v[48:49], v[48:49], 1.0
	v_rcp_f64_e32 v[52:53], v[50:51]
	s_mul_i32 s4, s2, 0xffffffdb
	v_add_u32_e32 v0, s4, v44
	v_fma_f64 v[54:55], -v[50:51], v[52:53], 1.0
	v_fmac_f64_e32 v[52:53], v[52:53], v[54:55]
	v_fma_f64 v[54:55], -v[50:51], v[52:53], 1.0
	v_fmac_f64_e32 v[52:53], v[52:53], v[54:55]
	v_div_scale_f64 v[54:55], vcc, 1.0, v[48:49], 1.0
	v_mul_f64 v[56:57], v[54:55], v[52:53]
	v_fma_f64 v[50:51], -v[50:51], v[56:57], v[54:55]
	s_waitcnt vmcnt(0)
	v_mul_f64 v[42:43], v[24:25], v[40:41]
	v_div_fmas_f64 v[50:51], v[50:51], v[52:53], v[56:57]
	v_mul_f64 v[42:43], v[8:9], v[42:43]
	v_div_fixup_f64 v[48:49], v[50:51], v[48:49], 1.0
	v_mul_f64 v[42:43], v[42:43], v[48:49]
	v_lshlrev_b64 v[48:49], 3, v[44:45]
	v_lshl_add_u64 v[50:51], s[6:7], 0, v[48:49]
	global_load_dwordx2 v[50:51], v[50:51], off
	v_lshl_add_u64 v[44:45], v[0:1], 3, s[10:11]
	global_load_dwordx2 v[44:45], v[44:45], off
	v_min_f64 v[42:43], v[42:43], s[0:1]
	v_lshl_add_u64 v[48:49], s[8:9], 0, v[48:49]
	s_waitcnt vmcnt(1)
	v_mul_f64 v[42:43], v[50:51], v[42:43]
	global_store_dwordx2 v[48:49], v[42:43], off
	s_waitcnt vmcnt(1)
	v_mul_f64 v[48:49], v[34:35], v[44:45]
	v_div_scale_f64 v[50:51], s[4:5], v[48:49], v[48:49], 1.0
	v_rcp_f64_e32 v[52:53], v[50:51]
	v_mul_f64 v[42:43], v[24:25], v[46:47]
	v_fma_f64 v[54:55], -v[50:51], v[52:53], 1.0
	v_fmac_f64_e32 v[52:53], v[52:53], v[54:55]
	v_fma_f64 v[54:55], -v[50:51], v[52:53], 1.0
	v_fmac_f64_e32 v[52:53], v[52:53], v[54:55]
	v_div_scale_f64 v[54:55], vcc, 1.0, v[48:49], 1.0
	v_mul_f64 v[56:57], v[54:55], v[52:53]
	v_fma_f64 v[50:51], -v[50:51], v[56:57], v[54:55]
	s_nop 1
	v_div_fmas_f64 v[50:51], v[50:51], v[52:53], v[56:57]
	v_div_fixup_f64 v[48:49], v[50:51], v[48:49], 1.0
	v_mad_u64_u32 v[50:51], s[4:5], s2, 38, v[0:1]
	v_mov_b32_e32 v51, v1
	v_mul_f64 v[42:43], v[42:43], v[48:49]
	v_lshlrev_b64 v[48:49], 3, v[50:51]
	v_lshl_add_u64 v[52:53], s[6:7], 0, v[48:49]
	global_load_dwordx2 v[52:53], v[52:53], off
	v_min_f64 v[42:43], v[42:43], s[0:1]
	v_lshl_add_u64 v[48:49], s[8:9], 0, v[48:49]
	v_add_u32_e32 v0, s2, v50
	s_waitcnt vmcnt(0)
	v_mul_f64 v[42:43], v[52:53], v[42:43]
	global_store_dwordx2 v[48:49], v[42:43], off
	global_load_dwordx2 v[48:49], v[20:21], off
	v_mul_f64 v[42:43], v[24:25], v[24:25]
	s_waitcnt vmcnt(0)
	v_mul_f64 v[44:45], v[44:45], v[48:49]
	v_div_scale_f64 v[52:53], s[4:5], v[44:45], v[44:45], 1.0
	v_rcp_f64_e32 v[54:55], v[52:53]
	v_mul_f64 v[46:47], v[46:47], v[48:49]
	v_fma_f64 v[56:57], -v[52:53], v[54:55], 1.0
	v_fmac_f64_e32 v[54:55], v[54:55], v[56:57]
	v_fma_f64 v[56:57], -v[52:53], v[54:55], 1.0
	v_fmac_f64_e32 v[54:55], v[54:55], v[56:57]
	v_div_scale_f64 v[56:57], vcc, 1.0, v[44:45], 1.0
	v_mul_f64 v[58:59], v[56:57], v[54:55]
	v_fma_f64 v[52:53], -v[52:53], v[58:59], v[56:57]
	s_nop 1
	v_div_fmas_f64 v[52:53], v[52:53], v[54:55], v[58:59]
	v_div_fixup_f64 v[44:45], v[52:53], v[44:45], 1.0
	v_mul_f64 v[42:43], v[42:43], v[44:45]
	v_lshlrev_b64 v[44:45], 3, v[0:1]
	v_lshl_add_u64 v[50:51], s[6:7], 0, v[44:45]
	global_load_dwordx2 v[50:51], v[50:51], off
	v_min_f64 v[42:43], v[42:43], s[0:1]
	v_lshl_add_u64 v[44:45], s[8:9], 0, v[44:45]
	v_add_u32_e32 v0, s12, v0
	s_waitcnt vmcnt(0)
	v_mul_f64 v[42:43], v[50:51], v[42:43]
	v_div_scale_f64 v[50:51], s[4:5], v[24:25], v[24:25], 1.0
	v_rcp_f64_e32 v[52:53], v[50:51]
	global_store_dwordx2 v[44:45], v[42:43], off
	v_lshl_add_u64 v[42:43], v[0:1], 3, s[10:11]
	v_add_u32_e32 v0, s3, v0
	v_fma_f64 v[54:55], -v[50:51], v[52:53], 1.0
	v_fmac_f64_e32 v[52:53], v[52:53], v[54:55]
	v_fma_f64 v[54:55], -v[50:51], v[52:53], 1.0
	v_fmac_f64_e32 v[52:53], v[52:53], v[54:55]
	v_div_scale_f64 v[54:55], vcc, 1.0, v[24:25], 1.0
	v_mul_f64 v[56:57], v[54:55], v[52:53]
	v_fma_f64 v[50:51], -v[50:51], v[56:57], v[54:55]
	global_load_dwordx2 v[44:45], v[42:43], off
	s_nop 0
	v_div_fmas_f64 v[50:51], v[50:51], v[52:53], v[56:57]
	v_div_fixup_f64 v[24:25], v[50:51], v[24:25], 1.0
	v_lshlrev_b64 v[50:51], 3, v[0:1]
	v_lshl_add_u64 v[52:53], s[6:7], 0, v[50:51]
	global_load_dwordx2 v[52:53], v[52:53], off
	v_lshl_add_u64 v[50:51], s[8:9], 0, v[50:51]
	v_add_u32_e32 v0, s2, v0
	s_mul_i32 s3, s2, 0xffffffc7
	s_waitcnt vmcnt(1)
	v_mul_f64 v[24:25], v[24:25], v[44:45]
	v_min_f64 v[24:25], v[24:25], s[0:1]
	v_mul_f64 v[28:29], v[28:29], v[44:45]
	s_waitcnt vmcnt(0)
	v_mul_f64 v[24:25], v[52:53], v[24:25]
	global_store_dwordx2 v[50:51], v[24:25], off
	v_div_scale_f64 v[50:51], s[4:5], v[46:47], v[46:47], 1.0
	v_rcp_f64_e32 v[52:53], v[50:51]
	v_mul_f64 v[24:25], v[34:35], v[44:45]
	v_fma_f64 v[54:55], -v[50:51], v[52:53], 1.0
	v_fmac_f64_e32 v[52:53], v[52:53], v[54:55]
	v_fma_f64 v[54:55], -v[50:51], v[52:53], 1.0
	v_fmac_f64_e32 v[52:53], v[52:53], v[54:55]
	v_div_scale_f64 v[54:55], vcc, 1.0, v[46:47], 1.0
	v_mul_f64 v[56:57], v[54:55], v[52:53]
	v_fma_f64 v[50:51], -v[50:51], v[56:57], v[54:55]
	s_nop 1
	v_div_fmas_f64 v[50:51], v[50:51], v[52:53], v[56:57]
	v_div_fixup_f64 v[46:47], v[50:51], v[46:47], 1.0
	v_mul_f64 v[24:25], v[46:47], v[24:25]
	v_lshlrev_b64 v[46:47], 3, v[0:1]
	v_lshl_add_u64 v[50:51], s[6:7], 0, v[46:47]
	global_load_dwordx2 v[50:51], v[50:51], off
	v_min_f64 v[24:25], v[24:25], s[0:1]
	v_lshl_add_u64 v[46:47], s[8:9], 0, v[46:47]
	v_add_u32_e32 v0, s3, v0
	s_mul_i32 s3, s2, 0xffffffcd
	s_waitcnt vmcnt(0)
	v_mul_f64 v[24:25], v[50:51], v[24:25]
	v_mul_f64 v[50:51], v[40:41], v[48:49]
	v_div_scale_f64 v[52:53], s[4:5], v[50:51], v[50:51], 1.0
	v_rcp_f64_e32 v[54:55], v[52:53]
	global_store_dwordx2 v[46:47], v[24:25], off
	v_lshl_add_u64 v[24:25], v[0:1], 3, s[10:11]
	global_load_dwordx2 v[46:47], v[24:25], off
	v_fma_f64 v[56:57], -v[52:53], v[54:55], 1.0
	v_fmac_f64_e32 v[54:55], v[54:55], v[56:57]
	v_fma_f64 v[56:57], -v[52:53], v[54:55], 1.0
	v_fmac_f64_e32 v[54:55], v[54:55], v[56:57]
	v_div_scale_f64 v[56:57], vcc, 1.0, v[50:51], 1.0
	v_mul_f64 v[58:59], v[56:57], v[54:55]
	v_fma_f64 v[52:53], -v[52:53], v[58:59], v[56:57]
	s_waitcnt vmcnt(0)
	v_mul_f64 v[46:47], v[44:45], v[46:47]
	v_div_fmas_f64 v[52:53], v[52:53], v[54:55], v[58:59]
	v_div_fixup_f64 v[50:51], v[52:53], v[50:51], 1.0
	v_mad_u64_u32 v[52:53], s[4:5], s2, 58, v[0:1]
	v_mov_b32_e32 v53, v1
	v_lshlrev_b64 v[54:55], 3, v[52:53]
	v_lshl_add_u64 v[56:57], s[6:7], 0, v[54:55]
	global_load_dwordx2 v[56:57], v[56:57], off
	v_mul_f64 v[50:51], v[50:51], v[46:47]
	v_min_f64 v[50:51], v[50:51], s[0:1]
	v_lshl_add_u64 v[54:55], s[8:9], 0, v[54:55]
	v_add_u32_e32 v0, s2, v52
	s_waitcnt vmcnt(0)
	v_mul_f64 v[50:51], v[56:57], v[50:51]
	global_store_dwordx2 v[54:55], v[50:51], off
	v_div_scale_f64 v[50:51], s[4:5], v[32:33], v[32:33], 1.0
	v_rcp_f64_e32 v[54:55], v[50:51]
	s_nop 0
	v_fma_f64 v[56:57], -v[50:51], v[54:55], 1.0
	v_fmac_f64_e32 v[54:55], v[54:55], v[56:57]
	v_fma_f64 v[56:57], -v[50:51], v[54:55], 1.0
	v_fmac_f64_e32 v[54:55], v[54:55], v[56:57]
	v_div_scale_f64 v[56:57], vcc, 1.0, v[32:33], 1.0
	v_mul_f64 v[58:59], v[56:57], v[54:55]
	v_fma_f64 v[50:51], -v[50:51], v[58:59], v[56:57]
	s_nop 1
	v_div_fmas_f64 v[50:51], v[50:51], v[54:55], v[58:59]
	v_div_fixup_f64 v[32:33], v[50:51], v[32:33], 1.0
	v_mul_f64 v[32:33], v[32:33], v[46:47]
	v_lshlrev_b64 v[46:47], 3, v[0:1]
	v_lshl_add_u64 v[50:51], s[6:7], 0, v[46:47]
	global_load_dwordx2 v[50:51], v[50:51], off
	v_min_f64 v[32:33], v[32:33], s[0:1]
	v_lshl_add_u64 v[46:47], s[8:9], 0, v[46:47]
	v_add_u32_e32 v0, s2, v0
	s_waitcnt vmcnt(0)
	v_mul_f64 v[32:33], v[50:51], v[32:33]
	global_store_dwordx2 v[46:47], v[32:33], off
	v_mul_f64 v[32:33], v[30:31], v[44:45]
	v_mul_f64 v[32:33], v[38:39], v[32:33]
	v_lshlrev_b64 v[38:39], 3, v[0:1]
	v_lshl_add_u64 v[46:47], s[6:7], 0, v[38:39]
	global_load_dwordx2 v[46:47], v[46:47], off
	v_min_f64 v[32:33], v[32:33], s[0:1]
	v_lshl_add_u64 v[38:39], s[8:9], 0, v[38:39]
	v_add_u32_e32 v0, s3, v0
	v_mul_f64 v[30:31], v[30:31], v[34:35]
	v_mul_f64 v[30:31], v[30:31], v[40:41]
	;; [unrolled: 1-line block ×3, first 2 shown]
	s_mul_i32 s3, s2, 0xffffffcc
	s_waitcnt vmcnt(0)
	v_mul_f64 v[32:33], v[32:33], v[46:47]
	global_store_dwordx2 v[38:39], v[32:33], off
	v_lshl_add_u64 v[38:39], v[0:1], 3, s[10:11]
	global_load_dwordx2 v[38:39], v[38:39], off
	v_mul_f64 v[32:33], v[48:49], v[44:45]
	s_waitcnt vmcnt(0)
	v_mul_f64 v[38:39], v[34:35], v[38:39]
	v_div_scale_f64 v[46:47], s[4:5], v[38:39], v[38:39], 1.0
	v_rcp_f64_e32 v[48:49], v[46:47]
	s_nop 0
	v_fma_f64 v[50:51], -v[46:47], v[48:49], 1.0
	v_fmac_f64_e32 v[48:49], v[48:49], v[50:51]
	v_fma_f64 v[50:51], -v[46:47], v[48:49], 1.0
	v_fmac_f64_e32 v[48:49], v[48:49], v[50:51]
	v_div_scale_f64 v[50:51], vcc, 1.0, v[38:39], 1.0
	v_mul_f64 v[52:53], v[50:51], v[48:49]
	v_fma_f64 v[46:47], -v[46:47], v[52:53], v[50:51]
	s_nop 1
	v_div_fmas_f64 v[46:47], v[46:47], v[48:49], v[52:53]
	v_div_fixup_f64 v[38:39], v[46:47], v[38:39], 1.0
	v_mul_f64 v[32:33], v[32:33], v[38:39]
	v_mad_u64_u32 v[38:39], s[4:5], s2, 52, v[0:1]
	v_mov_b32_e32 v39, v1
	v_lshlrev_b64 v[46:47], 3, v[38:39]
	v_lshl_add_u64 v[48:49], s[6:7], 0, v[46:47]
	global_load_dwordx2 v[48:49], v[48:49], off
	v_min_f64 v[32:33], v[32:33], s[0:1]
	v_lshl_add_u64 v[46:47], s[8:9], 0, v[46:47]
	v_add_u32_e32 v0, s2, v38
	s_waitcnt vmcnt(0)
	v_mul_f64 v[32:33], v[48:49], v[32:33]
	global_store_dwordx2 v[46:47], v[32:33], off
	v_div_scale_f64 v[32:33], s[4:5], v[30:31], v[30:31], 1.0
	v_rcp_f64_e32 v[34:35], v[32:33]
	s_nop 0
	v_fma_f64 v[46:47], -v[32:33], v[34:35], 1.0
	v_fmac_f64_e32 v[34:35], v[34:35], v[46:47]
	v_fma_f64 v[46:47], -v[32:33], v[34:35], 1.0
	v_fmac_f64_e32 v[34:35], v[34:35], v[46:47]
	v_div_scale_f64 v[46:47], vcc, 1.0, v[30:31], 1.0
	v_mul_f64 v[48:49], v[46:47], v[34:35]
	v_fma_f64 v[32:33], -v[32:33], v[48:49], v[46:47]
	s_nop 1
	v_div_fmas_f64 v[32:33], v[32:33], v[34:35], v[48:49]
	v_div_fixup_f64 v[30:31], v[32:33], v[30:31], 1.0
	v_lshlrev_b64 v[32:33], 3, v[0:1]
	v_lshl_add_u64 v[34:35], s[6:7], 0, v[32:33]
	global_load_dwordx2 v[34:35], v[34:35], off
	v_mul_f64 v[30:31], v[30:31], v[28:29]
	v_min_f64 v[30:31], v[30:31], s[0:1]
	v_lshl_add_u64 v[32:33], s[8:9], 0, v[32:33]
	v_add_u32_e32 v0, s2, v0
	s_waitcnt vmcnt(0)
	v_mul_f64 v[30:31], v[30:31], v[34:35]
	global_store_dwordx2 v[32:33], v[30:31], off
	v_mul_f64 v[30:31], v[36:37], v[40:41]
	v_div_scale_f64 v[32:33], s[4:5], v[30:31], v[30:31], 1.0
	v_rcp_f64_e32 v[34:35], v[32:33]
	s_nop 0
	v_fma_f64 v[36:37], -v[32:33], v[34:35], 1.0
	v_fmac_f64_e32 v[34:35], v[34:35], v[36:37]
	v_fma_f64 v[36:37], -v[32:33], v[34:35], 1.0
	v_fmac_f64_e32 v[34:35], v[34:35], v[36:37]
	v_div_scale_f64 v[36:37], vcc, 1.0, v[30:31], 1.0
	v_mul_f64 v[38:39], v[36:37], v[34:35]
	v_fma_f64 v[32:33], -v[32:33], v[38:39], v[36:37]
	s_nop 1
	v_div_fmas_f64 v[32:33], v[32:33], v[34:35], v[38:39]
	v_div_fixup_f64 v[30:31], v[32:33], v[30:31], 1.0
	v_mul_f64 v[28:29], v[30:31], v[28:29]
	v_lshlrev_b64 v[30:31], 3, v[0:1]
	v_lshl_add_u64 v[32:33], s[6:7], 0, v[30:31]
	global_load_dwordx2 v[32:33], v[32:33], off
	v_min_f64 v[28:29], v[28:29], s[0:1]
	v_lshl_add_u64 v[30:31], s[8:9], 0, v[30:31]
	v_add_u32_e32 v0, s2, v0
	s_waitcnt vmcnt(0)
	v_mul_f64 v[28:29], v[28:29], v[32:33]
	global_store_dwordx2 v[30:31], v[28:29], off
	v_div_scale_f64 v[28:29], s[4:5], v[26:27], v[26:27], 1.0
	v_rcp_f64_e32 v[30:31], v[28:29]
	s_nop 0
	v_fma_f64 v[32:33], -v[28:29], v[30:31], 1.0
	v_fmac_f64_e32 v[30:31], v[30:31], v[32:33]
	v_fma_f64 v[32:33], -v[28:29], v[30:31], 1.0
	v_fmac_f64_e32 v[30:31], v[30:31], v[32:33]
	v_div_scale_f64 v[32:33], vcc, 1.0, v[26:27], 1.0
	v_mul_f64 v[34:35], v[32:33], v[30:31]
	v_fma_f64 v[28:29], -v[28:29], v[34:35], v[32:33]
	s_nop 1
	v_div_fmas_f64 v[28:29], v[28:29], v[30:31], v[34:35]
	v_lshlrev_b64 v[30:31], 3, v[0:1]
	v_lshl_add_u64 v[32:33], s[6:7], 0, v[30:31]
	global_load_dwordx2 v[32:33], v[32:33], off
	v_div_fixup_f64 v[28:29], v[28:29], v[26:27], 1.0
	v_mul_f64 v[26:27], v[44:45], v[28:29]
	v_min_f64 v[26:27], v[26:27], s[0:1]
	v_lshl_add_u64 v[30:31], s[8:9], 0, v[30:31]
	v_add_u32_e32 v0, s2, v0
	s_waitcnt vmcnt(0)
	v_mul_f64 v[26:27], v[32:33], v[26:27]
	global_store_dwordx2 v[30:31], v[26:27], off
	global_load_dwordx2 v[26:27], v[42:43], off
	v_lshlrev_b64 v[30:31], 3, v[0:1]
	v_lshl_add_u64 v[32:33], s[6:7], 0, v[30:31]
	global_load_dwordx2 v[32:33], v[32:33], off
	v_lshl_add_u64 v[30:31], s[8:9], 0, v[30:31]
	v_add_u32_e32 v0, s2, v0
	s_waitcnt vmcnt(1)
	v_mul_f64 v[28:29], v[26:27], v[28:29]
	v_min_f64 v[28:29], v[28:29], s[0:1]
	v_mul_f64 v[26:27], v[26:27], v[16:17]
	s_waitcnt vmcnt(0)
	v_mul_f64 v[32:33], v[32:33], v[28:29]
	global_store_dwordx2 v[30:31], v[32:33], off
	v_lshlrev_b64 v[30:31], 3, v[0:1]
	v_lshl_add_u64 v[32:33], s[6:7], 0, v[30:31]
	global_load_dwordx2 v[32:33], v[32:33], off
	v_lshl_add_u64 v[30:31], s[8:9], 0, v[30:31]
	v_add_u32_e32 v0, s2, v0
	s_waitcnt vmcnt(0)
	v_mul_f64 v[28:29], v[32:33], v[28:29]
	global_store_dwordx2 v[30:31], v[28:29], off
	global_load_dwordx2 v[28:29], v[22:23], off
	s_nop 0
	global_load_dwordx2 v[16:17], v[18:19], off
	s_waitcnt vmcnt(0)
	v_mul_f64 v[18:19], v[28:29], v[16:17]
	v_div_scale_f64 v[22:23], s[4:5], v[18:19], v[18:19], 1.0
	v_rcp_f64_e32 v[28:29], v[22:23]
	global_load_dwordx2 v[12:13], v[12:13], off
	v_fma_f64 v[30:31], -v[22:23], v[28:29], 1.0
	v_fmac_f64_e32 v[28:29], v[28:29], v[30:31]
	v_fma_f64 v[30:31], -v[22:23], v[28:29], 1.0
	v_fmac_f64_e32 v[28:29], v[28:29], v[30:31]
	v_div_scale_f64 v[30:31], vcc, 1.0, v[18:19], 1.0
	v_mul_f64 v[32:33], v[30:31], v[28:29]
	v_fma_f64 v[22:23], -v[22:23], v[32:33], v[30:31]
	s_nop 1
	v_div_fmas_f64 v[22:23], v[22:23], v[28:29], v[32:33]
	v_div_fixup_f64 v[18:19], v[22:23], v[18:19], 1.0
	v_lshlrev_b64 v[22:23], 3, v[0:1]
	v_mul_f64 v[18:19], v[26:27], v[18:19]
	v_lshl_add_u64 v[26:27], s[6:7], 0, v[22:23]
	global_load_dwordx2 v[26:27], v[26:27], off
	v_min_f64 v[18:19], v[18:19], s[0:1]
	v_lshl_add_u64 v[22:23], s[8:9], 0, v[22:23]
	v_add_u32_e32 v0, s3, v0
	s_waitcnt vmcnt(0)
	v_mul_f64 v[18:19], v[26:27], v[18:19]
	global_store_dwordx2 v[22:23], v[18:19], off
	v_lshl_add_u64 v[18:19], v[0:1], 3, s[10:11]
	global_load_dwordx2 v[18:19], v[18:19], off
	v_mul_f64 v[12:13], v[12:13], v[16:17]
	v_mul_f64 v[8:9], v[8:9], v[12:13]
	s_waitcnt vmcnt(0)
	v_div_scale_f64 v[22:23], s[4:5], v[18:19], v[18:19], 1.0
	v_rcp_f64_e32 v[26:27], v[22:23]
	s_nop 0
	v_fma_f64 v[28:29], -v[22:23], v[26:27], 1.0
	v_fmac_f64_e32 v[26:27], v[26:27], v[28:29]
	v_fma_f64 v[28:29], -v[22:23], v[26:27], 1.0
	v_fmac_f64_e32 v[26:27], v[26:27], v[28:29]
	v_div_scale_f64 v[28:29], vcc, 1.0, v[18:19], 1.0
	v_mul_f64 v[30:31], v[28:29], v[26:27]
	v_fma_f64 v[22:23], -v[22:23], v[30:31], v[28:29]
	s_nop 1
	v_div_fmas_f64 v[22:23], v[22:23], v[26:27], v[30:31]
	v_div_fixup_f64 v[18:19], v[22:23], v[18:19], 1.0
	v_mul_f64 v[8:9], v[8:9], v[18:19]
	v_mad_u64_u32 v[18:19], s[4:5], s2, 53, v[0:1]
	v_mov_b32_e32 v19, v1
	v_lshlrev_b64 v[22:23], 3, v[18:19]
	v_lshl_add_u64 v[26:27], s[6:7], 0, v[22:23]
	global_load_dwordx2 v[26:27], v[26:27], off
	v_min_f64 v[8:9], v[8:9], s[0:1]
	v_lshl_add_u64 v[22:23], s[8:9], 0, v[22:23]
	v_add_u32_e32 v0, s2, v18
	s_waitcnt vmcnt(0)
	v_mul_f64 v[8:9], v[26:27], v[8:9]
	global_store_dwordx2 v[22:23], v[8:9], off
	global_load_dwordx2 v[22:23], v[20:21], off
	s_nop 0
	global_load_dwordx2 v[8:9], v[10:11], off
	s_waitcnt vmcnt(0)
	v_mul_f64 v[10:11], v[22:23], v[8:9]
	v_div_scale_f64 v[20:21], s[4:5], v[10:11], v[10:11], 1.0
	v_rcp_f64_e32 v[22:23], v[20:21]
	global_load_dwordx2 v[6:7], v[6:7], off
	v_fma_f64 v[26:27], -v[20:21], v[22:23], 1.0
	v_fmac_f64_e32 v[22:23], v[22:23], v[26:27]
	v_fma_f64 v[26:27], -v[20:21], v[22:23], 1.0
	v_fmac_f64_e32 v[22:23], v[22:23], v[26:27]
	v_div_scale_f64 v[26:27], vcc, 1.0, v[10:11], 1.0
	v_mul_f64 v[28:29], v[26:27], v[22:23]
	v_fma_f64 v[20:21], -v[20:21], v[28:29], v[26:27]
	global_load_dwordx2 v[2:3], v[2:3], off
	s_nop 0
	v_div_fmas_f64 v[20:21], v[20:21], v[22:23], v[28:29]
	v_div_fixup_f64 v[10:11], v[20:21], v[10:11], 1.0
	v_mul_f64 v[10:11], v[12:13], v[10:11]
	v_lshlrev_b64 v[12:13], 3, v[0:1]
	v_lshl_add_u64 v[18:19], s[6:7], 0, v[12:13]
	global_load_dwordx2 v[18:19], v[18:19], off
	v_min_f64 v[10:11], v[10:11], s[0:1]
	v_lshl_add_u64 v[12:13], s[8:9], 0, v[12:13]
	global_load_dwordx2 v[4:5], v[4:5], off
	v_add_u32_e32 v0, s2, v0
	s_waitcnt vmcnt(2)
	v_mul_f64 v[2:3], v[2:3], v[16:17]
	s_waitcnt vmcnt(1)
	v_mul_f64 v[10:11], v[18:19], v[10:11]
	global_store_dwordx2 v[12:13], v[10:11], off
	global_load_dwordx2 v[10:11], v[24:25], off
	v_mul_f64 v[12:13], v[6:7], v[8:9]
	v_div_scale_f64 v[18:19], s[4:5], v[12:13], v[12:13], 1.0
	v_rcp_f64_e32 v[20:21], v[18:19]
	v_mul_f64 v[6:7], v[6:7], v[16:17]
	s_waitcnt vmcnt(2)
	v_mul_f64 v[4:5], v[4:5], v[8:9]
	v_fma_f64 v[22:23], -v[18:19], v[20:21], 1.0
	v_fmac_f64_e32 v[20:21], v[20:21], v[22:23]
	v_fma_f64 v[22:23], -v[18:19], v[20:21], 1.0
	v_fmac_f64_e32 v[20:21], v[20:21], v[22:23]
	v_div_scale_f64 v[22:23], vcc, 1.0, v[12:13], 1.0
	v_mul_f64 v[24:25], v[22:23], v[20:21]
	v_fma_f64 v[18:19], -v[18:19], v[24:25], v[22:23]
	s_waitcnt vmcnt(0)
	v_mul_f64 v[10:11], v[10:11], v[16:17]
	v_div_fmas_f64 v[18:19], v[18:19], v[20:21], v[24:25]
	v_div_fixup_f64 v[12:13], v[18:19], v[12:13], 1.0
	v_mul_f64 v[10:11], v[10:11], v[12:13]
	v_lshlrev_b64 v[12:13], 3, v[0:1]
	v_lshl_add_u64 v[18:19], s[6:7], 0, v[12:13]
	global_load_dwordx2 v[18:19], v[18:19], off
	v_min_f64 v[10:11], v[10:11], s[0:1]
	v_lshl_add_u64 v[12:13], s[8:9], 0, v[12:13]
	v_add_u32_e32 v0, s2, v0
	s_waitcnt vmcnt(0)
	v_mul_f64 v[10:11], v[18:19], v[10:11]
	global_store_dwordx2 v[12:13], v[10:11], off
	global_load_dwordx2 v[10:11], v[14:15], off
	s_waitcnt vmcnt(0)
	v_mul_f64 v[10:11], v[10:11], v[8:9]
	v_div_scale_f64 v[12:13], s[4:5], v[10:11], v[10:11], 1.0
	v_rcp_f64_e32 v[14:15], v[12:13]
	s_nop 0
	v_fma_f64 v[18:19], -v[12:13], v[14:15], 1.0
	v_fmac_f64_e32 v[14:15], v[14:15], v[18:19]
	v_fma_f64 v[18:19], -v[12:13], v[14:15], 1.0
	v_fmac_f64_e32 v[14:15], v[14:15], v[18:19]
	v_div_scale_f64 v[18:19], vcc, 1.0, v[10:11], 1.0
	v_mul_f64 v[20:21], v[18:19], v[14:15]
	v_fma_f64 v[12:13], -v[12:13], v[20:21], v[18:19]
	s_nop 1
	v_div_fmas_f64 v[12:13], v[12:13], v[14:15], v[20:21]
	v_div_fixup_f64 v[10:11], v[12:13], v[10:11], 1.0
	v_mul_f64 v[6:7], v[6:7], v[10:11]
	v_lshlrev_b64 v[10:11], 3, v[0:1]
	v_lshl_add_u64 v[12:13], s[6:7], 0, v[10:11]
	global_load_dwordx2 v[12:13], v[12:13], off
	v_min_f64 v[6:7], v[6:7], s[0:1]
	v_lshl_add_u64 v[10:11], s[8:9], 0, v[10:11]
	v_add_u32_e32 v0, s2, v0
	v_lshlrev_b64 v[0:1], 3, v[0:1]
	s_waitcnt vmcnt(0)
	v_mul_f64 v[6:7], v[12:13], v[6:7]
	global_store_dwordx2 v[10:11], v[6:7], off
	v_div_scale_f64 v[6:7], s[4:5], v[4:5], v[4:5], 1.0
	v_rcp_f64_e32 v[8:9], v[6:7]
	s_nop 0
	v_fma_f64 v[10:11], -v[6:7], v[8:9], 1.0
	v_fmac_f64_e32 v[8:9], v[8:9], v[10:11]
	v_fma_f64 v[10:11], -v[6:7], v[8:9], 1.0
	v_fmac_f64_e32 v[8:9], v[8:9], v[10:11]
	v_div_scale_f64 v[10:11], vcc, 1.0, v[4:5], 1.0
	v_mul_f64 v[12:13], v[10:11], v[8:9]
	v_fma_f64 v[6:7], -v[6:7], v[12:13], v[10:11]
	s_nop 1
	v_div_fmas_f64 v[6:7], v[6:7], v[8:9], v[12:13]
	v_div_fixup_f64 v[4:5], v[6:7], v[4:5], 1.0
	v_mul_f64 v[2:3], v[2:3], v[4:5]
	v_lshl_add_u64 v[4:5], s[6:7], 0, v[0:1]
	global_load_dwordx2 v[4:5], v[4:5], off
	v_min_f64 v[2:3], v[2:3], s[0:1]
	v_lshl_add_u64 v[0:1], s[8:9], 0, v[0:1]
	s_waitcnt vmcnt(0)
	v_mul_f64 v[2:3], v[4:5], v[2:3]
	global_store_dwordx2 v[0:1], v[2:3], off
	s_endpgm
	.section	.rodata,"a",@progbits
	.p2align	6, 0x0
	.amdhsa_kernel _Z12ratt4_kernelIdEvPKT_S2_PS0_S2_S0_
		.amdhsa_group_segment_fixed_size 0
		.amdhsa_private_segment_fixed_size 0
		.amdhsa_kernarg_size 296
		.amdhsa_user_sgpr_count 2
		.amdhsa_user_sgpr_dispatch_ptr 0
		.amdhsa_user_sgpr_queue_ptr 0
		.amdhsa_user_sgpr_kernarg_segment_ptr 1
		.amdhsa_user_sgpr_dispatch_id 0
		.amdhsa_user_sgpr_kernarg_preload_length 0
		.amdhsa_user_sgpr_kernarg_preload_offset 0
		.amdhsa_user_sgpr_private_segment_size 0
		.amdhsa_uses_dynamic_stack 0
		.amdhsa_enable_private_segment 0
		.amdhsa_system_sgpr_workgroup_id_x 1
		.amdhsa_system_sgpr_workgroup_id_y 0
		.amdhsa_system_sgpr_workgroup_id_z 0
		.amdhsa_system_sgpr_workgroup_info 0
		.amdhsa_system_vgpr_workitem_id 0
		.amdhsa_next_free_vgpr 60
		.amdhsa_next_free_sgpr 15
		.amdhsa_accum_offset 60
		.amdhsa_reserve_vcc 1
		.amdhsa_float_round_mode_32 0
		.amdhsa_float_round_mode_16_64 0
		.amdhsa_float_denorm_mode_32 3
		.amdhsa_float_denorm_mode_16_64 3
		.amdhsa_dx10_clamp 1
		.amdhsa_ieee_mode 1
		.amdhsa_fp16_overflow 0
		.amdhsa_tg_split 0
		.amdhsa_exception_fp_ieee_invalid_op 0
		.amdhsa_exception_fp_denorm_src 0
		.amdhsa_exception_fp_ieee_div_zero 0
		.amdhsa_exception_fp_ieee_overflow 0
		.amdhsa_exception_fp_ieee_underflow 0
		.amdhsa_exception_fp_ieee_inexact 0
		.amdhsa_exception_int_div_zero 0
	.end_amdhsa_kernel
	.section	.text._Z12ratt4_kernelIdEvPKT_S2_PS0_S2_S0_,"axG",@progbits,_Z12ratt4_kernelIdEvPKT_S2_PS0_S2_S0_,comdat
.Lfunc_end32:
	.size	_Z12ratt4_kernelIdEvPKT_S2_PS0_S2_S0_, .Lfunc_end32-_Z12ratt4_kernelIdEvPKT_S2_PS0_S2_S0_
                                        ; -- End function
	.set _Z12ratt4_kernelIdEvPKT_S2_PS0_S2_S0_.num_vgpr, 60
	.set _Z12ratt4_kernelIdEvPKT_S2_PS0_S2_S0_.num_agpr, 0
	.set _Z12ratt4_kernelIdEvPKT_S2_PS0_S2_S0_.numbered_sgpr, 15
	.set _Z12ratt4_kernelIdEvPKT_S2_PS0_S2_S0_.num_named_barrier, 0
	.set _Z12ratt4_kernelIdEvPKT_S2_PS0_S2_S0_.private_seg_size, 0
	.set _Z12ratt4_kernelIdEvPKT_S2_PS0_S2_S0_.uses_vcc, 1
	.set _Z12ratt4_kernelIdEvPKT_S2_PS0_S2_S0_.uses_flat_scratch, 0
	.set _Z12ratt4_kernelIdEvPKT_S2_PS0_S2_S0_.has_dyn_sized_stack, 0
	.set _Z12ratt4_kernelIdEvPKT_S2_PS0_S2_S0_.has_recursion, 0
	.set _Z12ratt4_kernelIdEvPKT_S2_PS0_S2_S0_.has_indirect_call, 0
	.section	.AMDGPU.csdata,"",@progbits
; Kernel info:
; codeLenInByte = 4856
; TotalNumSgprs: 21
; NumVgprs: 60
; NumAgprs: 0
; TotalNumVgprs: 60
; ScratchSize: 0
; MemoryBound: 0
; FloatMode: 240
; IeeeMode: 1
; LDSByteSize: 0 bytes/workgroup (compile time only)
; SGPRBlocks: 2
; VGPRBlocks: 7
; NumSGPRsForWavesPerEU: 21
; NumVGPRsForWavesPerEU: 60
; AccumOffset: 60
; Occupancy: 8
; WaveLimiterHint : 0
; COMPUTE_PGM_RSRC2:SCRATCH_EN: 0
; COMPUTE_PGM_RSRC2:USER_SGPR: 2
; COMPUTE_PGM_RSRC2:TRAP_HANDLER: 0
; COMPUTE_PGM_RSRC2:TGID_X_EN: 1
; COMPUTE_PGM_RSRC2:TGID_Y_EN: 0
; COMPUTE_PGM_RSRC2:TGID_Z_EN: 0
; COMPUTE_PGM_RSRC2:TIDIG_COMP_CNT: 0
; COMPUTE_PGM_RSRC3_GFX90A:ACCUM_OFFSET: 14
; COMPUTE_PGM_RSRC3_GFX90A:TG_SPLIT: 0
	.section	.text._Z12ratt5_kernelIdEvPKT_S2_PS0_S2_S0_,"axG",@progbits,_Z12ratt5_kernelIdEvPKT_S2_PS0_S2_S0_,comdat
	.protected	_Z12ratt5_kernelIdEvPKT_S2_PS0_S2_S0_ ; -- Begin function _Z12ratt5_kernelIdEvPKT_S2_PS0_S2_S0_
	.globl	_Z12ratt5_kernelIdEvPKT_S2_PS0_S2_S0_
	.p2align	8
	.type	_Z12ratt5_kernelIdEvPKT_S2_PS0_S2_S0_,@function
_Z12ratt5_kernelIdEvPKT_S2_PS0_S2_S0_:  ; @_Z12ratt5_kernelIdEvPKT_S2_PS0_S2_S0_
; %bb.0:
	s_load_dwordx8 s[4:11], s[0:1], 0x0
	s_load_dwordx2 s[12:13], s[0:1], 0x20
	s_load_dword s3, s[0:1], 0x28
	s_load_dword s14, s[0:1], 0x34
	v_mov_b32_e32 v1, 0
	s_brev_b32 s0, 12
	s_mov_b32 s1, 0x4193d2c6
	s_waitcnt lgkmcnt(0)
	s_and_b32 s14, s14, 0xffff
	s_mul_i32 s2, s2, s14
	v_add_u32_e32 v0, s2, v0
	v_lshlrev_b64 v[14:15], 3, v[0:1]
	v_lshl_add_u64 v[2:3], s[4:5], 0, v[14:15]
	global_load_dwordx2 v[2:3], v[2:3], off
	s_mul_i32 s2, s3, s14
	s_mul_i32 s3, s2, 0xffffffbd
	;; [unrolled: 1-line block ×3, first 2 shown]
	s_waitcnt vmcnt(0)
	v_mul_f64 v[2:3], s[12:13], v[2:3]
	v_mul_f64 v[2:3], v[2:3], s[0:1]
	v_div_scale_f64 v[4:5], s[0:1], v[2:3], v[2:3], 1.0
	v_rcp_f64_e32 v[6:7], v[4:5]
	s_mov_b32 s0, 0
	s_mov_b32 s1, 0x412eec04
	v_fma_f64 v[8:9], -v[4:5], v[6:7], 1.0
	v_fmac_f64_e32 v[6:7], v[6:7], v[8:9]
	v_fma_f64 v[8:9], -v[4:5], v[6:7], 1.0
	v_fmac_f64_e32 v[6:7], v[6:7], v[8:9]
	v_div_scale_f64 v[8:9], vcc, 1.0, v[2:3], 1.0
	v_mul_f64 v[10:11], v[8:9], v[6:7]
	v_fma_f64 v[4:5], -v[4:5], v[10:11], v[8:9]
	s_nop 1
	v_div_fmas_f64 v[4:5], v[4:5], v[6:7], v[10:11]
	v_div_fixup_f64 v[2:3], v[4:5], v[2:3], 1.0
	v_mul_f64 v[2:3], v[2:3], s[0:1]
	v_mad_u64_u32 v[4:5], s[0:1], s2, 6, v[0:1]
	v_mov_b32_e32 v5, v1
	v_lshl_add_u64 v[6:7], v[4:5], 3, s[10:11]
	v_mad_u64_u32 v[4:5], s[0:1], s2, 10, v[4:5]
	v_mov_b32_e32 v5, v1
	global_load_dwordx2 v[24:25], v[6:7], off
	v_lshl_add_u64 v[6:7], v[4:5], 3, s[10:11]
	v_mad_u64_u32 v[4:5], s[0:1], s2, -9, v[4:5]
	v_mov_b32_e32 v5, v1
	v_lshl_add_u64 v[10:11], v[4:5], 3, s[10:11]
	v_lshl_add_u32 v4, s2, 3, v4
	global_load_dwordx2 v[16:17], v[6:7], off
	global_load_dwordx2 v[28:29], v[10:11], off
	v_lshl_add_u64 v[10:11], v[4:5], 3, s[10:11]
	global_load_dwordx2 v[20:21], v[10:11], off
	v_mad_u64_u32 v[4:5], s[0:1], s2, 60, v[4:5]
	v_mov_b32_e32 v5, v1
	v_add_u32_e32 v0, s2, v0
	s_waitcnt vmcnt(2)
	v_mul_f64 v[8:9], v[24:25], v[16:17]
	s_waitcnt vmcnt(0)
	v_mul_f64 v[10:11], v[28:29], v[20:21]
	v_div_scale_f64 v[12:13], s[0:1], v[10:11], v[10:11], 1.0
	v_rcp_f64_e32 v[18:19], v[12:13]
	s_mov_b32 s0, 0x4357691b
	s_mov_b32 s1, 0x479e17b8
	v_fma_f64 v[22:23], -v[12:13], v[18:19], 1.0
	v_fmac_f64_e32 v[18:19], v[18:19], v[22:23]
	v_fma_f64 v[22:23], -v[12:13], v[18:19], 1.0
	v_fmac_f64_e32 v[18:19], v[18:19], v[22:23]
	v_div_scale_f64 v[22:23], vcc, 1.0, v[10:11], 1.0
	v_mul_f64 v[26:27], v[22:23], v[18:19]
	v_fma_f64 v[12:13], -v[12:13], v[26:27], v[22:23]
	s_nop 1
	v_div_fmas_f64 v[12:13], v[12:13], v[18:19], v[26:27]
	v_div_fixup_f64 v[10:11], v[12:13], v[10:11], 1.0
	v_mul_f64 v[8:9], v[8:9], v[10:11]
	v_lshlrev_b64 v[10:11], 3, v[4:5]
	v_lshl_add_u64 v[12:13], s[6:7], 0, v[10:11]
	global_load_dwordx2 v[12:13], v[12:13], off
	v_min_f64 v[8:9], v[8:9], s[0:1]
	v_lshl_add_u64 v[10:11], s[8:9], 0, v[10:11]
	v_add_u32_e32 v4, s3, v4
	v_lshl_add_u64 v[4:5], v[4:5], 3, s[10:11]
	v_lshl_add_u64 v[18:19], v[0:1], 3, s[10:11]
	global_load_dwordx2 v[32:33], v[4:5], off
	global_load_dwordx2 v[22:23], v[18:19], off
	s_mul_i32 s3, s2, 0x41
	s_waitcnt vmcnt(2)
	v_mul_f64 v[8:9], v[12:13], v[8:9]
	global_store_dwordx2 v[10:11], v[8:9], off
	v_mad_u64_u32 v[8:9], s[4:5], s2, 24, v[0:1]
	v_mov_b32_e32 v9, v1
	v_lshl_add_u64 v[10:11], v[8:9], 3, s[10:11]
	global_load_dwordx2 v[10:11], v[10:11], off
	v_mad_u64_u32 v[8:9], s[4:5], s2, 51, v[8:9]
	s_waitcnt vmcnt(3)
	v_mul_f64 v[4:5], v[16:17], v[32:33]
	v_mov_b32_e32 v9, v1
	global_load_dwordx2 v[18:19], v[18:19], off
	s_waitcnt vmcnt(1)
	v_mul_f64 v[10:11], v[22:23], v[10:11]
	v_div_scale_f64 v[12:13], s[4:5], v[10:11], v[10:11], 1.0
	v_rcp_f64_e32 v[26:27], v[12:13]
	s_mul_i32 s5, s2, 0xffffffbf
	v_add_u32_e32 v0, s5, v8
	s_mul_i32 s4, s2, 0xffffffbb
	v_fma_f64 v[30:31], -v[12:13], v[26:27], 1.0
	v_fmac_f64_e32 v[26:27], v[26:27], v[30:31]
	v_fma_f64 v[30:31], -v[12:13], v[26:27], 1.0
	v_fmac_f64_e32 v[26:27], v[26:27], v[30:31]
	v_div_scale_f64 v[30:31], vcc, 1.0, v[10:11], 1.0
	v_mul_f64 v[34:35], v[30:31], v[26:27]
	v_fma_f64 v[12:13], -v[12:13], v[34:35], v[30:31]
	s_nop 1
	v_div_fmas_f64 v[12:13], v[12:13], v[26:27], v[34:35]
	v_div_fixup_f64 v[10:11], v[12:13], v[10:11], 1.0
	v_mul_f64 v[4:5], v[4:5], v[10:11]
	v_lshlrev_b64 v[10:11], 3, v[8:9]
	v_lshl_add_u64 v[26:27], v[0:1], 3, s[10:11]
	v_add_u32_e32 v0, s2, v0
	v_lshl_add_u64 v[12:13], s[6:7], 0, v[10:11]
	v_lshl_add_u64 v[8:9], v[0:1], 3, s[10:11]
	global_load_dwordx2 v[12:13], v[12:13], off
	v_min_f64 v[4:5], v[4:5], s[0:1]
	global_load_dwordx2 v[36:37], v[8:9], off
	global_load_dwordx2 v[30:31], v[26:27], off
	v_lshl_add_u64 v[10:11], s[8:9], 0, v[10:11]
	v_add_u32_e32 v0, s3, v0
	s_mul_i32 s3, s2, 0xffffffb5
	s_waitcnt vmcnt(2)
	v_mul_f64 v[4:5], v[12:13], v[4:5]
	global_store_dwordx2 v[10:11], v[4:5], off
	s_waitcnt vmcnt(2)
	v_div_scale_f64 v[8:9], s[12:13], v[36:37], v[36:37], 1.0
	v_rcp_f64_e32 v[10:11], v[8:9]
	s_waitcnt vmcnt(1)
	v_mul_f64 v[4:5], v[22:23], v[30:31]
	v_mul_f64 v[4:5], v[2:3], v[4:5]
	;; [unrolled: 1-line block ×3, first 2 shown]
	v_fma_f64 v[12:13], -v[8:9], v[10:11], 1.0
	v_fmac_f64_e32 v[10:11], v[10:11], v[12:13]
	v_fma_f64 v[12:13], -v[8:9], v[10:11], 1.0
	v_fmac_f64_e32 v[10:11], v[10:11], v[12:13]
	v_div_scale_f64 v[12:13], vcc, 1.0, v[36:37], 1.0
	v_mul_f64 v[34:35], v[12:13], v[10:11]
	v_fma_f64 v[8:9], -v[8:9], v[34:35], v[12:13]
	s_nop 1
	v_div_fmas_f64 v[8:9], v[8:9], v[10:11], v[34:35]
	v_div_fixup_f64 v[8:9], v[8:9], v[36:37], 1.0
	v_mul_f64 v[4:5], v[4:5], v[8:9]
	v_lshlrev_b64 v[8:9], 3, v[0:1]
	v_lshl_add_u64 v[10:11], s[6:7], 0, v[8:9]
	global_load_dwordx2 v[10:11], v[10:11], off
	v_min_f64 v[4:5], v[4:5], s[0:1]
	v_lshl_add_u64 v[8:9], s[8:9], 0, v[8:9]
	v_add_u32_e32 v0, s3, v0
	s_mul_i32 s3, s2, 0x4c
	s_waitcnt vmcnt(0)
	v_mul_f64 v[4:5], v[10:11], v[4:5]
	global_store_dwordx2 v[8:9], v[4:5], off
	v_lshl_add_u64 v[4:5], v[0:1], 3, s[10:11]
	global_load_dwordx2 v[44:45], v[4:5], off
	v_mul_f64 v[10:11], v[16:17], v[22:23]
	v_div_scale_f64 v[12:13], s[12:13], v[10:11], v[10:11], 1.0
	v_rcp_f64_e32 v[34:35], v[12:13]
	v_add_u32_e32 v0, s3, v0
	s_mul_i32 s3, s2, 0xffffffb6
	v_fma_f64 v[38:39], -v[12:13], v[34:35], 1.0
	v_fmac_f64_e32 v[34:35], v[34:35], v[38:39]
	v_fma_f64 v[38:39], -v[12:13], v[34:35], 1.0
	v_fmac_f64_e32 v[34:35], v[34:35], v[38:39]
	v_div_scale_f64 v[38:39], vcc, 1.0, v[10:11], 1.0
	v_mul_f64 v[40:41], v[38:39], v[34:35]
	v_fma_f64 v[12:13], -v[12:13], v[40:41], v[38:39]
	s_waitcnt vmcnt(0)
	v_mul_f64 v[8:9], v[30:31], v[44:45]
	v_div_fmas_f64 v[12:13], v[12:13], v[34:35], v[40:41]
	v_div_fixup_f64 v[10:11], v[12:13], v[10:11], 1.0
	v_mul_f64 v[8:9], v[10:11], v[8:9]
	v_lshlrev_b64 v[10:11], 3, v[0:1]
	v_lshl_add_u64 v[12:13], s[6:7], 0, v[10:11]
	global_load_dwordx2 v[12:13], v[12:13], off
	v_min_f64 v[8:9], v[8:9], s[0:1]
	v_lshl_add_u64 v[10:11], s[8:9], 0, v[10:11]
	v_add_u32_e32 v0, s3, v0
	s_mul_i32 s3, s2, 0x46
	s_waitcnt vmcnt(0)
	v_mul_f64 v[8:9], v[12:13], v[8:9]
	global_store_dwordx2 v[10:11], v[8:9], off
	v_lshl_add_u64 v[10:11], v[0:1], 3, s[10:11]
	v_add_u32_e32 v0, s2, v0
	v_lshl_add_u64 v[8:9], v[0:1], 3, s[10:11]
	v_lshl_add_u32 v0, s2, 2, v0
	v_lshl_add_u64 v[12:13], v[0:1], 3, s[10:11]
	global_load_dwordx2 v[42:43], v[10:11], off
	global_load_dwordx2 v[40:41], v[12:13], off
	global_load_dwordx2 v[46:47], v[8:9], off
	v_add_u32_e32 v0, s3, v0
	s_waitcnt vmcnt(2)
	v_mul_f64 v[34:35], v[30:31], v[42:43]
	s_waitcnt vmcnt(0)
	v_mul_f64 v[12:13], v[46:47], v[40:41]
	v_div_scale_f64 v[38:39], s[12:13], v[12:13], v[12:13], 1.0
	v_rcp_f64_e32 v[48:49], v[38:39]
	s_nop 0
	v_fma_f64 v[50:51], -v[38:39], v[48:49], 1.0
	v_fmac_f64_e32 v[48:49], v[48:49], v[50:51]
	v_fma_f64 v[50:51], -v[38:39], v[48:49], 1.0
	v_fmac_f64_e32 v[48:49], v[48:49], v[50:51]
	v_div_scale_f64 v[50:51], vcc, 1.0, v[12:13], 1.0
	v_mul_f64 v[52:53], v[50:51], v[48:49]
	v_fma_f64 v[38:39], -v[38:39], v[52:53], v[50:51]
	s_nop 1
	v_div_fmas_f64 v[38:39], v[38:39], v[48:49], v[52:53]
	v_div_fixup_f64 v[12:13], v[38:39], v[12:13], 1.0
	v_lshlrev_b64 v[38:39], 3, v[0:1]
	v_lshl_add_u64 v[48:49], s[6:7], 0, v[38:39]
	global_load_dwordx2 v[48:49], v[48:49], off
	v_mul_f64 v[12:13], v[34:35], v[12:13]
	v_min_f64 v[12:13], v[12:13], s[0:1]
	v_lshl_add_u64 v[38:39], s[8:9], 0, v[38:39]
	v_add_u32_e32 v0, s4, v0
	s_waitcnt vmcnt(0)
	v_mul_f64 v[12:13], v[48:49], v[12:13]
	global_store_dwordx2 v[38:39], v[12:13], off
	v_lshl_add_u64 v[12:13], v[0:1], 3, s[10:11]
	global_load_dwordx2 v[38:39], v[12:13], off
	v_add_u32_e32 v0, s3, v0
	s_waitcnt vmcnt(0)
	v_mul_f64 v[46:47], v[46:47], v[38:39]
	v_div_scale_f64 v[48:49], s[12:13], v[46:47], v[46:47], 1.0
	v_rcp_f64_e32 v[50:51], v[48:49]
	s_mul_i32 s12, s2, 0xffffffb3
	v_fma_f64 v[52:53], -v[48:49], v[50:51], 1.0
	v_fmac_f64_e32 v[50:51], v[50:51], v[52:53]
	v_fma_f64 v[52:53], -v[48:49], v[50:51], 1.0
	v_fmac_f64_e32 v[50:51], v[50:51], v[52:53]
	v_div_scale_f64 v[52:53], vcc, 1.0, v[46:47], 1.0
	v_mul_f64 v[54:55], v[52:53], v[50:51]
	v_fma_f64 v[48:49], -v[48:49], v[54:55], v[52:53]
	s_nop 1
	v_div_fmas_f64 v[48:49], v[48:49], v[50:51], v[54:55]
	v_div_fixup_f64 v[46:47], v[48:49], v[46:47], 1.0
	v_mul_f64 v[34:35], v[34:35], v[46:47]
	v_lshlrev_b64 v[46:47], 3, v[0:1]
	v_lshl_add_u64 v[48:49], s[6:7], 0, v[46:47]
	global_load_dwordx2 v[48:49], v[48:49], off
	v_min_f64 v[34:35], v[34:35], s[0:1]
	v_add_u32_e32 v0, s12, v0
	v_lshl_add_u64 v[46:47], s[8:9], 0, v[46:47]
	v_mad_u64_u32 v[50:51], s[12:13], s2, 14, v[0:1]
	v_mov_b32_e32 v51, v1
	s_waitcnt vmcnt(0)
	v_mul_f64 v[34:35], v[48:49], v[34:35]
	global_store_dwordx2 v[46:47], v[34:35], off
	v_lshl_add_u64 v[34:35], v[0:1], 3, s[10:11]
	global_load_dwordx2 v[46:47], v[34:35], off
	v_lshl_add_u64 v[34:35], v[50:51], 3, s[10:11]
	global_load_dwordx2 v[52:53], v[34:35], off
	v_lshl_add_u32 v0, s2, 6, v50
	v_lshlrev_b64 v[50:51], 3, v[0:1]
	v_add_u32_e32 v0, s2, v0
	s_waitcnt vmcnt(1)
	v_mul_f64 v[48:49], v[30:31], v[46:47]
	v_mul_f64 v[46:47], v[36:37], v[46:47]
	s_waitcnt vmcnt(0)
	v_mul_f64 v[44:45], v[44:45], v[52:53]
	v_div_scale_f64 v[54:55], s[12:13], v[44:45], v[44:45], 1.0
	v_rcp_f64_e32 v[56:57], v[54:55]
	s_nop 0
	v_fma_f64 v[58:59], -v[54:55], v[56:57], 1.0
	v_fmac_f64_e32 v[56:57], v[56:57], v[58:59]
	v_fma_f64 v[58:59], -v[54:55], v[56:57], 1.0
	v_fmac_f64_e32 v[56:57], v[56:57], v[58:59]
	v_div_scale_f64 v[58:59], vcc, 1.0, v[44:45], 1.0
	v_mul_f64 v[60:61], v[58:59], v[56:57]
	v_fma_f64 v[54:55], -v[54:55], v[60:61], v[58:59]
	s_nop 1
	v_div_fmas_f64 v[54:55], v[54:55], v[56:57], v[60:61]
	v_div_fixup_f64 v[44:45], v[54:55], v[44:45], 1.0
	v_lshl_add_u64 v[54:55], s[6:7], 0, v[50:51]
	global_load_dwordx2 v[54:55], v[54:55], off
	v_mul_f64 v[44:45], v[48:49], v[44:45]
	v_min_f64 v[44:45], v[44:45], s[0:1]
	v_lshl_add_u64 v[50:51], s[8:9], 0, v[50:51]
	s_waitcnt vmcnt(0)
	v_mul_f64 v[44:45], v[54:55], v[44:45]
	global_store_dwordx2 v[50:51], v[44:45], off
	v_mul_f64 v[44:45], v[16:17], v[42:43]
	v_div_scale_f64 v[50:51], s[12:13], v[44:45], v[44:45], 1.0
	v_rcp_f64_e32 v[54:55], v[50:51]
	v_mul_f64 v[42:43], v[42:43], v[52:53]
	v_mul_f64 v[16:17], v[16:17], v[30:31]
	v_fma_f64 v[56:57], -v[50:51], v[54:55], 1.0
	v_fmac_f64_e32 v[54:55], v[54:55], v[56:57]
	v_fma_f64 v[56:57], -v[50:51], v[54:55], 1.0
	v_fmac_f64_e32 v[54:55], v[54:55], v[56:57]
	v_div_scale_f64 v[56:57], vcc, 1.0, v[44:45], 1.0
	v_mul_f64 v[58:59], v[56:57], v[54:55]
	v_fma_f64 v[50:51], -v[50:51], v[58:59], v[56:57]
	s_nop 1
	v_div_fmas_f64 v[50:51], v[50:51], v[54:55], v[58:59]
	v_div_fixup_f64 v[44:45], v[50:51], v[44:45], 1.0
	v_mul_f64 v[44:45], v[44:45], v[48:49]
	v_lshlrev_b64 v[48:49], 3, v[0:1]
	v_lshl_add_u64 v[50:51], s[6:7], 0, v[48:49]
	global_load_dwordx2 v[50:51], v[50:51], off
	v_min_f64 v[44:45], v[44:45], s[0:1]
	v_lshl_add_u64 v[48:49], s[8:9], 0, v[48:49]
	v_add_u32_e32 v0, s2, v0
	s_waitcnt vmcnt(0)
	v_mul_f64 v[44:45], v[44:45], v[50:51]
	global_store_dwordx2 v[48:49], v[44:45], off
	v_div_scale_f64 v[48:49], s[12:13], v[46:47], v[46:47], 1.0
	v_rcp_f64_e32 v[50:51], v[48:49]
	v_mul_f64 v[44:45], v[24:25], v[30:31]
	v_mul_f64 v[24:25], v[24:25], v[36:37]
	v_fma_f64 v[54:55], -v[48:49], v[50:51], 1.0
	v_fmac_f64_e32 v[50:51], v[50:51], v[54:55]
	v_fma_f64 v[54:55], -v[48:49], v[50:51], 1.0
	v_fmac_f64_e32 v[50:51], v[50:51], v[54:55]
	v_div_scale_f64 v[54:55], vcc, 1.0, v[46:47], 1.0
	v_mul_f64 v[56:57], v[54:55], v[50:51]
	v_fma_f64 v[48:49], -v[48:49], v[56:57], v[54:55]
	s_nop 1
	v_div_fmas_f64 v[48:49], v[48:49], v[50:51], v[56:57]
	v_div_fixup_f64 v[46:47], v[48:49], v[46:47], 1.0
	v_lshlrev_b64 v[48:49], 3, v[0:1]
	v_lshl_add_u64 v[50:51], s[6:7], 0, v[48:49]
	global_load_dwordx2 v[50:51], v[50:51], off
	v_mul_f64 v[46:47], v[44:45], v[46:47]
	v_min_f64 v[46:47], v[46:47], s[0:1]
	v_lshl_add_u64 v[48:49], s[8:9], 0, v[48:49]
	v_add_u32_e32 v0, s2, v0
	s_waitcnt vmcnt(0)
	v_mul_f64 v[46:47], v[46:47], v[50:51]
	global_store_dwordx2 v[48:49], v[46:47], off
	v_div_scale_f64 v[46:47], s[12:13], v[42:43], v[42:43], 1.0
	v_rcp_f64_e32 v[48:49], v[46:47]
	s_nop 0
	v_fma_f64 v[50:51], -v[46:47], v[48:49], 1.0
	v_fmac_f64_e32 v[48:49], v[48:49], v[50:51]
	v_fma_f64 v[50:51], -v[46:47], v[48:49], 1.0
	v_fmac_f64_e32 v[48:49], v[48:49], v[50:51]
	v_div_scale_f64 v[50:51], vcc, 1.0, v[42:43], 1.0
	v_mul_f64 v[52:53], v[50:51], v[48:49]
	v_fma_f64 v[46:47], -v[46:47], v[52:53], v[50:51]
	s_nop 1
	v_div_fmas_f64 v[46:47], v[46:47], v[48:49], v[52:53]
	v_div_fixup_f64 v[42:43], v[46:47], v[42:43], 1.0
	v_mul_f64 v[42:43], v[44:45], v[42:43]
	v_lshlrev_b64 v[44:45], 3, v[0:1]
	v_lshl_add_u64 v[46:47], s[6:7], 0, v[44:45]
	global_load_dwordx2 v[46:47], v[46:47], off
	v_min_f64 v[42:43], v[42:43], s[0:1]
	v_lshl_add_u64 v[44:45], s[8:9], 0, v[44:45]
	v_add_u32_e32 v0, s2, v0
	s_waitcnt vmcnt(0)
	v_mul_f64 v[42:43], v[42:43], v[46:47]
	global_store_dwordx2 v[44:45], v[42:43], off
	v_div_scale_f64 v[42:43], s[12:13], v[24:25], v[24:25], 1.0
	v_rcp_f64_e32 v[44:45], v[42:43]
	s_nop 0
	v_fma_f64 v[46:47], -v[42:43], v[44:45], 1.0
	v_fmac_f64_e32 v[44:45], v[44:45], v[46:47]
	v_fma_f64 v[46:47], -v[42:43], v[44:45], 1.0
	v_fmac_f64_e32 v[44:45], v[44:45], v[46:47]
	v_div_scale_f64 v[46:47], vcc, 1.0, v[24:25], 1.0
	v_mul_f64 v[48:49], v[46:47], v[44:45]
	v_fma_f64 v[42:43], -v[42:43], v[48:49], v[46:47]
	s_nop 1
	v_div_fmas_f64 v[42:43], v[42:43], v[44:45], v[48:49]
	v_div_fixup_f64 v[24:25], v[42:43], v[24:25], 1.0
	v_mul_f64 v[24:25], v[28:29], v[24:25]
	v_lshlrev_b64 v[28:29], 3, v[0:1]
	v_lshl_add_u64 v[42:43], s[6:7], 0, v[28:29]
	global_load_dwordx2 v[42:43], v[42:43], off
	v_min_f64 v[24:25], v[24:25], s[0:1]
	v_lshl_add_u64 v[28:29], s[8:9], 0, v[28:29]
	v_add_u32_e32 v0, s5, v0
	s_mul_i32 s5, s2, 0x42
	s_waitcnt vmcnt(0)
	v_mul_f64 v[24:25], v[24:25], v[42:43]
	global_store_dwordx2 v[28:29], v[24:25], off
	v_lshl_add_u64 v[28:29], v[0:1], 3, s[10:11]
	global_load_dwordx2 v[28:29], v[28:29], off
	v_mul_f64 v[24:25], v[32:33], v[30:31]
	v_add_u32_e32 v0, s5, v0
	s_mul_i32 s5, s2, 0xffffffb7
	s_waitcnt vmcnt(0)
	v_mul_f64 v[28:29], v[22:23], v[28:29]
	v_div_scale_f64 v[32:33], s[12:13], v[28:29], v[28:29], 1.0
	v_rcp_f64_e32 v[42:43], v[32:33]
	s_nop 0
	v_fma_f64 v[44:45], -v[32:33], v[42:43], 1.0
	v_fmac_f64_e32 v[42:43], v[42:43], v[44:45]
	v_fma_f64 v[44:45], -v[32:33], v[42:43], 1.0
	v_fmac_f64_e32 v[42:43], v[42:43], v[44:45]
	v_div_scale_f64 v[44:45], vcc, 1.0, v[28:29], 1.0
	v_mul_f64 v[46:47], v[44:45], v[42:43]
	v_fma_f64 v[32:33], -v[32:33], v[46:47], v[44:45]
	s_nop 1
	v_div_fmas_f64 v[32:33], v[32:33], v[42:43], v[46:47]
	v_div_fixup_f64 v[28:29], v[32:33], v[28:29], 1.0
	v_mul_f64 v[24:25], v[24:25], v[28:29]
	v_lshlrev_b64 v[28:29], 3, v[0:1]
	v_lshl_add_u64 v[32:33], s[6:7], 0, v[28:29]
	global_load_dwordx2 v[32:33], v[32:33], off
	v_min_f64 v[24:25], v[24:25], s[0:1]
	v_lshl_add_u64 v[28:29], s[8:9], 0, v[28:29]
	v_add_u32_e32 v0, s5, v0
	s_mul_i32 s5, s2, 0x4a
	s_waitcnt vmcnt(0)
	v_mul_f64 v[24:25], v[32:33], v[24:25]
	global_store_dwordx2 v[28:29], v[24:25], off
	v_lshl_add_u64 v[24:25], v[0:1], 3, s[10:11]
	global_load_dwordx2 v[32:33], v[24:25], off
	v_add_u32_e32 v0, s5, v0
	v_mul_f64 v[28:29], v[20:21], v[30:31]
	s_mul_i32 s5, s2, 0xffffffc4
	v_mul_f64 v[20:21], v[20:21], v[36:37]
	s_waitcnt vmcnt(0)
	v_mul_f64 v[32:33], v[36:37], v[32:33]
	v_div_scale_f64 v[42:43], s[12:13], v[32:33], v[32:33], 1.0
	v_rcp_f64_e32 v[44:45], v[42:43]
	s_nop 0
	v_fma_f64 v[46:47], -v[42:43], v[44:45], 1.0
	v_fmac_f64_e32 v[44:45], v[44:45], v[46:47]
	v_fma_f64 v[46:47], -v[42:43], v[44:45], 1.0
	v_fmac_f64_e32 v[44:45], v[44:45], v[46:47]
	v_div_scale_f64 v[46:47], vcc, 1.0, v[32:33], 1.0
	v_mul_f64 v[48:49], v[46:47], v[44:45]
	v_fma_f64 v[42:43], -v[42:43], v[48:49], v[46:47]
	s_nop 1
	v_div_fmas_f64 v[42:43], v[42:43], v[44:45], v[48:49]
	v_div_fixup_f64 v[32:33], v[42:43], v[32:33], 1.0
	v_lshlrev_b64 v[42:43], 3, v[0:1]
	v_lshl_add_u64 v[44:45], s[6:7], 0, v[42:43]
	global_load_dwordx2 v[44:45], v[44:45], off
	v_mul_f64 v[32:33], v[28:29], v[32:33]
	v_min_f64 v[32:33], v[32:33], s[0:1]
	v_lshl_add_u64 v[42:43], s[8:9], 0, v[42:43]
	v_add_u32_e32 v0, s5, v0
	v_mul_f64 v[28:29], v[2:3], v[28:29]
	s_mul_i32 s5, s2, 0xffffffbc
	s_waitcnt vmcnt(0)
	v_mul_f64 v[32:33], v[44:45], v[32:33]
	global_store_dwordx2 v[42:43], v[32:33], off
	v_lshl_add_u64 v[32:33], v[0:1], 3, s[10:11]
	global_load_dwordx2 v[32:33], v[32:33], off
	s_waitcnt vmcnt(0)
	v_div_scale_f64 v[42:43], s[12:13], v[32:33], v[32:33], 1.0
	v_rcp_f64_e32 v[44:45], v[42:43]
	s_nop 0
	v_fma_f64 v[46:47], -v[42:43], v[44:45], 1.0
	v_fmac_f64_e32 v[44:45], v[44:45], v[46:47]
	v_fma_f64 v[46:47], -v[42:43], v[44:45], 1.0
	v_fmac_f64_e32 v[44:45], v[44:45], v[46:47]
	v_div_scale_f64 v[46:47], vcc, 1.0, v[32:33], 1.0
	v_mul_f64 v[48:49], v[46:47], v[44:45]
	v_fma_f64 v[42:43], -v[42:43], v[48:49], v[46:47]
	s_nop 1
	v_div_fmas_f64 v[42:43], v[42:43], v[44:45], v[48:49]
	v_div_fixup_f64 v[32:33], v[42:43], v[32:33], 1.0
	v_mul_f64 v[28:29], v[28:29], v[32:33]
	v_mad_u64_u32 v[32:33], s[12:13], s2, 61, v[0:1]
	v_mov_b32_e32 v33, v1
	v_lshlrev_b64 v[42:43], 3, v[32:33]
	v_lshl_add_u64 v[44:45], s[6:7], 0, v[42:43]
	global_load_dwordx2 v[44:45], v[44:45], off
	v_min_f64 v[28:29], v[28:29], s[0:1]
	v_lshl_add_u64 v[42:43], s[8:9], 0, v[42:43]
	v_add_u32_e32 v0, s2, v32
	s_waitcnt vmcnt(0)
	v_mul_f64 v[28:29], v[44:45], v[28:29]
	global_store_dwordx2 v[42:43], v[28:29], off
	v_div_scale_f64 v[28:29], s[12:13], v[20:21], v[20:21], 1.0
	v_rcp_f64_e32 v[36:37], v[28:29]
	s_nop 0
	v_fma_f64 v[42:43], -v[28:29], v[36:37], 1.0
	v_fmac_f64_e32 v[36:37], v[36:37], v[42:43]
	v_fma_f64 v[42:43], -v[28:29], v[36:37], 1.0
	v_fmac_f64_e32 v[36:37], v[36:37], v[42:43]
	v_div_scale_f64 v[42:43], vcc, 1.0, v[20:21], 1.0
	v_mul_f64 v[44:45], v[42:43], v[36:37]
	v_fma_f64 v[28:29], -v[28:29], v[44:45], v[42:43]
	s_nop 1
	v_div_fmas_f64 v[28:29], v[28:29], v[36:37], v[44:45]
	v_div_fixup_f64 v[20:21], v[28:29], v[20:21], 1.0
	v_mul_f64 v[16:17], v[16:17], v[20:21]
	v_lshlrev_b64 v[20:21], 3, v[0:1]
	v_lshl_add_u64 v[28:29], s[6:7], 0, v[20:21]
	global_load_dwordx2 v[28:29], v[28:29], off
	v_min_f64 v[16:17], v[16:17], s[0:1]
	v_lshl_add_u64 v[20:21], s[8:9], 0, v[20:21]
	v_add_u32_e32 v0, s5, v0
	s_waitcnt vmcnt(0)
	v_mul_f64 v[16:17], v[16:17], v[28:29]
	global_store_dwordx2 v[20:21], v[16:17], off
	v_lshl_add_u64 v[20:21], v[0:1], 3, s[10:11]
	global_load_dwordx2 v[20:21], v[20:21], off
	v_mul_f64 v[16:17], v[30:31], v[40:41]
	v_add_u32_e32 v0, s14, v0
	s_waitcnt vmcnt(0)
	v_mul_f64 v[22:23], v[22:23], v[20:21]
	v_div_scale_f64 v[28:29], s[12:13], v[22:23], v[22:23], 1.0
	v_rcp_f64_e32 v[32:33], v[28:29]
	s_nop 0
	v_fma_f64 v[36:37], -v[28:29], v[32:33], 1.0
	v_fmac_f64_e32 v[32:33], v[32:33], v[36:37]
	v_fma_f64 v[36:37], -v[28:29], v[32:33], 1.0
	v_fmac_f64_e32 v[32:33], v[32:33], v[36:37]
	v_div_scale_f64 v[36:37], vcc, 1.0, v[22:23], 1.0
	v_mul_f64 v[40:41], v[36:37], v[32:33]
	v_fma_f64 v[28:29], -v[28:29], v[40:41], v[36:37]
	s_nop 1
	v_div_fmas_f64 v[28:29], v[28:29], v[32:33], v[40:41]
	v_div_fixup_f64 v[22:23], v[28:29], v[22:23], 1.0
	v_lshlrev_b64 v[28:29], 3, v[0:1]
	v_lshl_add_u64 v[32:33], s[6:7], 0, v[28:29]
	global_load_dwordx2 v[32:33], v[32:33], off
	v_mul_f64 v[16:17], v[16:17], v[22:23]
	v_min_f64 v[16:17], v[16:17], s[0:1]
	v_lshl_add_u64 v[28:29], s[8:9], 0, v[28:29]
	v_add_u32_e32 v0, s2, v0
	s_waitcnt vmcnt(0)
	v_mul_f64 v[16:17], v[32:33], v[16:17]
	global_store_dwordx2 v[28:29], v[16:17], off
	v_mul_f64 v[16:17], v[30:31], v[38:39]
	v_mul_f64 v[16:17], v[16:17], v[22:23]
	v_lshlrev_b64 v[22:23], 3, v[0:1]
	v_lshl_add_u64 v[28:29], s[6:7], 0, v[22:23]
	global_load_dwordx2 v[28:29], v[28:29], off
	v_min_f64 v[16:17], v[16:17], s[0:1]
	v_lshl_add_u64 v[22:23], s[8:9], 0, v[22:23]
	v_add_u32_e32 v0, s5, v0
	s_mul_i32 s5, s2, 0xffffffba
	s_waitcnt vmcnt(0)
	v_mul_f64 v[16:17], v[28:29], v[16:17]
	global_store_dwordx2 v[22:23], v[16:17], off
	global_load_dwordx2 v[16:17], v[26:27], off
	v_lshl_add_u64 v[26:27], v[0:1], 3, s[10:11]
	global_load_dwordx2 v[26:27], v[26:27], off
	v_add_u32_e32 v0, s14, v0
	s_waitcnt vmcnt(1)
	v_mul_f64 v[22:23], v[16:17], v[16:17]
	v_mul_f64 v[2:3], v[2:3], v[22:23]
	s_waitcnt vmcnt(0)
	v_div_scale_f64 v[28:29], s[12:13], v[26:27], v[26:27], 1.0
	v_rcp_f64_e32 v[30:31], v[28:29]
	s_nop 0
	v_fma_f64 v[32:33], -v[28:29], v[30:31], 1.0
	v_fmac_f64_e32 v[30:31], v[30:31], v[32:33]
	v_fma_f64 v[32:33], -v[28:29], v[30:31], 1.0
	v_fmac_f64_e32 v[30:31], v[30:31], v[32:33]
	v_div_scale_f64 v[32:33], vcc, 1.0, v[26:27], 1.0
	v_mul_f64 v[36:37], v[32:33], v[30:31]
	v_fma_f64 v[28:29], -v[28:29], v[36:37], v[32:33]
	s_nop 1
	v_div_fmas_f64 v[28:29], v[28:29], v[30:31], v[36:37]
	v_div_fixup_f64 v[26:27], v[28:29], v[26:27], 1.0
	v_mul_f64 v[2:3], v[2:3], v[26:27]
	v_lshlrev_b64 v[26:27], 3, v[0:1]
	v_lshl_add_u64 v[28:29], s[6:7], 0, v[26:27]
	global_load_dwordx2 v[28:29], v[28:29], off
	v_min_f64 v[2:3], v[2:3], s[0:1]
	v_lshl_add_u64 v[26:27], s[8:9], 0, v[26:27]
	v_add_u32_e32 v0, s5, v0
	s_mul_i32 s5, s2, 0x47
	s_waitcnt vmcnt(0)
	v_mul_f64 v[2:3], v[28:29], v[2:3]
	global_store_dwordx2 v[26:27], v[2:3], off
	v_lshl_add_u64 v[2:3], v[0:1], 3, s[10:11]
	global_load_dwordx2 v[2:3], v[2:3], off
	v_add_u32_e32 v0, s5, v0
	s_waitcnt vmcnt(0)
	v_mul_f64 v[2:3], v[18:19], v[2:3]
	v_div_scale_f64 v[26:27], s[12:13], v[2:3], v[2:3], 1.0
	v_rcp_f64_e32 v[28:29], v[26:27]
	s_nop 0
	v_fma_f64 v[30:31], -v[26:27], v[28:29], 1.0
	v_fmac_f64_e32 v[28:29], v[28:29], v[30:31]
	v_fma_f64 v[30:31], -v[26:27], v[28:29], 1.0
	v_fmac_f64_e32 v[28:29], v[28:29], v[30:31]
	v_div_scale_f64 v[30:31], vcc, 1.0, v[2:3], 1.0
	v_mul_f64 v[32:33], v[30:31], v[28:29]
	v_fma_f64 v[26:27], -v[26:27], v[32:33], v[30:31]
	s_nop 1
	v_div_fmas_f64 v[26:27], v[26:27], v[28:29], v[32:33]
	v_div_fixup_f64 v[2:3], v[26:27], v[2:3], 1.0
	v_mul_f64 v[2:3], v[22:23], v[2:3]
	v_lshlrev_b64 v[22:23], 3, v[0:1]
	v_lshl_add_u64 v[26:27], s[6:7], 0, v[22:23]
	global_load_dwordx2 v[26:27], v[26:27], off
	v_min_f64 v[2:3], v[2:3], s[0:1]
	v_lshl_add_u64 v[22:23], s[8:9], 0, v[22:23]
	v_add_u32_e32 v0, s4, v0
	s_waitcnt vmcnt(0)
	v_mul_f64 v[2:3], v[26:27], v[2:3]
	global_store_dwordx2 v[22:23], v[2:3], off
	v_lshl_add_u64 v[2:3], v[0:1], 3, s[10:11]
	global_load_dwordx2 v[2:3], v[2:3], off
	v_add_u32_e32 v0, s3, v0
	global_load_dwordx2 v[22:23], v[24:25], off
	s_waitcnt vmcnt(1)
	v_mul_f64 v[2:3], v[16:17], v[2:3]
	s_waitcnt vmcnt(0)
	v_mul_f64 v[20:21], v[22:23], v[20:21]
	v_div_scale_f64 v[22:23], s[4:5], v[20:21], v[20:21], 1.0
	v_rcp_f64_e32 v[24:25], v[22:23]
	s_nop 0
	v_fma_f64 v[26:27], -v[22:23], v[24:25], 1.0
	v_fmac_f64_e32 v[24:25], v[24:25], v[26:27]
	v_fma_f64 v[26:27], -v[22:23], v[24:25], 1.0
	v_fmac_f64_e32 v[24:25], v[24:25], v[26:27]
	v_div_scale_f64 v[26:27], vcc, 1.0, v[20:21], 1.0
	v_mul_f64 v[28:29], v[26:27], v[24:25]
	v_fma_f64 v[22:23], -v[22:23], v[28:29], v[26:27]
	s_nop 1
	v_div_fmas_f64 v[22:23], v[22:23], v[24:25], v[28:29]
	v_div_fixup_f64 v[20:21], v[22:23], v[20:21], 1.0
	v_mul_f64 v[2:3], v[2:3], v[20:21]
	v_lshlrev_b64 v[20:21], 3, v[0:1]
	v_lshl_add_u64 v[22:23], s[6:7], 0, v[20:21]
	global_load_dwordx2 v[22:23], v[22:23], off
	v_min_f64 v[2:3], v[2:3], s[0:1]
	v_lshl_add_u64 v[20:21], s[8:9], 0, v[20:21]
	v_add_u32_e32 v0, s2, v0
	s_waitcnt vmcnt(0)
	v_mul_f64 v[2:3], v[22:23], v[2:3]
	global_store_dwordx2 v[20:21], v[2:3], off
	v_lshl_add_u64 v[20:21], s[10:11], 0, v[14:15]
	global_load_dwordx2 v[2:3], v[34:35], off
	global_load_dwordx2 v[22:23], v[20:21], off
	;; [unrolled: 1-line block ×3, first 2 shown]
	s_waitcnt vmcnt(2)
	v_mul_f64 v[18:19], v[18:19], v[2:3]
	s_waitcnt vmcnt(0)
	v_mul_f64 v[6:7], v[22:23], v[14:15]
	v_div_scale_f64 v[20:21], s[4:5], v[6:7], v[6:7], 1.0
	v_rcp_f64_e32 v[22:23], v[20:21]
	s_nop 0
	v_fma_f64 v[24:25], -v[20:21], v[22:23], 1.0
	v_fmac_f64_e32 v[22:23], v[22:23], v[24:25]
	v_fma_f64 v[24:25], -v[20:21], v[22:23], 1.0
	v_fmac_f64_e32 v[22:23], v[22:23], v[24:25]
	v_div_scale_f64 v[24:25], vcc, 1.0, v[6:7], 1.0
	v_mul_f64 v[26:27], v[24:25], v[22:23]
	v_fma_f64 v[20:21], -v[20:21], v[26:27], v[24:25]
	s_nop 1
	v_div_fmas_f64 v[20:21], v[20:21], v[22:23], v[26:27]
	v_div_fixup_f64 v[6:7], v[20:21], v[6:7], 1.0
	v_lshlrev_b64 v[20:21], 3, v[0:1]
	v_lshl_add_u64 v[22:23], s[6:7], 0, v[20:21]
	global_load_dwordx2 v[22:23], v[22:23], off
	v_mul_f64 v[6:7], v[18:19], v[6:7]
	v_min_f64 v[6:7], v[6:7], s[0:1]
	v_lshl_add_u64 v[20:21], s[8:9], 0, v[20:21]
	v_add_u32_e32 v0, s2, v0
	s_waitcnt vmcnt(0)
	v_mul_f64 v[6:7], v[22:23], v[6:7]
	global_store_dwordx2 v[20:21], v[6:7], off
	global_load_dwordx2 v[6:7], v[10:11], off
	s_waitcnt vmcnt(0)
	v_mul_f64 v[10:11], v[6:7], v[16:17]
	v_div_scale_f64 v[16:17], s[4:5], v[10:11], v[10:11], 1.0
	v_rcp_f64_e32 v[20:21], v[16:17]
	s_nop 0
	v_fma_f64 v[22:23], -v[16:17], v[20:21], 1.0
	v_fmac_f64_e32 v[20:21], v[20:21], v[22:23]
	v_fma_f64 v[22:23], -v[16:17], v[20:21], 1.0
	v_fmac_f64_e32 v[20:21], v[20:21], v[22:23]
	v_div_scale_f64 v[22:23], vcc, 1.0, v[10:11], 1.0
	v_mul_f64 v[24:25], v[22:23], v[20:21]
	v_fma_f64 v[16:17], -v[16:17], v[24:25], v[22:23]
	s_nop 1
	v_div_fmas_f64 v[16:17], v[16:17], v[20:21], v[24:25]
	v_div_fixup_f64 v[10:11], v[16:17], v[10:11], 1.0
	v_lshlrev_b64 v[16:17], 3, v[0:1]
	v_lshl_add_u64 v[20:21], s[6:7], 0, v[16:17]
	global_load_dwordx2 v[20:21], v[20:21], off
	v_mul_f64 v[10:11], v[18:19], v[10:11]
	v_min_f64 v[10:11], v[10:11], s[0:1]
	v_lshl_add_u64 v[16:17], s[8:9], 0, v[16:17]
	v_add_u32_e32 v0, s2, v0
	s_waitcnt vmcnt(0)
	v_mul_f64 v[10:11], v[20:21], v[10:11]
	global_store_dwordx2 v[16:17], v[10:11], off
	global_load_dwordx2 v[10:11], v[8:9], off
	s_nop 0
	global_load_dwordx2 v[16:17], v[12:13], off
	s_waitcnt vmcnt(0)
	v_mul_f64 v[8:9], v[10:11], v[16:17]
	v_div_scale_f64 v[12:13], s[4:5], v[8:9], v[8:9], 1.0
	v_rcp_f64_e32 v[16:17], v[12:13]
	global_load_dwordx2 v[4:5], v[4:5], off
	v_fma_f64 v[20:21], -v[12:13], v[16:17], 1.0
	v_fmac_f64_e32 v[16:17], v[16:17], v[20:21]
	v_fma_f64 v[20:21], -v[12:13], v[16:17], 1.0
	v_fmac_f64_e32 v[16:17], v[16:17], v[20:21]
	v_div_scale_f64 v[20:21], vcc, 1.0, v[8:9], 1.0
	v_mul_f64 v[22:23], v[20:21], v[16:17]
	v_fma_f64 v[12:13], -v[12:13], v[22:23], v[20:21]
	s_waitcnt vmcnt(0)
	v_mul_f64 v[4:5], v[4:5], v[2:3]
	v_div_fmas_f64 v[12:13], v[12:13], v[16:17], v[22:23]
	v_div_fixup_f64 v[8:9], v[12:13], v[8:9], 1.0
	v_lshlrev_b64 v[12:13], 3, v[0:1]
	v_lshl_add_u64 v[16:17], s[6:7], 0, v[12:13]
	global_load_dwordx2 v[16:17], v[16:17], off
	v_mul_f64 v[8:9], v[18:19], v[8:9]
	v_min_f64 v[8:9], v[8:9], s[0:1]
	v_lshl_add_u64 v[12:13], s[8:9], 0, v[12:13]
	v_add_u32_e32 v0, s2, v0
	v_mul_f64 v[2:3], v[6:7], v[2:3]
	s_waitcnt vmcnt(0)
	v_mul_f64 v[8:9], v[16:17], v[8:9]
	global_store_dwordx2 v[12:13], v[8:9], off
	v_mul_f64 v[8:9], v[6:7], v[14:15]
	v_div_scale_f64 v[12:13], s[4:5], v[8:9], v[8:9], 1.0
	v_rcp_f64_e32 v[16:17], v[12:13]
	s_nop 0
	v_fma_f64 v[18:19], -v[12:13], v[16:17], 1.0
	v_fmac_f64_e32 v[16:17], v[16:17], v[18:19]
	v_fma_f64 v[18:19], -v[12:13], v[16:17], 1.0
	v_fmac_f64_e32 v[16:17], v[16:17], v[18:19]
	v_div_scale_f64 v[18:19], vcc, 1.0, v[8:9], 1.0
	v_mul_f64 v[20:21], v[18:19], v[16:17]
	v_fma_f64 v[12:13], -v[12:13], v[20:21], v[18:19]
	s_nop 1
	v_div_fmas_f64 v[12:13], v[12:13], v[16:17], v[20:21]
	v_div_fixup_f64 v[8:9], v[12:13], v[8:9], 1.0
	v_mul_f64 v[4:5], v[4:5], v[8:9]
	v_lshlrev_b64 v[8:9], 3, v[0:1]
	v_lshl_add_u64 v[12:13], s[6:7], 0, v[8:9]
	global_load_dwordx2 v[12:13], v[12:13], off
	v_min_f64 v[4:5], v[4:5], s[0:1]
	v_lshl_add_u64 v[8:9], s[8:9], 0, v[8:9]
	v_add_u32_e32 v0, s2, v0
	v_lshlrev_b64 v[0:1], 3, v[0:1]
	s_waitcnt vmcnt(0)
	v_mul_f64 v[4:5], v[12:13], v[4:5]
	global_store_dwordx2 v[8:9], v[4:5], off
	v_mul_f64 v[4:5], v[10:11], v[14:15]
	v_div_scale_f64 v[6:7], s[4:5], v[4:5], v[4:5], 1.0
	v_rcp_f64_e32 v[8:9], v[6:7]
	s_nop 0
	v_fma_f64 v[10:11], -v[6:7], v[8:9], 1.0
	v_fmac_f64_e32 v[8:9], v[8:9], v[10:11]
	v_fma_f64 v[10:11], -v[6:7], v[8:9], 1.0
	v_fmac_f64_e32 v[8:9], v[8:9], v[10:11]
	v_div_scale_f64 v[10:11], vcc, 1.0, v[4:5], 1.0
	v_mul_f64 v[12:13], v[10:11], v[8:9]
	v_fma_f64 v[6:7], -v[6:7], v[12:13], v[10:11]
	s_nop 1
	v_div_fmas_f64 v[6:7], v[6:7], v[8:9], v[12:13]
	v_div_fixup_f64 v[4:5], v[6:7], v[4:5], 1.0
	v_mul_f64 v[2:3], v[2:3], v[4:5]
	v_lshl_add_u64 v[4:5], s[6:7], 0, v[0:1]
	global_load_dwordx2 v[4:5], v[4:5], off
	v_min_f64 v[2:3], v[2:3], s[0:1]
	v_lshl_add_u64 v[0:1], s[8:9], 0, v[0:1]
	s_waitcnt vmcnt(0)
	v_mul_f64 v[2:3], v[4:5], v[2:3]
	global_store_dwordx2 v[0:1], v[2:3], off
	s_endpgm
	.section	.rodata,"a",@progbits
	.p2align	6, 0x0
	.amdhsa_kernel _Z12ratt5_kernelIdEvPKT_S2_PS0_S2_S0_
		.amdhsa_group_segment_fixed_size 0
		.amdhsa_private_segment_fixed_size 0
		.amdhsa_kernarg_size 296
		.amdhsa_user_sgpr_count 2
		.amdhsa_user_sgpr_dispatch_ptr 0
		.amdhsa_user_sgpr_queue_ptr 0
		.amdhsa_user_sgpr_kernarg_segment_ptr 1
		.amdhsa_user_sgpr_dispatch_id 0
		.amdhsa_user_sgpr_kernarg_preload_length 0
		.amdhsa_user_sgpr_kernarg_preload_offset 0
		.amdhsa_user_sgpr_private_segment_size 0
		.amdhsa_uses_dynamic_stack 0
		.amdhsa_enable_private_segment 0
		.amdhsa_system_sgpr_workgroup_id_x 1
		.amdhsa_system_sgpr_workgroup_id_y 0
		.amdhsa_system_sgpr_workgroup_id_z 0
		.amdhsa_system_sgpr_workgroup_info 0
		.amdhsa_system_vgpr_workitem_id 0
		.amdhsa_next_free_vgpr 62
		.amdhsa_next_free_sgpr 15
		.amdhsa_accum_offset 64
		.amdhsa_reserve_vcc 1
		.amdhsa_float_round_mode_32 0
		.amdhsa_float_round_mode_16_64 0
		.amdhsa_float_denorm_mode_32 3
		.amdhsa_float_denorm_mode_16_64 3
		.amdhsa_dx10_clamp 1
		.amdhsa_ieee_mode 1
		.amdhsa_fp16_overflow 0
		.amdhsa_tg_split 0
		.amdhsa_exception_fp_ieee_invalid_op 0
		.amdhsa_exception_fp_denorm_src 0
		.amdhsa_exception_fp_ieee_div_zero 0
		.amdhsa_exception_fp_ieee_overflow 0
		.amdhsa_exception_fp_ieee_underflow 0
		.amdhsa_exception_fp_ieee_inexact 0
		.amdhsa_exception_int_div_zero 0
	.end_amdhsa_kernel
	.section	.text._Z12ratt5_kernelIdEvPKT_S2_PS0_S2_S0_,"axG",@progbits,_Z12ratt5_kernelIdEvPKT_S2_PS0_S2_S0_,comdat
.Lfunc_end33:
	.size	_Z12ratt5_kernelIdEvPKT_S2_PS0_S2_S0_, .Lfunc_end33-_Z12ratt5_kernelIdEvPKT_S2_PS0_S2_S0_
                                        ; -- End function
	.set _Z12ratt5_kernelIdEvPKT_S2_PS0_S2_S0_.num_vgpr, 62
	.set _Z12ratt5_kernelIdEvPKT_S2_PS0_S2_S0_.num_agpr, 0
	.set _Z12ratt5_kernelIdEvPKT_S2_PS0_S2_S0_.numbered_sgpr, 15
	.set _Z12ratt5_kernelIdEvPKT_S2_PS0_S2_S0_.num_named_barrier, 0
	.set _Z12ratt5_kernelIdEvPKT_S2_PS0_S2_S0_.private_seg_size, 0
	.set _Z12ratt5_kernelIdEvPKT_S2_PS0_S2_S0_.uses_vcc, 1
	.set _Z12ratt5_kernelIdEvPKT_S2_PS0_S2_S0_.uses_flat_scratch, 0
	.set _Z12ratt5_kernelIdEvPKT_S2_PS0_S2_S0_.has_dyn_sized_stack, 0
	.set _Z12ratt5_kernelIdEvPKT_S2_PS0_S2_S0_.has_recursion, 0
	.set _Z12ratt5_kernelIdEvPKT_S2_PS0_S2_S0_.has_indirect_call, 0
	.section	.AMDGPU.csdata,"",@progbits
; Kernel info:
; codeLenInByte = 5216
; TotalNumSgprs: 21
; NumVgprs: 62
; NumAgprs: 0
; TotalNumVgprs: 62
; ScratchSize: 0
; MemoryBound: 0
; FloatMode: 240
; IeeeMode: 1
; LDSByteSize: 0 bytes/workgroup (compile time only)
; SGPRBlocks: 2
; VGPRBlocks: 7
; NumSGPRsForWavesPerEU: 21
; NumVGPRsForWavesPerEU: 62
; AccumOffset: 64
; Occupancy: 8
; WaveLimiterHint : 0
; COMPUTE_PGM_RSRC2:SCRATCH_EN: 0
; COMPUTE_PGM_RSRC2:USER_SGPR: 2
; COMPUTE_PGM_RSRC2:TRAP_HANDLER: 0
; COMPUTE_PGM_RSRC2:TGID_X_EN: 1
; COMPUTE_PGM_RSRC2:TGID_Y_EN: 0
; COMPUTE_PGM_RSRC2:TGID_Z_EN: 0
; COMPUTE_PGM_RSRC2:TIDIG_COMP_CNT: 0
; COMPUTE_PGM_RSRC3_GFX90A:ACCUM_OFFSET: 15
; COMPUTE_PGM_RSRC3_GFX90A:TG_SPLIT: 0
	.section	.text._Z12ratt6_kernelIdEvPKT_S2_PS0_S2_S0_,"axG",@progbits,_Z12ratt6_kernelIdEvPKT_S2_PS0_S2_S0_,comdat
	.protected	_Z12ratt6_kernelIdEvPKT_S2_PS0_S2_S0_ ; -- Begin function _Z12ratt6_kernelIdEvPKT_S2_PS0_S2_S0_
	.globl	_Z12ratt6_kernelIdEvPKT_S2_PS0_S2_S0_
	.p2align	8
	.type	_Z12ratt6_kernelIdEvPKT_S2_PS0_S2_S0_,@function
_Z12ratt6_kernelIdEvPKT_S2_PS0_S2_S0_:  ; @_Z12ratt6_kernelIdEvPKT_S2_PS0_S2_S0_
; %bb.0:
	s_load_dword s3, s[0:1], 0x34
	s_load_dword s12, s[0:1], 0x28
	s_load_dwordx8 s[4:11], s[0:1], 0x0
	v_mov_b32_e32 v1, 0
	v_mov_b32_e32 v9, v1
	s_waitcnt lgkmcnt(0)
	s_and_b32 s3, s3, 0xffff
	s_mul_i32 s2, s2, s3
	v_add_u32_e32 v0, s2, v0
	v_lshlrev_b64 v[2:3], 3, v[0:1]
	v_lshl_add_u64 v[4:5], s[4:5], 0, v[2:3]
	s_mul_i32 s4, s12, s3
	global_load_dwordx2 v[14:15], v[4:5], off
	v_mad_u64_u32 v[4:5], s[2:3], s4, 3, v[0:1]
	v_mov_b32_e32 v5, v1
	v_lshl_add_u64 v[16:17], v[4:5], 3, s[10:11]
	v_mad_u64_u32 v[4:5], s[2:3], s4, 14, v[4:5]
	v_mov_b32_e32 v5, v1
	s_mul_i32 s5, s4, -11
	v_lshl_add_u64 v[6:7], v[4:5], 3, s[10:11]
	v_add_u32_e32 v8, s5, v4
	v_lshl_add_u64 v[10:11], v[8:9], 3, s[10:11]
	global_load_dwordx2 v[4:5], v[16:17], off
	global_load_dwordx2 v[18:19], v[6:7], off
	;; [unrolled: 1-line block ×3, first 2 shown]
	v_mad_u64_u32 v[6:7], s[2:3], s4, 10, v[8:9]
	v_mov_b32_e32 v7, v1
	v_lshl_add_u64 v[8:9], v[6:7], 3, s[10:11]
	global_load_dwordx2 v[22:23], v[8:9], off
	s_mul_i32 s12, s4, 0x54
	s_mul_i32 s13, s4, 11
	v_add_u32_e32 v6, s12, v6
	v_add_u32_e32 v8, s4, v0
	;; [unrolled: 1-line block ×3, first 2 shown]
	v_lshlrev_b64 v[24:25], 3, v[6:7]
	v_lshl_add_u64 v[6:7], s[6:7], 0, v[24:25]
	v_lshl_add_u64 v[28:29], v[0:1], 3, s[10:11]
	v_lshl_add_u64 v[2:3], s[10:11], 0, v[2:3]
	global_load_dwordx2 v[26:27], v[6:7], off
	global_load_dwordx2 v[12:13], v[28:29], off
	;; [unrolled: 1-line block ×3, first 2 shown]
	s_mul_i32 s14, s4, 0x5a
	v_mov_b32_e32 v11, v1
	v_add_u32_e32 v10, s13, v8
	s_mul_i32 s13, s4, 0xffffff9d
	v_add_u32_e32 v0, s14, v0
	v_mov_b32_e32 v9, v1
	v_lshl_add_u64 v[6:7], v[10:11], 3, s[10:11]
	v_lshlrev_b64 v[36:37], 3, v[0:1]
	v_add_u32_e32 v0, s13, v0
	v_lshl_add_u64 v[32:33], v[8:9], 3, s[10:11]
	global_load_dwordx2 v[8:9], v[6:7], off
	global_load_dwordx2 v[2:3], v[32:33], off
	v_lshl_add_u64 v[6:7], s[6:7], 0, v[36:37]
	v_lshl_add_u64 v[38:39], v[0:1], 3, s[10:11]
	v_lshl_add_u32 v0, s4, 1, v0
	global_load_dwordx2 v[42:43], v[6:7], off
	v_lshl_add_u64 v[40:41], v[0:1], 3, s[10:11]
	global_load_dwordx2 v[6:7], v[38:39], off
	global_load_dwordx2 v[10:11], v[40:41], off
	s_load_dwordx2 s[0:1], s[0:1], 0x20
	s_mul_i32 s12, s4, 0x62
	v_add_u32_e32 v0, s12, v0
	s_brev_b32 s2, 12
	s_mul_i32 s15, s4, 0xffffff9f
	v_lshlrev_b64 v[34:35], 3, v[0:1]
	s_mov_b32 s3, 0x4193d2c6
	v_add_u32_e32 v0, s15, v0
	v_lshl_add_u64 v[44:45], s[6:7], 0, v[34:35]
	global_load_dwordx2 v[16:17], v[16:17], off
	v_lshl_add_u64 v[46:47], v[0:1], 3, s[10:11]
	global_load_dwordx2 v[48:49], v[44:45], off
	global_load_dwordx2 v[50:51], v[46:47], off
	v_add_u32_e32 v0, s12, v0
	s_mul_i32 s12, s4, 0xffffffa1
	v_lshl_add_u64 v[36:37], s[8:9], 0, v[36:37]
	v_lshl_add_u64 v[34:35], s[8:9], 0, v[34:35]
	s_waitcnt vmcnt(15) lgkmcnt(0)
	v_mul_f64 v[14:15], s[0:1], v[14:15]
	v_mul_f64 v[14:15], v[14:15], s[2:3]
	v_div_scale_f64 v[44:45], s[0:1], v[14:15], v[14:15], 1.0
	v_rcp_f64_e32 v[52:53], v[44:45]
	v_div_scale_f64 v[46:47], vcc, 1.0, v[14:15], 1.0
	s_waitcnt vmcnt(13)
	v_mul_f64 v[18:19], v[4:5], v[18:19]
	s_waitcnt vmcnt(11)
	v_mul_f64 v[20:21], v[20:21], v[22:23]
	v_div_scale_f64 v[54:55], s[0:1], v[20:21], v[20:21], 1.0
	v_fma_f64 v[22:23], -v[44:45], v[52:53], 1.0
	v_rcp_f64_e32 v[58:59], v[54:55]
	v_fmac_f64_e32 v[52:53], v[52:53], v[22:23]
	v_fma_f64 v[22:23], -v[44:45], v[52:53], 1.0
	v_fmac_f64_e32 v[52:53], v[52:53], v[22:23]
	v_mul_f64 v[22:23], v[46:47], v[52:53]
	v_fma_f64 v[44:45], -v[44:45], v[22:23], v[46:47]
	v_fma_f64 v[46:47], -v[54:55], v[58:59], 1.0
	v_fmac_f64_e32 v[58:59], v[58:59], v[46:47]
	v_div_fmas_f64 v[22:23], v[44:45], v[52:53], v[22:23]
	v_fma_f64 v[44:45], -v[54:55], v[58:59], 1.0
	v_div_scale_f64 v[56:57], s[0:1], 1.0, v[20:21], 1.0
	v_fmac_f64_e32 v[58:59], v[58:59], v[44:45]
	v_div_fixup_f64 v[22:23], v[22:23], v[14:15], 1.0
	v_mul_f64 v[14:15], v[56:57], v[58:59]
	v_lshlrev_b64 v[46:47], 3, v[0:1]
	v_add_u32_e32 v0, s12, v0
	v_fma_f64 v[44:45], -v[54:55], v[14:15], v[56:57]
	s_mov_b64 vcc, s[0:1]
	v_mad_u64_u32 v[54:55], s[0:1], s4, 13, v[0:1]
	v_lshl_add_u64 v[52:53], v[0:1], 3, s[10:11]
	v_mov_b32_e32 v55, v1
	v_div_fmas_f64 v[14:15], v[44:45], v[58:59], v[14:15]
	v_lshl_add_u64 v[56:57], v[54:55], 3, s[10:11]
	global_load_dwordx2 v[44:45], v[52:53], off
	global_load_dwordx2 v[58:59], v[56:57], off
	v_div_fixup_f64 v[14:15], v[14:15], v[20:21], 1.0
	v_mul_f64 v[14:15], v[18:19], v[14:15]
	v_lshl_add_u64 v[18:19], s[6:7], 0, v[46:47]
	global_load_dwordx2 v[52:53], v[18:19], off
	s_mov_b32 s0, 0x4357691b
	s_mov_b32 s1, 0x479e17b8
	v_min_f64 v[14:15], v[14:15], s[0:1]
	s_waitcnt vmcnt(13)
	v_mul_f64 v[14:15], v[26:27], v[14:15]
	s_waitcnt vmcnt(11)
	v_mul_f64 v[26:27], v[30:31], v[12:13]
	v_lshl_add_u64 v[18:19], s[8:9], 0, v[24:25]
	global_load_dwordx2 v[20:21], v[28:29], off
	global_load_dwordx2 v[24:25], v[32:33], off
	v_div_scale_f64 v[28:29], s[2:3], v[26:27], v[26:27], 1.0
	v_rcp_f64_e32 v[30:31], v[28:29]
	global_store_dwordx2 v[18:19], v[14:15], off
	s_waitcnt vmcnt(12)
	v_mul_f64 v[14:15], v[2:3], v[8:9]
	v_fma_f64 v[18:19], -v[28:29], v[30:31], 1.0
	v_fmac_f64_e32 v[30:31], v[30:31], v[18:19]
	v_fma_f64 v[18:19], -v[28:29], v[30:31], 1.0
	v_fmac_f64_e32 v[30:31], v[30:31], v[18:19]
	v_div_scale_f64 v[18:19], vcc, 1.0, v[26:27], 1.0
	v_mul_f64 v[32:33], v[18:19], v[30:31]
	v_fma_f64 v[18:19], -v[28:29], v[32:33], v[18:19]
	s_waitcnt vmcnt(9)
	v_mul_f64 v[28:29], v[12:13], v[10:11]
	v_div_fmas_f64 v[18:19], v[18:19], v[30:31], v[32:33]
	v_div_scale_f64 v[30:31], s[2:3], v[28:29], v[28:29], 1.0
	v_div_fixup_f64 v[18:19], v[18:19], v[26:27], 1.0
	v_rcp_f64_e32 v[32:33], v[30:31]
	v_mul_f64 v[14:15], v[14:15], v[18:19]
	v_min_f64 v[14:15], v[14:15], s[0:1]
	v_mul_f64 v[26:27], v[42:43], v[14:15]
	global_load_dwordx2 v[14:15], v[40:41], off
	global_load_dwordx2 v[18:19], v[38:39], off
	s_nop 0
	global_store_dwordx2 v[36:37], v[26:27], off
	v_fma_f64 v[36:37], -v[30:31], v[32:33], 1.0
	v_fmac_f64_e32 v[32:33], v[32:33], v[36:37]
	v_fma_f64 v[36:37], -v[30:31], v[32:33], 1.0
	v_fmac_f64_e32 v[32:33], v[32:33], v[36:37]
	v_div_scale_f64 v[36:37], vcc, 1.0, v[28:29], 1.0
	v_mul_f64 v[38:39], v[36:37], v[32:33]
	v_fma_f64 v[30:31], -v[30:31], v[38:39], v[36:37]
	v_mul_f64 v[26:27], v[8:9], v[6:7]
	s_nop 0
	v_div_fmas_f64 v[30:31], v[30:31], v[32:33], v[38:39]
	v_div_fixup_f64 v[28:29], v[30:31], v[28:29], 1.0
	v_mul_f64 v[26:27], v[26:27], v[28:29]
	s_waitcnt vmcnt(9)
	v_mul_f64 v[28:29], v[12:13], v[50:51]
	v_div_scale_f64 v[30:31], s[2:3], v[28:29], v[28:29], 1.0
	v_rcp_f64_e32 v[32:33], v[30:31]
	v_min_f64 v[26:27], v[26:27], s[0:1]
	v_mul_f64 v[26:27], v[48:49], v[26:27]
	global_store_dwordx2 v[34:35], v[26:27], off
	v_fma_f64 v[34:35], -v[30:31], v[32:33], 1.0
	v_fmac_f64_e32 v[32:33], v[32:33], v[34:35]
	v_fma_f64 v[34:35], -v[30:31], v[32:33], 1.0
	v_fmac_f64_e32 v[32:33], v[32:33], v[34:35]
	v_div_scale_f64 v[34:35], vcc, 1.0, v[28:29], 1.0
	v_mul_f64 v[36:37], v[34:35], v[32:33]
	v_fma_f64 v[30:31], -v[30:31], v[36:37], v[34:35]
	s_mul_i32 s2, s4, 0x53
	s_nop 0
	v_div_fmas_f64 v[30:31], v[30:31], v[32:33], v[36:37]
	v_mul_f64 v[26:27], v[8:9], v[10:11]
	v_div_fixup_f64 v[28:29], v[30:31], v[28:29], 1.0
	v_add_u32_e32 v0, s2, v54
	v_mul_f64 v[26:27], v[26:27], v[28:29]
	v_lshlrev_b64 v[28:29], 3, v[0:1]
	v_lshl_add_u64 v[30:31], s[6:7], 0, v[28:29]
	global_load_dwordx2 v[30:31], v[30:31], off
	v_min_f64 v[26:27], v[26:27], s[0:1]
	v_lshl_add_u64 v[34:35], s[8:9], 0, v[46:47]
	v_add_u32_e32 v0, s12, v0
	v_lshl_add_u64 v[46:47], v[0:1], 3, s[10:11]
	v_lshl_add_u64 v[28:29], s[8:9], 0, v[28:29]
	s_waitcnt vmcnt(9)
	v_mul_f64 v[38:39], v[2:3], v[58:59]
	v_div_scale_f64 v[32:33], s[2:3], v[38:39], v[38:39], 1.0
	v_rcp_f64_e32 v[40:41], v[32:33]
	s_waitcnt vmcnt(8)
	v_mul_f64 v[26:27], v[52:53], v[26:27]
	global_store_dwordx2 v[34:35], v[26:27], off
	s_mul_i32 s2, s4, 0x60
	v_fma_f64 v[26:27], -v[32:33], v[40:41], 1.0
	v_fmac_f64_e32 v[40:41], v[40:41], v[26:27]
	v_fma_f64 v[26:27], -v[32:33], v[40:41], 1.0
	v_fmac_f64_e32 v[40:41], v[40:41], v[26:27]
	v_div_scale_f64 v[26:27], vcc, 1.0, v[38:39], 1.0
	v_add_u32_e32 v0, s2, v0
	v_mul_f64 v[42:43], v[26:27], v[40:41]
	v_lshlrev_b64 v[48:49], 3, v[0:1]
	v_fma_f64 v[26:27], -v[32:33], v[42:43], v[26:27]
	global_load_dwordx2 v[32:33], v[46:47], off
	v_lshl_add_u64 v[34:35], s[6:7], 0, v[48:49]
	v_add_u32_e32 v0, s12, v0
	global_load_dwordx2 v[50:51], v[34:35], off
	v_lshl_add_u64 v[34:35], v[0:1], 3, s[10:11]
	v_add_u32_e32 v0, s2, v0
	s_mul_i32 s2, s4, 0xffffffae
	v_lshlrev_b64 v[54:55], 3, v[0:1]
	v_add_u32_e32 v0, s2, v0
	v_lshl_add_u64 v[58:59], v[0:1], 3, s[10:11]
	v_add_u32_e32 v0, s5, v0
	global_load_dwordx2 v[52:53], v[34:35], off
	v_lshl_add_u64 v[34:35], s[6:7], 0, v[54:55]
	v_lshl_add_u64 v[60:61], v[0:1], 3, s[10:11]
	global_load_dwordx2 v[56:57], v[34:35], off
	global_load_dwordx2 v[36:37], v[60:61], off
	s_nop 0
	global_load_dwordx2 v[34:35], v[58:59], off
	s_mul_i32 s5, s4, 0x5e
	v_add_u32_e32 v0, s5, v0
	v_div_fmas_f64 v[26:27], v[26:27], v[40:41], v[42:43]
	v_lshlrev_b64 v[40:41], 3, v[0:1]
	v_lshl_add_u64 v[42:43], s[6:7], 0, v[40:41]
	global_load_dwordx2 v[42:43], v[42:43], off
	v_div_fixup_f64 v[26:27], v[26:27], v[38:39], 1.0
	v_mul_f64 v[38:39], v[8:9], v[44:45]
	v_mul_f64 v[26:27], v[38:39], v[26:27]
	v_min_f64 v[26:27], v[26:27], s[0:1]
	v_add_u32_e32 v0, s4, v0
	s_mov_b32 s2, 0
	s_mov_b32 s3, 0x412eec04
	v_mul_f64 v[22:23], v[22:23], s[2:3]
	v_lshl_add_u64 v[40:41], s[8:9], 0, v[40:41]
	s_waitcnt vmcnt(8)
	v_mul_f64 v[26:27], v[30:31], v[26:27]
	v_mul_f64 v[30:31], v[12:13], v[12:13]
	v_div_scale_f64 v[12:13], s[12:13], v[30:31], v[30:31], 1.0
	v_rcp_f64_e32 v[38:39], v[12:13]
	global_store_dwordx2 v[28:29], v[26:27], off
	v_fma_f64 v[26:27], -v[12:13], v[38:39], 1.0
	v_fmac_f64_e32 v[38:39], v[38:39], v[26:27]
	v_fma_f64 v[26:27], -v[12:13], v[38:39], 1.0
	v_fmac_f64_e32 v[38:39], v[38:39], v[26:27]
	v_div_scale_f64 v[26:27], vcc, 1.0, v[30:31], 1.0
	v_mul_f64 v[28:29], v[26:27], v[38:39]
	v_fma_f64 v[12:13], -v[12:13], v[28:29], v[26:27]
	s_waitcnt vmcnt(3)
	v_mul_f64 v[10:11], v[10:11], v[36:37]
	v_div_fmas_f64 v[26:27], v[12:13], v[38:39], v[28:29]
	v_mul_f64 v[38:39], v[8:9], v[32:33]
	v_div_fixup_f64 v[26:27], v[26:27], v[30:31], 1.0
	global_load_dwordx2 v[28:29], v[46:47], off
	global_load_dwordx2 v[12:13], v[46:47], off
	v_mul_f64 v[30:31], v[26:27], v[38:39]
	v_lshlrev_b64 v[46:47], 3, v[0:1]
	v_min_f64 v[30:31], v[30:31], s[0:1]
	v_lshl_add_u64 v[38:39], s[6:7], 0, v[46:47]
	v_mul_f64 v[30:31], v[50:51], v[30:31]
	global_load_dwordx2 v[50:51], v[38:39], off
	v_lshl_add_u64 v[38:39], s[8:9], 0, v[48:49]
	global_store_dwordx2 v[38:39], v[30:31], off
	v_mul_f64 v[38:39], v[52:53], v[36:37]
	v_div_scale_f64 v[48:49], s[2:3], v[38:39], v[38:39], 1.0
	v_mul_f64 v[8:9], v[8:9], v[52:53]
	v_rcp_f64_e32 v[52:53], v[48:49]
	v_mul_f64 v[8:9], v[26:27], v[8:9]
	v_min_f64 v[8:9], v[8:9], s[0:1]
	v_mul_f64 v[8:9], v[56:57], v[8:9]
	v_lshl_add_u64 v[30:31], s[8:9], 0, v[54:55]
	global_store_dwordx2 v[30:31], v[8:9], off
	v_fma_f64 v[8:9], -v[48:49], v[52:53], 1.0
	v_fmac_f64_e32 v[52:53], v[52:53], v[8:9]
	v_fma_f64 v[8:9], -v[48:49], v[52:53], 1.0
	v_fmac_f64_e32 v[52:53], v[52:53], v[8:9]
	v_div_scale_f64 v[8:9], vcc, 1.0, v[38:39], 1.0
	v_mul_f64 v[54:55], v[8:9], v[52:53]
	v_fma_f64 v[8:9], -v[48:49], v[54:55], v[8:9]
	v_add_u32_e32 v0, s4, v0
	s_mul_i32 s2, s4, 0xffffffa5
	v_div_fmas_f64 v[8:9], v[8:9], v[52:53], v[54:55]
	v_lshlrev_b64 v[48:49], 3, v[0:1]
	v_add_u32_e32 v0, s2, v0
	v_div_fixup_f64 v[38:39], v[8:9], v[38:39], 1.0
	v_lshl_add_u64 v[8:9], v[0:1], 3, s[10:11]
	global_load_dwordx2 v[8:9], v[8:9], off
	v_mul_f64 v[54:55], v[2:3], v[36:37]
	v_mul_f64 v[54:55], v[36:37], v[54:55]
	v_lshl_add_u64 v[52:53], s[6:7], 0, v[48:49]
	v_mul_f64 v[54:55], v[22:23], v[54:55]
	global_load_dwordx2 v[52:53], v[52:53], off
	v_div_scale_f64 v[56:57], s[12:13], v[54:55], v[54:55], 1.0
	s_waitcnt vmcnt(9)
	v_mul_f64 v[30:31], v[2:3], v[34:35]
	v_rcp_f64_e32 v[58:59], v[56:57]
	v_mul_f64 v[38:39], v[30:31], v[38:39]
	v_min_f64 v[38:39], v[38:39], s[0:1]
	s_waitcnt vmcnt(8)
	v_mul_f64 v[38:39], v[42:43], v[38:39]
	global_store_dwordx2 v[40:41], v[38:39], off
	v_fma_f64 v[38:39], -v[56:57], v[58:59], 1.0
	v_fmac_f64_e32 v[58:59], v[58:59], v[38:39]
	v_fma_f64 v[38:39], -v[56:57], v[58:59], 1.0
	v_fmac_f64_e32 v[58:59], v[58:59], v[38:39]
	v_div_scale_f64 v[38:39], vcc, 1.0, v[54:55], 1.0
	s_mul_i32 s3, s4, 0x5c
	v_mul_f64 v[40:41], v[38:39], v[58:59]
	v_add_u32_e32 v0, s3, v0
	s_mul_i32 s12, s4, 0xffffffa6
	v_fma_f64 v[38:39], -v[56:57], v[40:41], v[38:39]
	v_lshlrev_b64 v[42:43], 3, v[0:1]
	v_add_u32_e32 v0, s12, v0
	v_div_fmas_f64 v[40:41], v[38:39], v[58:59], v[40:41]
	v_lshl_add_u64 v[38:39], s[6:7], 0, v[42:43]
	v_lshl_add_u64 v[58:59], v[0:1], 3, s[10:11]
	global_load_dwordx2 v[56:57], v[38:39], off
	v_div_fixup_f64 v[40:41], v[40:41], v[54:55], 1.0
	global_load_dwordx2 v[38:39], v[58:59], off
	global_load_dwordx2 v[26:27], v[60:61], off
	v_mul_f64 v[54:55], v[6:7], v[34:35]
	v_mul_f64 v[40:41], v[54:55], v[40:41]
	;; [unrolled: 1-line block ×3, first 2 shown]
	v_min_f64 v[40:41], v[40:41], s[0:1]
	v_mul_f64 v[10:11], v[22:23], v[10:11]
	v_lshl_add_u64 v[46:47], s[8:9], 0, v[46:47]
	v_mul_f64 v[4:5], v[4:5], v[34:35]
	v_lshl_add_u64 v[48:49], s[8:9], 0, v[48:49]
	;; [unrolled: 2-line block ×3, first 2 shown]
	v_mul_f64 v[32:33], v[32:33], v[34:35]
	s_waitcnt vmcnt(8)
	v_mul_f64 v[40:41], v[50:51], v[40:41]
	v_div_scale_f64 v[50:51], s[12:13], v[10:11], v[10:11], 1.0
	v_rcp_f64_e32 v[54:55], v[50:51]
	global_store_dwordx2 v[46:47], v[40:41], off
	s_mul_i32 s12, s4, 0x5b
	v_add_u32_e32 v0, s12, v0
	v_fma_f64 v[40:41], -v[50:51], v[54:55], 1.0
	v_fmac_f64_e32 v[54:55], v[54:55], v[40:41]
	v_fma_f64 v[40:41], -v[50:51], v[54:55], 1.0
	v_fmac_f64_e32 v[54:55], v[54:55], v[40:41]
	v_div_scale_f64 v[40:41], vcc, 1.0, v[10:11], 1.0
	v_mul_f64 v[46:47], v[40:41], v[54:55]
	v_fma_f64 v[40:41], -v[50:51], v[46:47], v[40:41]
	s_waitcnt vmcnt(6)
	v_mul_f64 v[2:3], v[2:3], v[8:9]
	v_div_fmas_f64 v[40:41], v[40:41], v[54:55], v[46:47]
	v_lshlrev_b64 v[46:47], 3, v[0:1]
	v_lshl_add_u64 v[50:51], s[6:7], 0, v[46:47]
	global_load_dwordx2 v[50:51], v[50:51], off
	v_div_fixup_f64 v[10:11], v[40:41], v[10:11], 1.0
	v_mul_f64 v[4:5], v[4:5], v[10:11]
	v_mul_f64 v[10:11], v[36:37], v[8:9]
	v_div_scale_f64 v[40:41], s[12:13], v[10:11], v[10:11], 1.0
	v_rcp_f64_e32 v[54:55], v[40:41]
	v_min_f64 v[4:5], v[4:5], s[0:1]
	s_waitcnt vmcnt(6)
	v_mul_f64 v[4:5], v[52:53], v[4:5]
	global_store_dwordx2 v[48:49], v[4:5], off
	v_fma_f64 v[4:5], -v[40:41], v[54:55], 1.0
	v_fmac_f64_e32 v[54:55], v[54:55], v[4:5]
	v_fma_f64 v[4:5], -v[40:41], v[54:55], 1.0
	v_fmac_f64_e32 v[54:55], v[54:55], v[4:5]
	v_div_scale_f64 v[4:5], vcc, 1.0, v[10:11], 1.0
	v_mul_f64 v[48:49], v[4:5], v[54:55]
	v_add_u32_e32 v0, s4, v0
	s_mul_i32 s12, s4, 0xffffffa3
	v_fma_f64 v[4:5], -v[40:41], v[48:49], v[4:5]
	v_lshlrev_b64 v[40:41], 3, v[0:1]
	v_add_u32_e32 v0, s12, v0
	v_div_fmas_f64 v[4:5], v[4:5], v[54:55], v[48:49]
	v_lshl_add_u64 v[48:49], v[0:1], 3, s[10:11]
	global_load_dwordx2 v[52:53], v[48:49], off
	v_div_fixup_f64 v[4:5], v[4:5], v[10:11], 1.0
	v_lshl_add_u64 v[54:55], s[6:7], 0, v[40:41]
	v_mul_f64 v[4:5], v[44:45], v[4:5]
	global_load_dwordx2 v[54:55], v[54:55], off
	v_min_f64 v[4:5], v[4:5], s[0:1]
	global_load_dwordx2 v[10:11], v[58:59], off
	s_waitcnt vmcnt(7)
	v_mul_f64 v[44:45], v[36:37], v[38:39]
	v_mul_f64 v[4:5], v[56:57], v[4:5]
	v_div_scale_f64 v[56:57], s[12:13], v[44:45], v[44:45], 1.0
	v_rcp_f64_e32 v[58:59], v[56:57]
	global_store_dwordx2 v[42:43], v[4:5], off
	v_add_u32_e32 v0, s5, v0
	v_mul_f64 v[36:37], v[36:37], v[36:37]
	v_fma_f64 v[4:5], -v[56:57], v[58:59], 1.0
	v_fmac_f64_e32 v[58:59], v[58:59], v[4:5]
	v_fma_f64 v[4:5], -v[56:57], v[58:59], 1.0
	v_fmac_f64_e32 v[58:59], v[58:59], v[4:5]
	v_div_scale_f64 v[4:5], vcc, 1.0, v[44:45], 1.0
	v_mul_f64 v[42:43], v[4:5], v[58:59]
	v_fma_f64 v[4:5], -v[56:57], v[42:43], v[4:5]
	v_mul_f64 v[36:37], v[36:37], v[8:9]
	s_nop 0
	v_div_fmas_f64 v[4:5], v[4:5], v[58:59], v[42:43]
	v_lshlrev_b64 v[42:43], 3, v[0:1]
	v_lshl_add_u64 v[56:57], s[6:7], 0, v[42:43]
	global_load_dwordx2 v[56:57], v[56:57], off
	v_div_fixup_f64 v[4:5], v[4:5], v[44:45], 1.0
	v_mul_f64 v[4:5], v[32:33], v[4:5]
	v_min_f64 v[4:5], v[4:5], s[0:1]
	v_mul_f64 v[36:37], v[22:23], v[36:37]
	v_add_u32_e32 v0, s4, v0
	v_lshlrev_b64 v[32:33], 3, v[0:1]
	v_lshl_add_u64 v[44:45], s[6:7], 0, v[32:33]
	global_load_dwordx2 v[44:45], v[44:45], off
	v_lshl_add_u64 v[46:47], s[8:9], 0, v[46:47]
	v_add_u32_e32 v0, s4, v0
	v_lshl_add_u64 v[40:41], s[8:9], 0, v[40:41]
	v_mul_f64 v[2:3], v[22:23], v[2:3]
	v_lshl_add_u64 v[42:43], s[8:9], 0, v[42:43]
	v_lshl_add_u64 v[32:33], s[8:9], 0, v[32:33]
	s_waitcnt vmcnt(9)
	v_mul_f64 v[28:29], v[28:29], v[26:27]
	v_mul_f64 v[6:7], v[6:7], v[8:9]
	s_mul_i32 s5, s4, 0xffffff99
	s_waitcnt vmcnt(7)
	v_mul_f64 v[4:5], v[50:51], v[4:5]
	v_div_scale_f64 v[50:51], s[12:13], v[36:37], v[36:37], 1.0
	v_rcp_f64_e32 v[58:59], v[50:51]
	global_store_dwordx2 v[46:47], v[4:5], off
	v_mul_f64 v[4:5], v[34:35], v[34:35]
	v_fma_f64 v[34:35], -v[50:51], v[58:59], 1.0
	v_fmac_f64_e32 v[58:59], v[58:59], v[34:35]
	v_fma_f64 v[34:35], -v[50:51], v[58:59], 1.0
	v_fmac_f64_e32 v[58:59], v[58:59], v[34:35]
	v_div_scale_f64 v[34:35], vcc, 1.0, v[36:37], 1.0
	v_mul_f64 v[46:47], v[34:35], v[58:59]
	v_fma_f64 v[34:35], -v[50:51], v[46:47], v[34:35]
	s_waitcnt vmcnt(4)
	v_mul_f64 v[10:11], v[26:27], v[10:11]
	v_div_fmas_f64 v[34:35], v[34:35], v[58:59], v[46:47]
	v_div_fixup_f64 v[34:35], v[34:35], v[36:37], 1.0
	v_mul_f64 v[4:5], v[4:5], v[34:35]
	v_lshlrev_b64 v[46:47], 3, v[0:1]
	v_min_f64 v[34:35], v[4:5], s[0:1]
	global_load_dwordx2 v[4:5], v[48:49], off
	v_div_scale_f64 v[36:37], s[12:13], v[52:53], v[52:53], 1.0
	v_lshl_add_u64 v[50:51], s[6:7], 0, v[46:47]
	v_rcp_f64_e32 v[48:49], v[36:37]
	global_load_dwordx2 v[50:51], v[50:51], off
	v_mul_f64 v[34:35], v[34:35], v[54:55]
	global_store_dwordx2 v[40:41], v[34:35], off
	v_fma_f64 v[34:35], -v[36:37], v[48:49], 1.0
	v_fmac_f64_e32 v[48:49], v[48:49], v[34:35]
	v_fma_f64 v[34:35], -v[36:37], v[48:49], 1.0
	v_fmac_f64_e32 v[48:49], v[48:49], v[34:35]
	v_div_scale_f64 v[34:35], vcc, 1.0, v[52:53], 1.0
	v_mul_f64 v[40:41], v[34:35], v[48:49]
	v_add_u32_e32 v0, s4, v0
	v_fma_f64 v[34:35], -v[36:37], v[40:41], v[34:35]
	v_lshlrev_b64 v[36:37], 3, v[0:1]
	v_add_u32_e32 v0, s2, v0
	v_lshl_add_u64 v[58:59], v[0:1], 3, s[10:11]
	global_load_dwordx2 v[58:59], v[58:59], off
	v_div_fmas_f64 v[34:35], v[34:35], v[48:49], v[40:41]
	v_div_scale_f64 v[40:41], s[12:13], v[2:3], v[2:3], 1.0
	v_div_fixup_f64 v[34:35], v[34:35], v[52:53], 1.0
	v_rcp_f64_e32 v[48:49], v[40:41]
	v_lshl_add_u64 v[54:55], s[6:7], 0, v[36:37]
	v_mul_f64 v[34:35], v[8:9], v[34:35]
	global_load_dwordx2 v[54:55], v[54:55], off
	v_min_f64 v[34:35], v[34:35], s[0:1]
	s_waitcnt vmcnt(7)
	v_mul_f64 v[34:35], v[56:57], v[34:35]
	global_store_dwordx2 v[42:43], v[34:35], off
	v_fma_f64 v[34:35], -v[40:41], v[48:49], 1.0
	v_fmac_f64_e32 v[48:49], v[48:49], v[34:35]
	v_fma_f64 v[34:35], -v[40:41], v[48:49], 1.0
	v_fmac_f64_e32 v[48:49], v[48:49], v[34:35]
	v_div_scale_f64 v[34:35], vcc, 1.0, v[2:3], 1.0
	v_mul_f64 v[42:43], v[34:35], v[48:49]
	v_fma_f64 v[34:35], -v[40:41], v[42:43], v[34:35]
	v_add_u32_e32 v0, s3, v0
	s_nop 0
	v_div_fmas_f64 v[34:35], v[34:35], v[48:49], v[42:43]
	v_div_fixup_f64 v[2:3], v[34:35], v[2:3], 1.0
	v_lshlrev_b64 v[34:35], 3, v[0:1]
	v_lshl_add_u64 v[40:41], s[6:7], 0, v[34:35]
	global_load_dwordx2 v[40:41], v[40:41], off
	v_mul_f64 v[2:3], v[38:39], v[2:3]
	v_div_scale_f64 v[38:39], s[12:13], v[30:31], v[30:31], 1.0
	v_rcp_f64_e32 v[42:43], v[38:39]
	v_min_f64 v[2:3], v[2:3], s[0:1]
	s_waitcnt vmcnt(8)
	v_mul_f64 v[2:3], v[2:3], v[44:45]
	global_store_dwordx2 v[32:33], v[2:3], off
	v_fma_f64 v[2:3], -v[38:39], v[42:43], 1.0
	v_fmac_f64_e32 v[42:43], v[42:43], v[2:3]
	v_fma_f64 v[2:3], -v[38:39], v[42:43], 1.0
	v_fmac_f64_e32 v[42:43], v[42:43], v[2:3]
	v_div_scale_f64 v[2:3], vcc, 1.0, v[30:31], 1.0
	v_mul_f64 v[32:33], v[2:3], v[42:43]
	v_fma_f64 v[2:3], -v[38:39], v[32:33], v[2:3]
	v_lshl_add_u64 v[38:39], s[8:9], 0, v[46:47]
	s_nop 0
	v_div_fmas_f64 v[2:3], v[2:3], v[42:43], v[32:33]
	v_div_fixup_f64 v[2:3], v[2:3], v[30:31], 1.0
	v_div_scale_f64 v[30:31], s[12:13], v[28:29], v[28:29], 1.0
	v_rcp_f64_e32 v[32:33], v[30:31]
	v_mul_f64 v[2:3], v[2:3], v[6:7]
	v_min_f64 v[2:3], v[2:3], s[0:1]
	v_add_u32_e32 v0, s4, v0
	v_lshlrev_b64 v[42:43], 3, v[0:1]
	v_lshl_add_u64 v[44:45], s[6:7], 0, v[42:43]
	global_load_dwordx2 v[44:45], v[44:45], off
	v_add_u32_e32 v0, s5, v0
	s_mul_i32 s5, s4, 0x68
	v_lshl_add_u64 v[36:37], s[8:9], 0, v[36:37]
	v_lshl_add_u64 v[42:43], s[8:9], 0, v[42:43]
	s_waitcnt vmcnt(7)
	v_mul_f64 v[2:3], v[2:3], v[50:51]
	global_store_dwordx2 v[38:39], v[2:3], off
	v_fma_f64 v[2:3], -v[30:31], v[32:33], 1.0
	v_fmac_f64_e32 v[32:33], v[32:33], v[2:3]
	v_fma_f64 v[2:3], -v[30:31], v[32:33], 1.0
	v_fmac_f64_e32 v[32:33], v[32:33], v[2:3]
	v_div_scale_f64 v[2:3], vcc, 1.0, v[28:29], 1.0
	v_mul_f64 v[38:39], v[2:3], v[32:33]
	v_fma_f64 v[2:3], -v[30:31], v[38:39], v[2:3]
	v_lshl_add_u64 v[30:31], v[0:1], 3, s[10:11]
	global_load_dwordx2 v[30:31], v[30:31], off
	v_div_fmas_f64 v[2:3], v[2:3], v[32:33], v[38:39]
	v_div_fixup_f64 v[2:3], v[2:3], v[28:29], 1.0
	v_add_u32_e32 v0, s5, v0
	s_waitcnt vmcnt(7)
	v_mul_f64 v[24:25], v[24:25], v[58:59]
	v_div_scale_f64 v[28:29], s[12:13], v[24:25], v[24:25], 1.0
	v_rcp_f64_e32 v[32:33], v[28:29]
	v_lshlrev_b64 v[38:39], 3, v[0:1]
	v_add_u32_e32 v0, s2, v0
	v_mul_f64 v[6:7], v[6:7], v[2:3]
	v_lshl_add_u64 v[48:49], v[0:1], 3, s[10:11]
	v_min_f64 v[6:7], v[6:7], s[0:1]
	global_load_dwordx2 v[48:49], v[48:49], off
	s_waitcnt vmcnt(7)
	v_mul_f64 v[6:7], v[54:55], v[6:7]
	global_store_dwordx2 v[36:37], v[6:7], off
	v_fma_f64 v[6:7], -v[28:29], v[32:33], 1.0
	v_fmac_f64_e32 v[32:33], v[32:33], v[6:7]
	v_lshl_add_u64 v[46:47], s[6:7], 0, v[38:39]
	v_fma_f64 v[6:7], -v[28:29], v[32:33], 1.0
	global_load_dwordx2 v[46:47], v[46:47], off
	v_fmac_f64_e32 v[32:33], v[32:33], v[6:7]
	v_div_scale_f64 v[6:7], vcc, 1.0, v[24:25], 1.0
	v_mul_f64 v[50:51], v[6:7], v[32:33]
	v_fma_f64 v[6:7], -v[28:29], v[50:51], v[6:7]
	v_mul_f64 v[36:37], v[14:15], v[8:9]
	s_nop 0
	v_div_fmas_f64 v[6:7], v[6:7], v[32:33], v[50:51]
	v_div_fixup_f64 v[6:7], v[6:7], v[24:25], 1.0
	v_mul_f64 v[24:25], v[36:37], v[6:7]
	v_min_f64 v[24:25], v[24:25], s[0:1]
	s_waitcnt vmcnt(7)
	v_mul_f64 v[24:25], v[40:41], v[24:25]
	v_lshl_add_u64 v[28:29], s[8:9], 0, v[34:35]
	global_store_dwordx2 v[28:29], v[24:25], off
	v_mul_f64 v[24:25], v[20:21], v[26:27]
	v_div_scale_f64 v[28:29], s[12:13], v[24:25], v[24:25], 1.0
	v_add_u32_e32 v0, s3, v0
	v_rcp_f64_e32 v[32:33], v[28:29]
	v_lshlrev_b64 v[34:35], 3, v[0:1]
	v_lshl_add_u64 v[40:41], s[6:7], 0, v[34:35]
	global_load_dwordx2 v[40:41], v[40:41], off
	v_fma_f64 v[50:51], -v[28:29], v[32:33], 1.0
	v_fmac_f64_e32 v[32:33], v[32:33], v[50:51]
	v_fma_f64 v[50:51], -v[28:29], v[32:33], 1.0
	v_fmac_f64_e32 v[32:33], v[32:33], v[50:51]
	v_div_scale_f64 v[50:51], vcc, 1.0, v[24:25], 1.0
	v_mul_f64 v[52:53], v[50:51], v[32:33]
	v_fma_f64 v[28:29], -v[28:29], v[52:53], v[50:51]
	v_add_u32_e32 v0, s4, v0
	s_nop 0
	v_div_fmas_f64 v[28:29], v[28:29], v[32:33], v[52:53]
	v_div_fixup_f64 v[24:25], v[28:29], v[24:25], 1.0
	v_lshlrev_b64 v[28:29], 3, v[0:1]
	v_lshl_add_u64 v[32:33], s[6:7], 0, v[28:29]
	global_load_dwordx2 v[32:33], v[32:33], off
	v_add_u32_e32 v0, s4, v0
	v_mul_f64 v[24:25], v[36:37], v[24:25]
	v_lshlrev_b64 v[36:37], 3, v[0:1]
	v_lshl_add_u64 v[50:51], s[6:7], 0, v[36:37]
	v_add_u32_e32 v0, s4, v0
	s_mul_i32 s2, s4, 0xffffff93
	global_load_dwordx2 v[50:51], v[50:51], off
	v_lshlrev_b64 v[52:53], 3, v[0:1]
	v_add_u32_e32 v0, s2, v0
	v_lshl_add_u64 v[56:57], v[0:1], 3, s[10:11]
	global_load_dwordx2 v[56:57], v[56:57], off
	v_lshl_add_u64 v[54:55], s[6:7], 0, v[52:53]
	global_load_dwordx2 v[54:55], v[54:55], off
	s_mulk_i32 s4, 0x6e
	v_add_u32_e32 v0, s4, v0
	v_lshlrev_b64 v[0:1], 3, v[0:1]
	v_lshl_add_u64 v[58:59], s[6:7], 0, v[0:1]
	global_load_dwordx2 v[58:59], v[58:59], off
	v_min_f64 v[24:25], v[24:25], s[0:1]
	v_div_scale_f64 v[26:27], s[2:3], v[10:11], v[10:11], 1.0
	s_waitcnt vmcnt(12)
	v_mul_f64 v[24:25], v[44:45], v[24:25]
	v_rcp_f64_e32 v[44:45], v[26:27]
	global_store_dwordx2 v[42:43], v[24:25], off
	s_waitcnt vmcnt(11)
	v_mul_f64 v[24:25], v[30:31], v[8:9]
	v_lshl_add_u64 v[0:1], s[8:9], 0, v[0:1]
	v_fma_f64 v[30:31], -v[26:27], v[44:45], 1.0
	v_fmac_f64_e32 v[44:45], v[44:45], v[30:31]
	v_fma_f64 v[30:31], -v[26:27], v[44:45], 1.0
	v_fmac_f64_e32 v[44:45], v[44:45], v[30:31]
	v_div_scale_f64 v[30:31], vcc, 1.0, v[10:11], 1.0
	v_mul_f64 v[42:43], v[30:31], v[44:45]
	v_fma_f64 v[26:27], -v[26:27], v[42:43], v[30:31]
	s_nop 1
	v_div_fmas_f64 v[26:27], v[26:27], v[44:45], v[42:43]
	v_div_fixup_f64 v[10:11], v[26:27], v[10:11], 1.0
	s_waitcnt vmcnt(10)
	v_div_scale_f64 v[26:27], s[2:3], v[48:49], v[48:49], 1.0
	v_rcp_f64_e32 v[30:31], v[26:27]
	v_mul_f64 v[10:11], v[24:25], v[10:11]
	v_min_f64 v[10:11], v[10:11], s[0:1]
	v_lshl_add_u64 v[24:25], s[8:9], 0, v[38:39]
	s_waitcnt vmcnt(8)
	v_mul_f64 v[10:11], v[46:47], v[10:11]
	global_store_dwordx2 v[24:25], v[10:11], off
	v_mul_f64 v[10:11], v[20:21], v[8:9]
	v_fma_f64 v[20:21], -v[26:27], v[30:31], 1.0
	v_fmac_f64_e32 v[30:31], v[30:31], v[20:21]
	v_fma_f64 v[20:21], -v[26:27], v[30:31], 1.0
	v_fmac_f64_e32 v[30:31], v[30:31], v[20:21]
	v_div_scale_f64 v[20:21], vcc, 1.0, v[48:49], 1.0
	v_mul_f64 v[10:11], v[22:23], v[10:11]
	v_mul_f64 v[22:23], v[20:21], v[30:31]
	v_fma_f64 v[20:21], -v[26:27], v[22:23], v[20:21]
	s_nop 0
	v_div_fmas_f64 v[20:21], v[20:21], v[30:31], v[22:23]
	v_div_fixup_f64 v[20:21], v[20:21], v[48:49], 1.0
	v_mul_f64 v[10:11], v[10:11], v[20:21]
	v_div_scale_f64 v[20:21], s[2:3], v[4:5], v[4:5], 1.0
	v_rcp_f64_e32 v[22:23], v[20:21]
	v_min_f64 v[10:11], v[10:11], s[0:1]
	v_lshl_add_u64 v[24:25], s[8:9], 0, v[34:35]
	s_waitcnt vmcnt(7)
	v_mul_f64 v[10:11], v[40:41], v[10:11]
	global_store_dwordx2 v[24:25], v[10:11], off
	v_fma_f64 v[10:11], -v[20:21], v[22:23], 1.0
	v_fmac_f64_e32 v[22:23], v[22:23], v[10:11]
	v_fma_f64 v[10:11], -v[20:21], v[22:23], 1.0
	v_fmac_f64_e32 v[22:23], v[22:23], v[10:11]
	v_div_scale_f64 v[10:11], vcc, 1.0, v[4:5], 1.0
	v_mul_f64 v[24:25], v[10:11], v[22:23]
	v_fma_f64 v[10:11], -v[20:21], v[24:25], v[10:11]
	s_nop 1
	v_div_fmas_f64 v[10:11], v[10:11], v[22:23], v[24:25]
	v_div_fixup_f64 v[10:11], v[10:11], v[4:5], 1.0
	v_mul_f64 v[8:9], v[8:9], v[10:11]
	v_min_f64 v[8:9], v[8:9], s[0:1]
	s_waitcnt vmcnt(7)
	v_mul_f64 v[8:9], v[32:33], v[8:9]
	v_lshl_add_u64 v[10:11], s[8:9], 0, v[28:29]
	global_store_dwordx2 v[10:11], v[8:9], off
	v_mul_f64 v[8:9], v[18:19], v[4:5]
	v_mul_f64 v[2:3], v[8:9], v[2:3]
	v_min_f64 v[2:3], v[2:3], s[0:1]
	s_waitcnt vmcnt(7)
	v_mul_f64 v[2:3], v[50:51], v[2:3]
	v_lshl_add_u64 v[8:9], s[8:9], 0, v[36:37]
	global_store_dwordx2 v[8:9], v[2:3], off
	v_mul_f64 v[2:3], v[14:15], v[4:5]
	v_mul_f64 v[2:3], v[2:3], v[6:7]
	s_waitcnt vmcnt(7)
	v_mul_f64 v[6:7], v[12:13], v[56:57]
	v_div_scale_f64 v[8:9], s[2:3], v[6:7], v[6:7], 1.0
	v_rcp_f64_e32 v[10:11], v[8:9]
	v_min_f64 v[2:3], v[2:3], s[0:1]
	s_waitcnt vmcnt(6)
	v_mul_f64 v[2:3], v[54:55], v[2:3]
	v_lshl_add_u64 v[12:13], s[8:9], 0, v[52:53]
	global_store_dwordx2 v[12:13], v[2:3], off
	v_mul_f64 v[2:3], v[16:17], v[4:5]
	v_fma_f64 v[4:5], -v[8:9], v[10:11], 1.0
	v_fmac_f64_e32 v[10:11], v[10:11], v[4:5]
	v_fma_f64 v[4:5], -v[8:9], v[10:11], 1.0
	v_fmac_f64_e32 v[10:11], v[10:11], v[4:5]
	v_div_scale_f64 v[4:5], vcc, 1.0, v[6:7], 1.0
	v_mul_f64 v[12:13], v[4:5], v[10:11]
	v_fma_f64 v[4:5], -v[8:9], v[12:13], v[4:5]
	s_nop 1
	v_div_fmas_f64 v[4:5], v[4:5], v[10:11], v[12:13]
	v_div_fixup_f64 v[4:5], v[4:5], v[6:7], 1.0
	v_mul_f64 v[2:3], v[2:3], v[4:5]
	v_min_f64 v[2:3], v[2:3], s[0:1]
	s_waitcnt vmcnt(6)
	v_mul_f64 v[2:3], v[58:59], v[2:3]
	global_store_dwordx2 v[0:1], v[2:3], off
	s_endpgm
	.section	.rodata,"a",@progbits
	.p2align	6, 0x0
	.amdhsa_kernel _Z12ratt6_kernelIdEvPKT_S2_PS0_S2_S0_
		.amdhsa_group_segment_fixed_size 0
		.amdhsa_private_segment_fixed_size 0
		.amdhsa_kernarg_size 296
		.amdhsa_user_sgpr_count 2
		.amdhsa_user_sgpr_dispatch_ptr 0
		.amdhsa_user_sgpr_queue_ptr 0
		.amdhsa_user_sgpr_kernarg_segment_ptr 1
		.amdhsa_user_sgpr_dispatch_id 0
		.amdhsa_user_sgpr_kernarg_preload_length 0
		.amdhsa_user_sgpr_kernarg_preload_offset 0
		.amdhsa_user_sgpr_private_segment_size 0
		.amdhsa_uses_dynamic_stack 0
		.amdhsa_enable_private_segment 0
		.amdhsa_system_sgpr_workgroup_id_x 1
		.amdhsa_system_sgpr_workgroup_id_y 0
		.amdhsa_system_sgpr_workgroup_id_z 0
		.amdhsa_system_sgpr_workgroup_info 0
		.amdhsa_system_vgpr_workitem_id 0
		.amdhsa_next_free_vgpr 62
		.amdhsa_next_free_sgpr 16
		.amdhsa_accum_offset 64
		.amdhsa_reserve_vcc 1
		.amdhsa_float_round_mode_32 0
		.amdhsa_float_round_mode_16_64 0
		.amdhsa_float_denorm_mode_32 3
		.amdhsa_float_denorm_mode_16_64 3
		.amdhsa_dx10_clamp 1
		.amdhsa_ieee_mode 1
		.amdhsa_fp16_overflow 0
		.amdhsa_tg_split 0
		.amdhsa_exception_fp_ieee_invalid_op 0
		.amdhsa_exception_fp_denorm_src 0
		.amdhsa_exception_fp_ieee_div_zero 0
		.amdhsa_exception_fp_ieee_overflow 0
		.amdhsa_exception_fp_ieee_underflow 0
		.amdhsa_exception_fp_ieee_inexact 0
		.amdhsa_exception_int_div_zero 0
	.end_amdhsa_kernel
	.section	.text._Z12ratt6_kernelIdEvPKT_S2_PS0_S2_S0_,"axG",@progbits,_Z12ratt6_kernelIdEvPKT_S2_PS0_S2_S0_,comdat
.Lfunc_end34:
	.size	_Z12ratt6_kernelIdEvPKT_S2_PS0_S2_S0_, .Lfunc_end34-_Z12ratt6_kernelIdEvPKT_S2_PS0_S2_S0_
                                        ; -- End function
	.set _Z12ratt6_kernelIdEvPKT_S2_PS0_S2_S0_.num_vgpr, 62
	.set _Z12ratt6_kernelIdEvPKT_S2_PS0_S2_S0_.num_agpr, 0
	.set _Z12ratt6_kernelIdEvPKT_S2_PS0_S2_S0_.numbered_sgpr, 16
	.set _Z12ratt6_kernelIdEvPKT_S2_PS0_S2_S0_.num_named_barrier, 0
	.set _Z12ratt6_kernelIdEvPKT_S2_PS0_S2_S0_.private_seg_size, 0
	.set _Z12ratt6_kernelIdEvPKT_S2_PS0_S2_S0_.uses_vcc, 1
	.set _Z12ratt6_kernelIdEvPKT_S2_PS0_S2_S0_.uses_flat_scratch, 0
	.set _Z12ratt6_kernelIdEvPKT_S2_PS0_S2_S0_.has_dyn_sized_stack, 0
	.set _Z12ratt6_kernelIdEvPKT_S2_PS0_S2_S0_.has_recursion, 0
	.set _Z12ratt6_kernelIdEvPKT_S2_PS0_S2_S0_.has_indirect_call, 0
	.section	.AMDGPU.csdata,"",@progbits
; Kernel info:
; codeLenInByte = 4932
; TotalNumSgprs: 22
; NumVgprs: 62
; NumAgprs: 0
; TotalNumVgprs: 62
; ScratchSize: 0
; MemoryBound: 0
; FloatMode: 240
; IeeeMode: 1
; LDSByteSize: 0 bytes/workgroup (compile time only)
; SGPRBlocks: 2
; VGPRBlocks: 7
; NumSGPRsForWavesPerEU: 22
; NumVGPRsForWavesPerEU: 62
; AccumOffset: 64
; Occupancy: 8
; WaveLimiterHint : 0
; COMPUTE_PGM_RSRC2:SCRATCH_EN: 0
; COMPUTE_PGM_RSRC2:USER_SGPR: 2
; COMPUTE_PGM_RSRC2:TRAP_HANDLER: 0
; COMPUTE_PGM_RSRC2:TGID_X_EN: 1
; COMPUTE_PGM_RSRC2:TGID_Y_EN: 0
; COMPUTE_PGM_RSRC2:TGID_Z_EN: 0
; COMPUTE_PGM_RSRC2:TIDIG_COMP_CNT: 0
; COMPUTE_PGM_RSRC3_GFX90A:ACCUM_OFFSET: 15
; COMPUTE_PGM_RSRC3_GFX90A:TG_SPLIT: 0
	.section	.text._Z12ratt7_kernelIdEvPKT_S2_PS0_S2_S0_,"axG",@progbits,_Z12ratt7_kernelIdEvPKT_S2_PS0_S2_S0_,comdat
	.protected	_Z12ratt7_kernelIdEvPKT_S2_PS0_S2_S0_ ; -- Begin function _Z12ratt7_kernelIdEvPKT_S2_PS0_S2_S0_
	.globl	_Z12ratt7_kernelIdEvPKT_S2_PS0_S2_S0_
	.p2align	8
	.type	_Z12ratt7_kernelIdEvPKT_S2_PS0_S2_S0_,@function
_Z12ratt7_kernelIdEvPKT_S2_PS0_S2_S0_:  ; @_Z12ratt7_kernelIdEvPKT_S2_PS0_S2_S0_
; %bb.0:
	s_load_dword s3, s[0:1], 0x34
	s_load_dword s14, s[0:1], 0x28
	s_load_dwordx8 s[4:11], s[0:1], 0x0
	v_mov_b32_e32 v1, 0
	s_load_dwordx2 s[0:1], s[0:1], 0x20
	s_waitcnt lgkmcnt(0)
	s_and_b32 s3, s3, 0xffff
	s_mul_i32 s2, s2, s3
	v_add_u32_e32 v0, s2, v0
	v_lshlrev_b64 v[6:7], 3, v[0:1]
	v_lshl_add_u64 v[2:3], s[4:5], 0, v[6:7]
	global_load_dwordx2 v[12:13], v[2:3], off
	s_mul_i32 s14, s14, s3
	v_add_u32_e32 v0, s14, v0
	v_mad_u64_u32 v[2:3], s[2:3], s14, 24, v[0:1]
	v_lshl_add_u64 v[14:15], v[0:1], 3, s[10:11]
	v_add_u32_e32 v0, s14, v2
	v_mov_b32_e32 v3, v1
	v_lshl_add_u64 v[20:21], v[0:1], 3, s[10:11]
	v_lshl_add_u64 v[18:19], v[2:3], 3, s[10:11]
	global_load_dwordx2 v[4:5], v[14:15], off
	global_load_dwordx2 v[8:9], v[18:19], off
	;; [unrolled: 1-line block ×3, first 2 shown]
	s_mul_i32 s2, s14, 0x63
	v_add_u32_e32 v0, s2, v0
	s_mul_i32 s2, s14, 0xffffff9b
	v_lshlrev_b64 v[22:23], 3, v[0:1]
	v_add_u32_e32 v0, s2, v0
	v_lshl_add_u64 v[24:25], s[10:11], 0, v[6:7]
	v_lshl_add_u64 v[16:17], v[0:1], 3, s[10:11]
	global_load_dwordx2 v[6:7], v[24:25], off
	global_load_dwordx2 v[10:11], v[16:17], off
	v_lshl_add_u64 v[16:17], s[6:7], 0, v[22:23]
	global_load_dwordx2 v[16:17], v[16:17], off
	s_mul_i32 s16, s14, 0x66
	v_add_u32_e32 v0, s16, v0
	v_lshlrev_b64 v[36:37], 3, v[0:1]
	global_load_dwordx2 v[26:27], v[18:19], off
	global_load_dwordx2 v[28:29], v[14:15], off
	;; [unrolled: 1-line block ×3, first 2 shown]
	v_lshl_add_u64 v[20:21], s[6:7], 0, v[36:37]
	global_load_dwordx2 v[34:35], v[20:21], off
	s_mul_i32 s18, s14, 0xffffff8d
	s_lshl_b32 s17, s14, 1
	v_add_u32_e32 v0, s18, v0
	s_mul_i32 s15, s14, 0x72
	global_load_dwordx2 v[14:15], v[24:25], off
	v_lshl_add_u64 v[24:25], v[0:1], 3, s[10:11]
	v_add_u32_e32 v0, s17, v0
	s_brev_b32 s12, 12
	v_lshl_add_u64 v[38:39], v[0:1], 3, s[10:11]
	v_add_u32_e32 v0, s15, v0
	s_mov_b32 s13, 0x4193d2c6
	v_lshlrev_b64 v[44:45], 3, v[0:1]
	v_lshl_add_u64 v[20:21], s[6:7], 0, v[44:45]
	global_load_dwordx2 v[40:41], v[24:25], off
	global_load_dwordx2 v[42:43], v[38:39], off
	;; [unrolled: 1-line block ×3, first 2 shown]
	v_lshl_add_u64 v[18:19], s[8:9], 0, v[22:23]
	s_mov_b32 s4, 0
	s_mov_b32 s5, 0x412eec04
	;; [unrolled: 1-line block ×4, first 2 shown]
	s_mul_i32 s19, s14, 0xffffff83
	v_add_u32_e32 v0, s19, v0
	v_lshl_add_u64 v[46:47], v[0:1], 3, s[10:11]
	v_add_u32_e32 v0, s17, v0
	v_lshl_add_u64 v[50:51], v[0:1], 3, s[10:11]
	v_lshl_add_u64 v[36:37], s[8:9], 0, v[36:37]
	;; [unrolled: 1-line block ×3, first 2 shown]
	s_waitcnt vmcnt(14)
	v_mul_f64 v[12:13], s[0:1], v[12:13]
	v_mul_f64 v[12:13], v[12:13], s[12:13]
	v_div_scale_f64 v[20:21], s[0:1], v[12:13], v[12:13], 1.0
	v_rcp_f64_e32 v[52:53], v[20:21]
	v_div_scale_f64 v[22:23], vcc, 1.0, v[12:13], 1.0
	v_fma_f64 v[58:59], -v[20:21], v[52:53], 1.0
	v_fmac_f64_e32 v[52:53], v[52:53], v[58:59]
	v_fma_f64 v[58:59], -v[20:21], v[52:53], 1.0
	v_fmac_f64_e32 v[52:53], v[52:53], v[58:59]
	s_waitcnt vmcnt(11)
	v_div_scale_f64 v[54:55], s[0:1], v[2:3], v[2:3], 1.0
	v_mul_f64 v[58:59], v[22:23], v[52:53]
	v_fma_f64 v[20:21], -v[20:21], v[58:59], v[22:23]
	v_rcp_f64_e32 v[22:23], v[54:55]
	v_div_fmas_f64 v[20:21], v[20:21], v[52:53], v[58:59]
	v_div_scale_f64 v[56:57], s[0:1], 1.0, v[2:3], 1.0
	v_fma_f64 v[58:59], -v[54:55], v[22:23], 1.0
	v_fmac_f64_e32 v[22:23], v[22:23], v[58:59]
	v_fma_f64 v[58:59], -v[54:55], v[22:23], 1.0
	v_fmac_f64_e32 v[22:23], v[22:23], v[58:59]
	v_mul_f64 v[58:59], v[56:57], v[22:23]
	v_fma_f64 v[54:55], -v[54:55], v[58:59], v[56:57]
	v_div_fixup_f64 v[12:13], v[20:21], v[12:13], 1.0
	s_mov_b64 vcc, s[0:1]
	v_mul_f64 v[32:33], v[4:5], v[8:9]
	v_div_fmas_f64 v[20:21], v[54:55], v[22:23], v[58:59]
	v_mul_f64 v[12:13], v[12:13], s[4:5]
	v_div_fixup_f64 v[20:21], v[20:21], v[2:3], 1.0
	v_mul_f64 v[22:23], v[32:33], v[12:13]
	v_mul_f64 v[20:21], v[20:21], v[22:23]
	v_min_f64 v[20:21], v[20:21], s[2:3]
	s_waitcnt vmcnt(8)
	v_mul_f64 v[16:17], v[16:17], v[20:21]
	global_store_dwordx2 v[18:19], v[16:17], off
	global_load_dwordx2 v[22:23], v[46:47], off
	global_load_dwordx2 v[20:21], v[50:51], off
	v_mul_f64 v[52:53], v[6:7], v[10:11]
	v_div_scale_f64 v[56:57], s[12:13], v[52:53], v[52:53], 1.0
	v_rcp_f64_e32 v[60:61], v[56:57]
	s_mul_i32 s0, s14, 0x7c
	v_add_u32_e32 v0, s0, v0
	s_mul_i32 s0, s14, 0xffffff89
	v_fma_f64 v[16:17], -v[56:57], v[60:61], 1.0
	v_fmac_f64_e32 v[60:61], v[60:61], v[16:17]
	v_fma_f64 v[16:17], -v[56:57], v[60:61], 1.0
	v_lshlrev_b64 v[46:47], 3, v[0:1]
	v_add_u32_e32 v0, s0, v0
	v_fmac_f64_e32 v[60:61], v[60:61], v[16:17]
	v_div_scale_f64 v[16:17], vcc, 1.0, v[52:53], 1.0
	v_mad_u64_u32 v[54:55], s[4:5], s14, 5, v[0:1]
	v_mul_f64 v[18:19], v[16:17], v[60:61]
	v_lshl_add_u64 v[50:51], v[0:1], 3, s[10:11]
	v_mov_b32_e32 v55, v1
	v_fma_f64 v[16:17], -v[56:57], v[18:19], v[16:17]
	v_lshl_add_u64 v[56:57], v[54:55], 3, s[10:11]
	global_load_dwordx2 v[58:59], v[50:51], off
	global_load_dwordx2 v[62:63], v[56:57], off
	v_div_fmas_f64 v[16:17], v[16:17], v[60:61], v[18:19]
	v_lshl_add_u64 v[18:19], s[6:7], 0, v[46:47]
	global_load_dwordx2 v[50:51], v[18:19], off
	s_mul_i32 s1, s14, 0x73
	v_div_fixup_f64 v[16:17], v[16:17], v[52:53], 1.0
	v_add_u32_e32 v0, s1, v54
	s_mul_i32 s4, s14, 0xffffff84
	v_mul_f64 v[16:17], v[32:33], v[16:17]
	v_lshlrev_b64 v[54:55], 3, v[0:1]
	v_add_u32_e32 v0, s4, v0
	v_min_f64 v[16:17], v[16:17], s[2:3]
	v_lshl_add_u64 v[56:57], v[0:1], 3, s[10:11]
	s_waitcnt vmcnt(10)
	v_mul_f64 v[52:53], v[34:35], v[16:17]
	global_load_dwordx2 v[34:35], v[56:57], off
	global_load_dwordx2 v[18:19], v[38:39], off
	;; [unrolled: 1-line block ×3, first 2 shown]
	v_lshl_add_u64 v[38:39], s[6:7], 0, v[54:55]
	global_load_dwordx2 v[38:39], v[38:39], off
	s_waitcnt vmcnt(11)
	v_mul_f64 v[24:25], v[40:41], v[42:43]
	v_div_scale_f64 v[40:41], s[4:5], v[24:25], v[24:25], 1.0
	v_rcp_f64_e32 v[42:43], v[40:41]
	global_store_dwordx2 v[36:37], v[52:53], off
	v_lshl_add_u64 v[46:47], s[8:9], 0, v[46:47]
	s_mul_i32 s12, s14, 0xffffff8f
	v_fma_f64 v[36:37], -v[40:41], v[42:43], 1.0
	v_fmac_f64_e32 v[42:43], v[42:43], v[36:37]
	v_fma_f64 v[36:37], -v[40:41], v[42:43], 1.0
	v_fmac_f64_e32 v[42:43], v[42:43], v[36:37]
	v_div_scale_f64 v[36:37], vcc, 1.0, v[24:25], 1.0
	v_mul_f64 v[52:53], v[36:37], v[42:43]
	v_fma_f64 v[36:37], -v[40:41], v[52:53], v[36:37]
	s_mul_i32 s13, s14, 0x83
	s_nop 0
	v_div_fmas_f64 v[36:37], v[36:37], v[42:43], v[52:53]
	v_div_fixup_f64 v[36:37], v[36:37], v[24:25], 1.0
	v_mul_f64 v[24:25], v[32:33], v[36:37]
	v_min_f64 v[24:25], v[24:25], s[2:3]
	s_waitcnt vmcnt(11)
	v_mul_f64 v[24:25], v[48:49], v[24:25]
	global_store_dwordx2 v[44:45], v[24:25], off
	s_waitcnt vmcnt(10)
	v_mul_f64 v[24:25], v[8:9], v[22:23]
	s_waitcnt vmcnt(9)
	v_mul_f64 v[40:41], v[10:11], v[20:21]
	v_div_scale_f64 v[42:43], s[4:5], v[40:41], v[40:41], 1.0
	v_rcp_f64_e32 v[48:49], v[42:43]
	v_mul_f64 v[8:9], v[8:9], v[20:21]
	v_fma_f64 v[44:45], -v[42:43], v[48:49], 1.0
	v_fmac_f64_e32 v[48:49], v[48:49], v[44:45]
	v_fma_f64 v[44:45], -v[42:43], v[48:49], 1.0
	v_fmac_f64_e32 v[48:49], v[48:49], v[44:45]
	v_div_scale_f64 v[44:45], vcc, 1.0, v[40:41], 1.0
	v_mul_f64 v[52:53], v[44:45], v[48:49]
	v_fma_f64 v[42:43], -v[42:43], v[52:53], v[44:45]
	s_nop 1
	v_div_fmas_f64 v[42:43], v[42:43], v[48:49], v[52:53]
	v_div_fixup_f64 v[40:41], v[42:43], v[40:41], 1.0
	v_mul_f64 v[40:41], v[24:25], v[40:41]
	v_min_f64 v[40:41], v[40:41], s[2:3]
	s_waitcnt vmcnt(7)
	v_mul_f64 v[42:43], v[58:59], v[62:63]
	v_div_scale_f64 v[44:45], s[4:5], v[42:43], v[42:43], 1.0
	v_rcp_f64_e32 v[48:49], v[44:45]
	s_waitcnt vmcnt(6)
	v_mul_f64 v[40:41], v[50:51], v[40:41]
	global_store_dwordx2 v[46:47], v[40:41], off
	s_mul_i32 s4, s14, 0x7d
	v_fma_f64 v[40:41], -v[44:45], v[48:49], 1.0
	v_fmac_f64_e32 v[48:49], v[48:49], v[40:41]
	v_fma_f64 v[40:41], -v[44:45], v[48:49], 1.0
	v_fmac_f64_e32 v[48:49], v[48:49], v[40:41]
	v_div_scale_f64 v[40:41], vcc, 1.0, v[42:43], 1.0
	v_mul_f64 v[46:47], v[40:41], v[48:49]
	v_add_u32_e32 v0, s4, v0
	s_mul_i32 s4, s14, 0xffffff92
	v_fma_f64 v[40:41], -v[44:45], v[46:47], v[40:41]
	v_lshlrev_b64 v[44:45], 3, v[0:1]
	v_add_u32_e32 v0, s4, v0
	v_lshl_add_u64 v[50:51], v[0:1], 3, s[10:11]
	v_add_u32_e32 v0, s14, v0
	v_lshl_add_u64 v[52:53], v[0:1], 3, s[10:11]
	global_load_dwordx2 v[56:57], v[52:53], off
	v_lshl_add_u64 v[58:59], s[6:7], 0, v[44:45]
	global_load_dwordx2 v[58:59], v[58:59], off
	v_div_fmas_f64 v[40:41], v[40:41], v[48:49], v[46:47]
	v_div_fixup_f64 v[40:41], v[40:41], v[42:43], 1.0
	v_mul_f64 v[24:25], v[24:25], v[40:41]
	s_waitcnt vmcnt(8)
	v_mul_f64 v[40:41], v[10:11], v[34:35]
	v_div_scale_f64 v[42:43], s[4:5], v[40:41], v[40:41], 1.0
	v_rcp_f64_e32 v[46:47], v[42:43]
	v_min_f64 v[24:25], v[24:25], s[2:3]
	s_waitcnt vmcnt(5)
	v_mul_f64 v[10:11], v[38:39], v[24:25]
	v_lshl_add_u64 v[24:25], s[8:9], 0, v[54:55]
	global_store_dwordx2 v[24:25], v[10:11], off
	v_fma_f64 v[10:11], -v[42:43], v[46:47], 1.0
	v_fmac_f64_e32 v[46:47], v[46:47], v[10:11]
	v_fma_f64 v[10:11], -v[42:43], v[46:47], 1.0
	v_fmac_f64_e32 v[46:47], v[46:47], v[10:11]
	v_div_scale_f64 v[24:25], vcc, 1.0, v[40:41], 1.0
	s_mul_i32 s4, s14, 0x6e
	v_mul_f64 v[48:49], v[24:25], v[46:47]
	v_add_u32_e32 v0, s4, v0
	v_fma_f64 v[24:25], -v[42:43], v[48:49], v[24:25]
	v_lshlrev_b64 v[42:43], 3, v[0:1]
	v_add_u32_e32 v0, s12, v0
	v_lshl_add_u64 v[54:55], v[0:1], 3, s[10:11]
	global_load_dwordx2 v[38:39], v[54:55], off
	global_load_dwordx2 v[10:11], v[50:51], off
	v_div_fmas_f64 v[24:25], v[24:25], v[46:47], v[48:49]
	v_lshl_add_u64 v[46:47], s[6:7], 0, v[42:43]
	global_load_dwordx2 v[46:47], v[46:47], off
	v_div_fixup_f64 v[24:25], v[24:25], v[40:41], 1.0
	v_mul_f64 v[8:9], v[8:9], v[24:25]
	v_min_f64 v[40:41], v[8:9], s[2:3]
	global_load_dwordx2 v[24:25], v[52:53], off
	global_load_dwordx2 v[8:9], v[50:51], off
	v_lshl_add_u64 v[44:45], s[8:9], 0, v[44:45]
	v_add_u32_e32 v0, s15, v0
	v_lshl_add_u64 v[42:43], s[8:9], 0, v[42:43]
	s_waitcnt vmcnt(7)
	v_div_scale_f64 v[48:49], s[4:5], v[56:57], v[56:57], 1.0
	v_rcp_f64_e32 v[50:51], v[48:49]
	s_waitcnt vmcnt(6)
	v_mul_f64 v[40:41], v[58:59], v[40:41]
	global_store_dwordx2 v[44:45], v[40:41], off
	v_lshlrev_b64 v[44:45], 3, v[0:1]
	v_add_u32_e32 v0, s12, v0
	v_fma_f64 v[40:41], -v[48:49], v[50:51], 1.0
	v_lshl_add_u64 v[52:53], v[0:1], 3, s[10:11]
	v_fmac_f64_e32 v[50:51], v[50:51], v[40:41]
	global_load_dwordx2 v[52:53], v[52:53], off
	v_fma_f64 v[40:41], -v[48:49], v[50:51], 1.0
	v_fmac_f64_e32 v[50:51], v[50:51], v[40:41]
	v_div_scale_f64 v[40:41], vcc, 1.0, v[56:57], 1.0
	v_mul_f64 v[58:59], v[40:41], v[50:51]
	v_fma_f64 v[40:41], -v[48:49], v[58:59], v[40:41]
	v_lshl_add_u64 v[48:49], s[6:7], 0, v[44:45]
	global_load_dwordx2 v[48:49], v[48:49], off
	v_add_u32_e32 v0, s15, v0
	v_lshl_add_u64 v[44:45], s[8:9], 0, v[44:45]
	s_mul_i32 s12, s14, 0xffffff7b
	s_waitcnt vmcnt(6)
	v_mul_f64 v[60:61], v[4:5], v[10:11]
	v_div_fmas_f64 v[4:5], v[40:41], v[50:51], v[58:59]
	v_mul_f64 v[40:41], v[12:13], v[60:61]
	v_div_fixup_f64 v[4:5], v[4:5], v[56:57], 1.0
	v_mul_f64 v[4:5], v[40:41], v[4:5]
	v_mul_f64 v[50:51], v[6:7], v[38:39]
	v_min_f64 v[40:41], v[4:5], s[2:3]
	global_load_dwordx2 v[4:5], v[54:55], off
	v_div_scale_f64 v[54:55], s[4:5], v[50:51], v[50:51], 1.0
	v_rcp_f64_e32 v[56:57], v[54:55]
	s_waitcnt vmcnt(6)
	v_mul_f64 v[40:41], v[46:47], v[40:41]
	global_store_dwordx2 v[42:43], v[40:41], off
	v_lshlrev_b64 v[46:47], 3, v[0:1]
	v_fma_f64 v[40:41], -v[54:55], v[56:57], 1.0
	v_fmac_f64_e32 v[56:57], v[56:57], v[40:41]
	v_fma_f64 v[40:41], -v[54:55], v[56:57], 1.0
	v_fmac_f64_e32 v[56:57], v[56:57], v[40:41]
	v_div_scale_f64 v[40:41], vcc, 1.0, v[50:51], 1.0
	v_mul_f64 v[42:43], v[40:41], v[56:57]
	v_fma_f64 v[40:41], -v[54:55], v[42:43], v[40:41]
	v_lshl_add_u64 v[54:55], s[6:7], 0, v[46:47]
	global_load_dwordx2 v[54:55], v[54:55], off
	v_div_fmas_f64 v[40:41], v[40:41], v[56:57], v[42:43]
	v_div_fixup_f64 v[40:41], v[40:41], v[50:51], 1.0
	v_mul_f64 v[40:41], v[60:61], v[40:41]
	v_min_f64 v[40:41], v[40:41], s[2:3]
	v_add_u32_e32 v0, s14, v0
	v_lshl_add_u64 v[46:47], s[8:9], 0, v[46:47]
	s_waitcnt vmcnt(4)
	v_mul_f64 v[6:7], v[6:7], v[52:53]
	v_div_scale_f64 v[42:43], s[4:5], v[6:7], v[6:7], 1.0
	v_rcp_f64_e32 v[50:51], v[42:43]
	s_waitcnt vmcnt(3)
	v_mul_f64 v[40:41], v[48:49], v[40:41]
	global_store_dwordx2 v[44:45], v[40:41], off
	v_fma_f64 v[40:41], -v[42:43], v[50:51], 1.0
	v_fmac_f64_e32 v[50:51], v[50:51], v[40:41]
	v_fma_f64 v[40:41], -v[42:43], v[50:51], 1.0
	v_fmac_f64_e32 v[50:51], v[50:51], v[40:41]
	v_div_scale_f64 v[40:41], vcc, 1.0, v[6:7], 1.0
	v_mul_f64 v[44:45], v[40:41], v[50:51]
	v_lshlrev_b64 v[48:49], 3, v[0:1]
	v_add_u32_e32 v0, s14, v0
	v_fma_f64 v[40:41], -v[42:43], v[44:45], v[40:41]
	v_lshlrev_b64 v[42:43], 3, v[0:1]
	v_add_u32_e32 v0, s14, v0
	v_div_fmas_f64 v[40:41], v[40:41], v[50:51], v[44:45]
	v_lshlrev_b64 v[50:51], 3, v[0:1]
	v_lshl_add_u64 v[52:53], s[6:7], 0, v[48:49]
	v_lshl_add_u64 v[56:57], s[6:7], 0, v[42:43]
	;; [unrolled: 1-line block ×3, first 2 shown]
	global_load_dwordx2 v[56:57], v[56:57], off
	v_div_fixup_f64 v[6:7], v[40:41], v[6:7], 1.0
	global_load_dwordx2 v[58:59], v[58:59], off
	v_div_scale_f64 v[40:41], s[4:5], v[32:33], v[32:33], 1.0
	global_load_dwordx2 v[52:53], v[52:53], off
	v_rcp_f64_e32 v[44:45], v[40:41]
	v_mul_f64 v[6:7], v[60:61], v[6:7]
	v_min_f64 v[6:7], v[6:7], s[2:3]
	v_add_u32_e32 v0, s12, v0
	v_lshl_add_u64 v[42:43], s[8:9], 0, v[42:43]
	v_lshl_add_u64 v[50:51], s[8:9], 0, v[50:51]
	s_waitcnt vmcnt(4)
	v_mul_f64 v[6:7], v[54:55], v[6:7]
	global_store_dwordx2 v[46:47], v[6:7], off
	v_fma_f64 v[6:7], -v[40:41], v[44:45], 1.0
	v_fmac_f64_e32 v[44:45], v[44:45], v[6:7]
	v_fma_f64 v[6:7], -v[40:41], v[44:45], 1.0
	v_fmac_f64_e32 v[44:45], v[44:45], v[6:7]
	v_div_scale_f64 v[6:7], vcc, 1.0, v[32:33], 1.0
	v_mad_u64_u32 v[54:55], s[4:5], s14, 3, v[0:1]
	v_mul_f64 v[46:47], v[6:7], v[44:45]
	v_mov_b32_e32 v55, v1
	v_fma_f64 v[6:7], -v[40:41], v[46:47], v[6:7]
	v_lshl_add_u64 v[40:41], v[54:55], 3, s[10:11]
	global_load_dwordx2 v[40:41], v[40:41], off
	v_div_fmas_f64 v[6:7], v[6:7], v[44:45], v[46:47]
	v_lshl_add_u64 v[44:45], v[0:1], 3, s[10:11]
	global_load_dwordx2 v[44:45], v[44:45], off
	v_add_u32_e32 v0, s13, v54
	v_lshlrev_b64 v[54:55], 3, v[0:1]
	v_div_fixup_f64 v[6:7], v[6:7], v[32:33], 1.0
	v_lshl_add_u64 v[32:33], s[6:7], 0, v[54:55]
	global_load_dwordx2 v[60:61], v[32:33], off
	v_mul_f64 v[46:47], v[22:23], v[10:11]
	v_mul_f64 v[6:7], v[6:7], v[46:47]
	v_min_f64 v[6:7], v[6:7], s[2:3]
	v_lshl_add_u64 v[32:33], s[8:9], 0, v[48:49]
	v_add_u32_e32 v0, s14, v0
	v_mul_f64 v[22:23], v[2:3], v[22:23]
	v_lshl_add_u64 v[54:55], s[8:9], 0, v[54:55]
	v_mul_f64 v[2:3], v[2:3], v[20:21]
	s_waitcnt vmcnt(4)
	v_mul_f64 v[6:7], v[6:7], v[52:53]
	global_store_dwordx2 v[32:33], v[6:7], off
	v_mul_f64 v[32:33], v[34:35], v[38:39]
	v_div_scale_f64 v[34:35], s[4:5], v[32:33], v[32:33], 1.0
	v_mul_f64 v[6:7], v[36:37], v[46:47]
	v_rcp_f64_e32 v[36:37], v[34:35]
	v_min_f64 v[6:7], v[6:7], s[2:3]
	v_mul_f64 v[6:7], v[6:7], v[56:57]
	global_store_dwordx2 v[42:43], v[6:7], off
	v_fma_f64 v[42:43], -v[34:35], v[36:37], 1.0
	v_fmac_f64_e32 v[36:37], v[36:37], v[42:43]
	v_fma_f64 v[42:43], -v[34:35], v[36:37], 1.0
	v_fmac_f64_e32 v[36:37], v[36:37], v[42:43]
	v_div_scale_f64 v[42:43], vcc, 1.0, v[32:33], 1.0
	v_mul_f64 v[46:47], v[42:43], v[36:37]
	v_fma_f64 v[34:35], -v[34:35], v[46:47], v[42:43]
	v_mul_f64 v[6:7], v[20:21], v[10:11]
	s_nop 0
	v_div_fmas_f64 v[34:35], v[34:35], v[36:37], v[46:47]
	v_div_fixup_f64 v[32:33], v[34:35], v[32:33], 1.0
	v_lshlrev_b64 v[34:35], 3, v[0:1]
	v_mul_f64 v[6:7], v[6:7], v[32:33]
	v_lshl_add_u64 v[32:33], s[6:7], 0, v[34:35]
	s_mul_i32 s4, s14, 0xffffff85
	global_load_dwordx2 v[36:37], v[32:33], off
	v_add_u32_e32 v0, s4, v0
	v_lshl_add_u64 v[42:43], v[0:1], 3, s[10:11]
	v_add_u32_e32 v0, s14, v0
	v_lshl_add_u64 v[46:47], v[0:1], 3, s[10:11]
	global_load_dwordx2 v[32:33], v[42:43], off
	global_load_dwordx2 v[48:49], v[46:47], off
	s_waitcnt vmcnt(7)
	v_mul_f64 v[38:39], v[38:39], v[40:41]
	v_div_scale_f64 v[46:47], s[4:5], v[38:39], v[38:39], 1.0
	v_rcp_f64_e32 v[52:53], v[46:47]
	v_min_f64 v[6:7], v[6:7], s[2:3]
	v_mul_f64 v[6:7], v[6:7], v[58:59]
	global_store_dwordx2 v[50:51], v[6:7], off
	v_fma_f64 v[6:7], -v[46:47], v[52:53], 1.0
	v_fmac_f64_e32 v[52:53], v[52:53], v[6:7]
	v_fma_f64 v[6:7], -v[46:47], v[52:53], 1.0
	v_fmac_f64_e32 v[52:53], v[52:53], v[6:7]
	v_div_scale_f64 v[6:7], vcc, 1.0, v[38:39], 1.0
	s_mul_i32 s4, s14, 0x7b
	v_mul_f64 v[50:51], v[6:7], v[52:53]
	v_add_u32_e32 v0, s4, v0
	v_fma_f64 v[6:7], -v[46:47], v[50:51], v[6:7]
	v_lshlrev_b64 v[46:47], 3, v[0:1]
	v_lshl_add_u64 v[56:57], s[6:7], 0, v[46:47]
	global_load_dwordx2 v[56:57], v[56:57], off
	v_div_fmas_f64 v[6:7], v[6:7], v[52:53], v[50:51]
	v_div_fixup_f64 v[6:7], v[6:7], v[38:39], 1.0
	v_div_scale_f64 v[38:39], s[4:5], v[22:23], v[22:23], 1.0
	s_waitcnt vmcnt(8)
	v_mul_f64 v[44:45], v[10:11], v[44:45]
	v_rcp_f64_e32 v[58:59], v[38:39]
	v_mul_f64 v[6:7], v[44:45], v[6:7]
	v_add_u32_e32 v0, s14, v0
	v_min_f64 v[6:7], v[6:7], s[2:3]
	v_lshlrev_b64 v[50:51], 3, v[0:1]
	s_waitcnt vmcnt(7)
	v_mul_f64 v[6:7], v[60:61], v[6:7]
	v_lshl_add_u64 v[52:53], s[6:7], 0, v[50:51]
	global_load_dwordx2 v[52:53], v[52:53], off
	v_add_u32_e32 v0, s12, v0
	global_store_dwordx2 v[54:55], v[6:7], off
	v_fma_f64 v[6:7], -v[38:39], v[58:59], 1.0
	v_fmac_f64_e32 v[58:59], v[58:59], v[6:7]
	v_fma_f64 v[6:7], -v[38:39], v[58:59], 1.0
	v_fmac_f64_e32 v[58:59], v[58:59], v[6:7]
	v_div_scale_f64 v[6:7], vcc, 1.0, v[22:23], 1.0
	v_mul_f64 v[54:55], v[6:7], v[58:59]
	v_fma_f64 v[6:7], -v[38:39], v[54:55], v[6:7]
	v_lshl_add_u64 v[38:39], v[0:1], 3, s[10:11]
	global_load_dwordx2 v[38:39], v[38:39], off
	v_div_fmas_f64 v[6:7], v[6:7], v[58:59], v[54:55]
	v_div_fixup_f64 v[6:7], v[6:7], v[22:23], 1.0
	v_mul_f64 v[6:7], v[6:7], v[44:45]
	s_mul_i32 s4, s14, 0x86
	v_min_f64 v[6:7], v[6:7], s[2:3]
	v_add_u32_e32 v0, s4, v0
	v_lshl_add_u64 v[34:35], s[8:9], 0, v[34:35]
	v_lshl_add_u64 v[46:47], s[8:9], 0, v[46:47]
	s_waitcnt vmcnt(7)
	v_mul_f64 v[22:23], v[6:7], v[36:37]
	v_lshlrev_b64 v[36:37], 3, v[0:1]
	v_lshl_add_u64 v[54:55], s[6:7], 0, v[36:37]
	global_load_dwordx2 v[58:59], v[54:55], off
	global_load_dwordx2 v[6:7], v[42:43], off
	v_add_u32_e32 v0, s14, v0
	s_waitcnt vmcnt(7)
	v_mul_f64 v[42:43], v[32:33], v[48:49]
	v_div_scale_f64 v[48:49], s[4:5], v[42:43], v[42:43], 1.0
	v_rcp_f64_e32 v[54:55], v[48:49]
	global_store_dwordx2 v[34:35], v[22:23], off
	v_lshlrev_b64 v[20:21], 3, v[0:1]
	s_mul_i32 s4, s14, 0xffffff7e
	v_fma_f64 v[22:23], -v[48:49], v[54:55], 1.0
	v_fmac_f64_e32 v[54:55], v[54:55], v[22:23]
	v_fma_f64 v[22:23], -v[48:49], v[54:55], 1.0
	v_fmac_f64_e32 v[54:55], v[54:55], v[22:23]
	v_div_scale_f64 v[22:23], vcc, 1.0, v[42:43], 1.0
	v_mul_f64 v[34:35], v[22:23], v[54:55]
	v_fma_f64 v[22:23], -v[48:49], v[34:35], v[22:23]
	v_add_u32_e32 v0, s4, v0
	s_nop 0
	v_div_fmas_f64 v[22:23], v[22:23], v[54:55], v[34:35]
	v_lshl_add_u64 v[34:35], s[6:7], 0, v[20:21]
	v_div_fixup_f64 v[22:23], v[22:23], v[42:43], 1.0
	global_load_dwordx2 v[34:35], v[34:35], off
	v_lshl_add_u64 v[42:43], v[0:1], 3, s[10:11]
	global_load_dwordx2 v[42:43], v[42:43], off
	v_mul_f64 v[22:23], v[44:45], v[22:23]
	v_div_scale_f64 v[44:45], s[4:5], v[2:3], v[2:3], 1.0
	v_rcp_f64_e32 v[48:49], v[44:45]
	v_min_f64 v[22:23], v[22:23], s[2:3]
	s_waitcnt vmcnt(8)
	v_mul_f64 v[22:23], v[56:57], v[22:23]
	global_store_dwordx2 v[46:47], v[22:23], off
	v_fma_f64 v[46:47], -v[44:45], v[48:49], 1.0
	v_fmac_f64_e32 v[48:49], v[48:49], v[46:47]
	v_fma_f64 v[46:47], -v[44:45], v[48:49], 1.0
	v_fmac_f64_e32 v[48:49], v[48:49], v[46:47]
	v_div_scale_f64 v[46:47], vcc, 1.0, v[2:3], 1.0
	v_mul_f64 v[54:55], v[46:47], v[48:49]
	v_fma_f64 v[44:45], -v[44:45], v[54:55], v[46:47]
	v_mul_f64 v[22:23], v[10:11], v[40:41]
	s_nop 0
	v_div_fmas_f64 v[44:45], v[44:45], v[48:49], v[54:55]
	v_mul_f64 v[40:41], v[40:41], v[24:25]
	v_div_fixup_f64 v[2:3], v[44:45], v[2:3], 1.0
	v_div_scale_f64 v[44:45], s[4:5], v[40:41], v[40:41], 1.0
	v_mul_f64 v[2:3], v[2:3], v[22:23]
	v_add_u32_e32 v0, s13, v0
	s_mul_i32 s4, s14, 0xffffff8e
	v_min_f64 v[2:3], v[2:3], s[2:3]
	v_lshlrev_b64 v[48:49], 3, v[0:1]
	v_add_u32_e32 v0, s4, v0
	s_waitcnt vmcnt(8)
	v_mul_f64 v[2:3], v[2:3], v[52:53]
	v_lshl_add_u64 v[52:53], v[0:1], 3, s[10:11]
	global_load_dwordx2 v[52:53], v[52:53], off
	v_rcp_f64_e32 v[46:47], v[44:45]
	v_lshl_add_u64 v[22:23], s[8:9], 0, v[50:51]
	v_lshl_add_u64 v[50:51], s[6:7], 0, v[48:49]
	global_load_dwordx2 v[50:51], v[50:51], off
	v_add_u32_e32 v0, s1, v0
	global_store_dwordx2 v[22:23], v[2:3], off
	s_waitcnt vmcnt(9)
	v_mul_f64 v[2:3], v[10:11], v[38:39]
	v_fma_f64 v[10:11], -v[44:45], v[46:47], 1.0
	v_fmac_f64_e32 v[46:47], v[46:47], v[10:11]
	v_fma_f64 v[10:11], -v[44:45], v[46:47], 1.0
	v_fmac_f64_e32 v[46:47], v[46:47], v[10:11]
	v_div_scale_f64 v[10:11], vcc, 1.0, v[40:41], 1.0
	v_mul_f64 v[22:23], v[10:11], v[46:47]
	v_fma_f64 v[10:11], -v[44:45], v[22:23], v[10:11]
	s_mul_i32 s1, s14, 0xffffff8c
	s_nop 0
	v_div_fmas_f64 v[10:11], v[10:11], v[46:47], v[22:23]
	v_div_fixup_f64 v[10:11], v[10:11], v[40:41], 1.0
	v_lshlrev_b64 v[22:23], 3, v[0:1]
	v_add_u32_e32 v0, s1, v0
	v_mul_f64 v[2:3], v[2:3], v[10:11]
	v_mul_f64 v[10:11], v[18:19], v[24:25]
	v_lshl_add_u64 v[24:25], v[0:1], 3, s[10:11]
	global_load_dwordx2 v[24:25], v[24:25], off
	v_lshl_add_u64 v[40:41], s[6:7], 0, v[22:23]
	global_load_dwordx2 v[40:41], v[40:41], off
	v_div_scale_f64 v[38:39], s[4:5], v[10:11], v[10:11], 1.0
	v_rcp_f64_e32 v[44:45], v[38:39]
	v_min_f64 v[2:3], v[2:3], s[2:3]
	s_waitcnt vmcnt(10)
	v_mul_f64 v[2:3], v[58:59], v[2:3]
	v_lshl_add_u64 v[36:37], s[8:9], 0, v[36:37]
	global_store_dwordx2 v[36:37], v[2:3], off
	v_mul_f64 v[2:3], v[32:33], v[8:9]
	v_fma_f64 v[32:33], -v[38:39], v[44:45], 1.0
	v_fmac_f64_e32 v[44:45], v[44:45], v[32:33]
	v_fma_f64 v[32:33], -v[38:39], v[44:45], 1.0
	v_fmac_f64_e32 v[44:45], v[44:45], v[32:33]
	v_div_scale_f64 v[32:33], vcc, 1.0, v[10:11], 1.0
	v_mul_f64 v[36:37], v[32:33], v[44:45]
	v_fma_f64 v[32:33], -v[38:39], v[36:37], v[32:33]
	s_mul_i32 s1, s14, 0x75
	s_nop 0
	v_div_fmas_f64 v[32:33], v[32:33], v[44:45], v[36:37]
	v_div_fixup_f64 v[10:11], v[32:33], v[10:11], 1.0
	v_mul_f64 v[2:3], v[2:3], v[10:11]
	v_min_f64 v[2:3], v[2:3], s[2:3]
	s_waitcnt vmcnt(8)
	v_mul_f64 v[2:3], v[34:35], v[2:3]
	v_lshl_add_u64 v[10:11], s[8:9], 0, v[20:21]
	global_store_dwordx2 v[10:11], v[2:3], off
	s_waitcnt vmcnt(8)
	v_mul_f64 v[2:3], v[42:43], v[4:5]
	v_div_scale_f64 v[4:5], s[4:5], v[2:3], v[2:3], 1.0
	v_add_u32_e32 v0, s1, v0
	v_rcp_f64_e32 v[10:11], v[4:5]
	v_lshlrev_b64 v[20:21], 3, v[0:1]
	v_lshl_add_u64 v[32:33], s[6:7], 0, v[20:21]
	global_load_dwordx2 v[32:33], v[32:33], off
	v_fma_f64 v[34:35], -v[4:5], v[10:11], 1.0
	v_fmac_f64_e32 v[10:11], v[10:11], v[34:35]
	v_fma_f64 v[34:35], -v[4:5], v[10:11], 1.0
	v_fmac_f64_e32 v[10:11], v[10:11], v[34:35]
	v_div_scale_f64 v[34:35], vcc, 1.0, v[2:3], 1.0
	v_mul_f64 v[36:37], v[34:35], v[10:11]
	v_fma_f64 v[4:5], -v[4:5], v[36:37], v[34:35]
	v_add_u32_e32 v0, s14, v0
	s_nop 0
	v_div_fmas_f64 v[4:5], v[4:5], v[10:11], v[36:37]
	v_div_fixup_f64 v[2:3], v[4:5], v[2:3], 1.0
	v_lshlrev_b64 v[4:5], 3, v[0:1]
	v_add_u32_e32 v0, s0, v0
	v_lshl_add_u64 v[10:11], s[6:7], 0, v[4:5]
	v_lshl_add_u64 v[34:35], v[0:1], 3, s[10:11]
	global_load_dwordx2 v[10:11], v[10:11], off
	v_mul_f64 v[8:9], v[16:17], v[8:9]
	global_load_dwordx2 v[34:35], v[34:35], off
	v_mul_f64 v[2:3], v[8:9], v[2:3]
	v_min_f64 v[2:3], v[2:3], s[2:3]
	v_lshl_add_u64 v[42:43], s[8:9], 0, v[48:49]
	s_waitcnt vmcnt(9)
	v_div_scale_f64 v[36:37], s[0:1], v[52:53], v[52:53], 1.0
	v_rcp_f64_e32 v[38:39], v[36:37]
	s_mul_i32 s0, s14, 0x78
	s_waitcnt vmcnt(8)
	v_mul_f64 v[2:3], v[50:51], v[2:3]
	global_store_dwordx2 v[42:43], v[2:3], off
	v_fma_f64 v[42:43], -v[36:37], v[38:39], 1.0
	v_fmac_f64_e32 v[38:39], v[38:39], v[42:43]
	v_fma_f64 v[42:43], -v[36:37], v[38:39], 1.0
	v_fmac_f64_e32 v[38:39], v[38:39], v[42:43]
	v_div_scale_f64 v[42:43], vcc, 1.0, v[52:53], 1.0
	v_mul_f64 v[44:45], v[42:43], v[38:39]
	v_add_u32_e32 v0, s0, v0
	v_fma_f64 v[36:37], -v[36:37], v[44:45], v[42:43]
	v_lshlrev_b64 v[42:43], 3, v[0:1]
	v_lshl_add_u64 v[46:47], s[6:7], 0, v[42:43]
	global_load_dwordx2 v[46:47], v[46:47], off
	v_div_fmas_f64 v[36:37], v[36:37], v[38:39], v[44:45]
	v_mul_f64 v[2:3], v[12:13], v[8:9]
	v_div_fixup_f64 v[36:37], v[36:37], v[52:53], 1.0
	v_mul_f64 v[2:3], v[2:3], v[36:37]
	v_min_f64 v[2:3], v[2:3], s[2:3]
	v_lshl_add_u64 v[22:23], s[8:9], 0, v[22:23]
	s_waitcnt vmcnt(8)
	v_mul_f64 v[24:25], v[28:29], v[24:25]
	v_div_scale_f64 v[36:37], s[0:1], v[24:25], v[24:25], 1.0
	v_rcp_f64_e32 v[38:39], v[36:37]
	s_waitcnt vmcnt(7)
	v_mul_f64 v[2:3], v[40:41], v[2:3]
	global_store_dwordx2 v[22:23], v[2:3], off
	v_add_u32_e32 v0, s14, v0
	v_fma_f64 v[2:3], -v[36:37], v[38:39], 1.0
	v_fmac_f64_e32 v[38:39], v[38:39], v[2:3]
	v_fma_f64 v[2:3], -v[36:37], v[38:39], 1.0
	v_fmac_f64_e32 v[38:39], v[38:39], v[2:3]
	v_lshlrev_b64 v[2:3], 3, v[0:1]
	v_lshl_add_u64 v[22:23], s[6:7], 0, v[2:3]
	global_load_dwordx2 v[22:23], v[22:23], off
	v_div_scale_f64 v[40:41], vcc, 1.0, v[24:25], 1.0
	v_mul_f64 v[44:45], v[40:41], v[38:39]
	v_fma_f64 v[36:37], -v[36:37], v[44:45], v[40:41]
	v_add_u32_e32 v0, s14, v0
	s_nop 0
	v_div_fmas_f64 v[36:37], v[36:37], v[38:39], v[44:45]
	v_div_fixup_f64 v[24:25], v[36:37], v[24:25], 1.0
	v_lshlrev_b64 v[0:1], 3, v[0:1]
	v_mul_f64 v[8:9], v[8:9], v[24:25]
	v_lshl_add_u64 v[24:25], s[6:7], 0, v[0:1]
	global_load_dwordx2 v[24:25], v[24:25], off
	v_mul_f64 v[18:19], v[16:17], v[18:19]
	v_mul_f64 v[18:19], v[12:13], v[18:19]
	v_div_scale_f64 v[36:37], s[0:1], v[18:19], v[18:19], 1.0
	v_rcp_f64_e32 v[38:39], v[36:37]
	v_min_f64 v[8:9], v[8:9], s[2:3]
	v_lshl_add_u64 v[20:21], s[8:9], 0, v[20:21]
	v_lshl_add_u64 v[4:5], s[8:9], 0, v[4:5]
	v_mul_f64 v[6:7], v[16:17], v[6:7]
	s_waitcnt vmcnt(7)
	v_mul_f64 v[8:9], v[32:33], v[8:9]
	global_store_dwordx2 v[20:21], v[8:9], off
	v_fma_f64 v[8:9], -v[36:37], v[38:39], 1.0
	v_fmac_f64_e32 v[38:39], v[38:39], v[8:9]
	v_fma_f64 v[8:9], -v[36:37], v[38:39], 1.0
	v_fmac_f64_e32 v[38:39], v[38:39], v[8:9]
	v_div_scale_f64 v[8:9], vcc, 1.0, v[18:19], 1.0
	v_mul_f64 v[20:21], v[8:9], v[38:39]
	v_fma_f64 v[8:9], -v[36:37], v[20:21], v[8:9]
	v_lshl_add_u64 v[16:17], s[8:9], 0, v[42:43]
	s_nop 0
	v_div_fmas_f64 v[8:9], v[8:9], v[38:39], v[20:21]
	v_div_fixup_f64 v[8:9], v[8:9], v[18:19], 1.0
	v_mul_f64 v[8:9], v[30:31], v[8:9]
	v_min_f64 v[8:9], v[8:9], s[2:3]
	v_lshl_add_u64 v[2:3], s[8:9], 0, v[2:3]
	s_waitcnt vmcnt(7)
	v_mul_f64 v[8:9], v[10:11], v[8:9]
	global_store_dwordx2 v[4:5], v[8:9], off
	s_waitcnt vmcnt(7)
	v_div_scale_f64 v[10:11], s[0:1], v[34:35], v[34:35], 1.0
	v_rcp_f64_e32 v[18:19], v[10:11]
	v_mul_f64 v[4:5], v[28:29], v[30:31]
	v_mul_f64 v[8:9], v[12:13], v[4:5]
	v_lshl_add_u64 v[0:1], s[8:9], 0, v[0:1]
	v_fma_f64 v[12:13], -v[10:11], v[18:19], 1.0
	v_fmac_f64_e32 v[18:19], v[18:19], v[12:13]
	v_fma_f64 v[12:13], -v[10:11], v[18:19], 1.0
	v_fmac_f64_e32 v[18:19], v[18:19], v[12:13]
	v_div_scale_f64 v[12:13], vcc, 1.0, v[34:35], 1.0
	v_mul_f64 v[20:21], v[12:13], v[18:19]
	v_fma_f64 v[10:11], -v[10:11], v[20:21], v[12:13]
	s_nop 1
	v_div_fmas_f64 v[10:11], v[10:11], v[18:19], v[20:21]
	v_div_fixup_f64 v[10:11], v[10:11], v[34:35], 1.0
	v_mul_f64 v[8:9], v[8:9], v[10:11]
	v_div_scale_f64 v[10:11], s[0:1], v[6:7], v[6:7], 1.0
	v_rcp_f64_e32 v[12:13], v[10:11]
	v_min_f64 v[8:9], v[8:9], s[2:3]
	s_waitcnt vmcnt(5)
	v_mul_f64 v[8:9], v[46:47], v[8:9]
	global_store_dwordx2 v[16:17], v[8:9], off
	v_fma_f64 v[8:9], -v[10:11], v[12:13], 1.0
	v_fmac_f64_e32 v[12:13], v[12:13], v[8:9]
	v_fma_f64 v[8:9], -v[10:11], v[12:13], 1.0
	v_fmac_f64_e32 v[12:13], v[12:13], v[8:9]
	v_div_scale_f64 v[8:9], vcc, 1.0, v[6:7], 1.0
	v_mul_f64 v[16:17], v[8:9], v[12:13]
	v_fma_f64 v[8:9], -v[10:11], v[16:17], v[8:9]
	s_nop 1
	v_div_fmas_f64 v[8:9], v[8:9], v[12:13], v[16:17]
	v_div_fixup_f64 v[6:7], v[8:9], v[6:7], 1.0
	v_mul_f64 v[8:9], v[14:15], v[26:27]
	v_div_scale_f64 v[10:11], s[0:1], v[8:9], v[8:9], 1.0
	v_rcp_f64_e32 v[12:13], v[10:11]
	v_mul_f64 v[6:7], v[4:5], v[6:7]
	v_min_f64 v[6:7], v[6:7], s[2:3]
	s_waitcnt vmcnt(4)
	v_mul_f64 v[6:7], v[22:23], v[6:7]
	global_store_dwordx2 v[2:3], v[6:7], off
	v_fma_f64 v[2:3], -v[10:11], v[12:13], 1.0
	v_fmac_f64_e32 v[12:13], v[12:13], v[2:3]
	v_fma_f64 v[2:3], -v[10:11], v[12:13], 1.0
	v_fmac_f64_e32 v[12:13], v[12:13], v[2:3]
	v_div_scale_f64 v[2:3], vcc, 1.0, v[8:9], 1.0
	v_mul_f64 v[6:7], v[2:3], v[12:13]
	v_fma_f64 v[2:3], -v[10:11], v[6:7], v[2:3]
	s_nop 1
	v_div_fmas_f64 v[2:3], v[2:3], v[12:13], v[6:7]
	v_div_fixup_f64 v[2:3], v[2:3], v[8:9], 1.0
	v_mul_f64 v[2:3], v[4:5], v[2:3]
	v_min_f64 v[2:3], v[2:3], s[2:3]
	s_waitcnt vmcnt(4)
	v_mul_f64 v[2:3], v[24:25], v[2:3]
	global_store_dwordx2 v[0:1], v[2:3], off
	s_endpgm
	.section	.rodata,"a",@progbits
	.p2align	6, 0x0
	.amdhsa_kernel _Z12ratt7_kernelIdEvPKT_S2_PS0_S2_S0_
		.amdhsa_group_segment_fixed_size 0
		.amdhsa_private_segment_fixed_size 0
		.amdhsa_kernarg_size 296
		.amdhsa_user_sgpr_count 2
		.amdhsa_user_sgpr_dispatch_ptr 0
		.amdhsa_user_sgpr_queue_ptr 0
		.amdhsa_user_sgpr_kernarg_segment_ptr 1
		.amdhsa_user_sgpr_dispatch_id 0
		.amdhsa_user_sgpr_kernarg_preload_length 0
		.amdhsa_user_sgpr_kernarg_preload_offset 0
		.amdhsa_user_sgpr_private_segment_size 0
		.amdhsa_uses_dynamic_stack 0
		.amdhsa_enable_private_segment 0
		.amdhsa_system_sgpr_workgroup_id_x 1
		.amdhsa_system_sgpr_workgroup_id_y 0
		.amdhsa_system_sgpr_workgroup_id_z 0
		.amdhsa_system_sgpr_workgroup_info 0
		.amdhsa_system_vgpr_workitem_id 0
		.amdhsa_next_free_vgpr 64
		.amdhsa_next_free_sgpr 20
		.amdhsa_accum_offset 64
		.amdhsa_reserve_vcc 1
		.amdhsa_float_round_mode_32 0
		.amdhsa_float_round_mode_16_64 0
		.amdhsa_float_denorm_mode_32 3
		.amdhsa_float_denorm_mode_16_64 3
		.amdhsa_dx10_clamp 1
		.amdhsa_ieee_mode 1
		.amdhsa_fp16_overflow 0
		.amdhsa_tg_split 0
		.amdhsa_exception_fp_ieee_invalid_op 0
		.amdhsa_exception_fp_denorm_src 0
		.amdhsa_exception_fp_ieee_div_zero 0
		.amdhsa_exception_fp_ieee_overflow 0
		.amdhsa_exception_fp_ieee_underflow 0
		.amdhsa_exception_fp_ieee_inexact 0
		.amdhsa_exception_int_div_zero 0
	.end_amdhsa_kernel
	.section	.text._Z12ratt7_kernelIdEvPKT_S2_PS0_S2_S0_,"axG",@progbits,_Z12ratt7_kernelIdEvPKT_S2_PS0_S2_S0_,comdat
.Lfunc_end35:
	.size	_Z12ratt7_kernelIdEvPKT_S2_PS0_S2_S0_, .Lfunc_end35-_Z12ratt7_kernelIdEvPKT_S2_PS0_S2_S0_
                                        ; -- End function
	.set _Z12ratt7_kernelIdEvPKT_S2_PS0_S2_S0_.num_vgpr, 64
	.set _Z12ratt7_kernelIdEvPKT_S2_PS0_S2_S0_.num_agpr, 0
	.set _Z12ratt7_kernelIdEvPKT_S2_PS0_S2_S0_.numbered_sgpr, 20
	.set _Z12ratt7_kernelIdEvPKT_S2_PS0_S2_S0_.num_named_barrier, 0
	.set _Z12ratt7_kernelIdEvPKT_S2_PS0_S2_S0_.private_seg_size, 0
	.set _Z12ratt7_kernelIdEvPKT_S2_PS0_S2_S0_.uses_vcc, 1
	.set _Z12ratt7_kernelIdEvPKT_S2_PS0_S2_S0_.uses_flat_scratch, 0
	.set _Z12ratt7_kernelIdEvPKT_S2_PS0_S2_S0_.has_dyn_sized_stack, 0
	.set _Z12ratt7_kernelIdEvPKT_S2_PS0_S2_S0_.has_recursion, 0
	.set _Z12ratt7_kernelIdEvPKT_S2_PS0_S2_S0_.has_indirect_call, 0
	.section	.AMDGPU.csdata,"",@progbits
; Kernel info:
; codeLenInByte = 5056
; TotalNumSgprs: 26
; NumVgprs: 64
; NumAgprs: 0
; TotalNumVgprs: 64
; ScratchSize: 0
; MemoryBound: 0
; FloatMode: 240
; IeeeMode: 1
; LDSByteSize: 0 bytes/workgroup (compile time only)
; SGPRBlocks: 3
; VGPRBlocks: 7
; NumSGPRsForWavesPerEU: 26
; NumVGPRsForWavesPerEU: 64
; AccumOffset: 64
; Occupancy: 8
; WaveLimiterHint : 0
; COMPUTE_PGM_RSRC2:SCRATCH_EN: 0
; COMPUTE_PGM_RSRC2:USER_SGPR: 2
; COMPUTE_PGM_RSRC2:TRAP_HANDLER: 0
; COMPUTE_PGM_RSRC2:TGID_X_EN: 1
; COMPUTE_PGM_RSRC2:TGID_Y_EN: 0
; COMPUTE_PGM_RSRC2:TGID_Z_EN: 0
; COMPUTE_PGM_RSRC2:TIDIG_COMP_CNT: 0
; COMPUTE_PGM_RSRC3_GFX90A:ACCUM_OFFSET: 15
; COMPUTE_PGM_RSRC3_GFX90A:TG_SPLIT: 0
	.section	.text._Z12ratt8_kernelIdEvPKT_S2_PS0_S2_S0_,"axG",@progbits,_Z12ratt8_kernelIdEvPKT_S2_PS0_S2_S0_,comdat
	.protected	_Z12ratt8_kernelIdEvPKT_S2_PS0_S2_S0_ ; -- Begin function _Z12ratt8_kernelIdEvPKT_S2_PS0_S2_S0_
	.globl	_Z12ratt8_kernelIdEvPKT_S2_PS0_S2_S0_
	.p2align	8
	.type	_Z12ratt8_kernelIdEvPKT_S2_PS0_S2_S0_,@function
_Z12ratt8_kernelIdEvPKT_S2_PS0_S2_S0_:  ; @_Z12ratt8_kernelIdEvPKT_S2_PS0_S2_S0_
; %bb.0:
	s_load_dwordx8 s[4:11], s[0:1], 0x0
	s_load_dwordx2 s[12:13], s[0:1], 0x20
	s_load_dword s3, s[0:1], 0x28
	s_load_dword s14, s[0:1], 0x34
	v_mov_b32_e32 v1, 0
	s_brev_b32 s0, 12
	s_mov_b32 s1, 0x4193d2c6
	v_mov_b32_e32 v13, v1
	s_waitcnt lgkmcnt(0)
	s_and_b32 s14, s14, 0xffff
	s_mul_i32 s2, s2, s14
	v_add_u32_e32 v0, s2, v0
	v_lshlrev_b64 v[18:19], 3, v[0:1]
	v_lshl_add_u64 v[2:3], s[4:5], 0, v[18:19]
	global_load_dwordx2 v[2:3], v[2:3], off
	s_mul_i32 s2, s3, s14
	s_lshl_b32 s5, s2, 1
	v_mov_b32_e32 v17, v1
	s_mul_i32 s3, s2, 0xffffff6f
	s_mul_i32 s4, s2, 0x92
	s_waitcnt vmcnt(0)
	v_mul_f64 v[2:3], s[12:13], v[2:3]
	v_mul_f64 v[2:3], v[2:3], s[0:1]
	v_div_scale_f64 v[4:5], s[0:1], v[2:3], v[2:3], 1.0
	v_rcp_f64_e32 v[6:7], v[4:5]
	s_mov_b32 s0, 0
	s_mov_b32 s1, 0x412eec04
	s_mul_i32 s12, s2, 21
	v_fma_f64 v[8:9], -v[4:5], v[6:7], 1.0
	v_fmac_f64_e32 v[6:7], v[6:7], v[8:9]
	v_fma_f64 v[8:9], -v[4:5], v[6:7], 1.0
	v_fmac_f64_e32 v[6:7], v[6:7], v[8:9]
	v_div_scale_f64 v[8:9], vcc, 1.0, v[2:3], 1.0
	v_mul_f64 v[10:11], v[8:9], v[6:7]
	v_fma_f64 v[4:5], -v[4:5], v[10:11], v[8:9]
	s_mul_i32 s13, s2, 0xffffff6c
	s_nop 0
	v_div_fmas_f64 v[4:5], v[4:5], v[6:7], v[10:11]
	v_div_fixup_f64 v[2:3], v[4:5], v[2:3], 1.0
	v_mul_f64 v[4:5], v[2:3], s[0:1]
	v_add_u32_e32 v2, s5, v0
	v_mov_b32_e32 v3, v1
	v_lshl_add_u64 v[8:9], v[2:3], 3, s[10:11]
	v_mad_u64_u32 v[2:3], s[0:1], s2, 24, v[2:3]
	s_mul_i32 s0, s2, 0xffffffea
	s_nop 0
	v_add_u32_e32 v12, s0, v2
	v_mov_b32_e32 v3, v1
	v_add_u32_e32 v16, s12, v12
	v_lshl_add_u64 v[6:7], v[2:3], 3, s[10:11]
	v_lshl_add_u64 v[2:3], v[12:13], 3, s[10:11]
	;; [unrolled: 1-line block ×3, first 2 shown]
	global_load_dwordx2 v[14:15], v[8:9], off
	v_add_u32_e32 v0, s2, v0
	global_load_dwordx2 v[2:3], v[2:3], off
	s_nop 0
	global_load_dwordx2 v[12:13], v[12:13], off
	s_waitcnt vmcnt(0)
	v_mul_f64 v[20:21], v[2:3], v[12:13]
	global_load_dwordx2 v[6:7], v[6:7], off
	v_div_scale_f64 v[22:23], s[0:1], v[20:21], v[20:21], 1.0
	v_rcp_f64_e32 v[24:25], v[22:23]
	s_mul_i32 s0, s2, 0x7d
	v_add_u32_e32 v16, s0, v16
	s_mov_b32 s0, 0x4357691b
	v_fma_f64 v[26:27], -v[22:23], v[24:25], 1.0
	v_fmac_f64_e32 v[24:25], v[24:25], v[26:27]
	v_fma_f64 v[26:27], -v[22:23], v[24:25], 1.0
	v_fmac_f64_e32 v[24:25], v[24:25], v[26:27]
	v_div_scale_f64 v[26:27], vcc, 1.0, v[20:21], 1.0
	v_mul_f64 v[28:29], v[26:27], v[24:25]
	v_fma_f64 v[22:23], -v[22:23], v[28:29], v[26:27]
	s_mov_b32 s1, 0x479e17b8
	s_nop 0
	v_div_fmas_f64 v[22:23], v[22:23], v[24:25], v[28:29]
	v_div_fixup_f64 v[20:21], v[22:23], v[20:21], 1.0
	s_waitcnt vmcnt(0)
	v_mul_f64 v[10:11], v[14:15], v[6:7]
	v_mul_f64 v[10:11], v[10:11], v[20:21]
	v_lshlrev_b64 v[20:21], 3, v[16:17]
	v_lshl_add_u64 v[22:23], s[6:7], 0, v[20:21]
	global_load_dwordx2 v[22:23], v[22:23], off
	v_min_f64 v[10:11], v[10:11], s[0:1]
	v_lshl_add_u64 v[20:21], s[8:9], 0, v[20:21]
	s_waitcnt vmcnt(0)
	v_mul_f64 v[10:11], v[22:23], v[10:11]
	global_store_dwordx2 v[20:21], v[10:11], off
	v_add_u32_e32 v20, s3, v16
	v_mov_b32_e32 v21, v1
	v_lshl_add_u64 v[16:17], v[20:21], 3, s[10:11]
	global_load_dwordx2 v[16:17], v[16:17], off
	v_mul_f64 v[10:11], v[6:7], v[2:3]
	v_add_u32_e32 v20, s4, v20
	s_waitcnt vmcnt(0)
	v_mul_f64 v[22:23], v[12:13], v[16:17]
	v_div_scale_f64 v[24:25], s[14:15], v[22:23], v[22:23], 1.0
	v_rcp_f64_e32 v[26:27], v[24:25]
	s_nop 0
	v_fma_f64 v[28:29], -v[24:25], v[26:27], 1.0
	v_fmac_f64_e32 v[26:27], v[26:27], v[28:29]
	v_fma_f64 v[28:29], -v[24:25], v[26:27], 1.0
	v_fmac_f64_e32 v[26:27], v[26:27], v[28:29]
	v_div_scale_f64 v[28:29], vcc, 1.0, v[22:23], 1.0
	v_mul_f64 v[30:31], v[28:29], v[26:27]
	v_fma_f64 v[24:25], -v[24:25], v[30:31], v[28:29]
	s_nop 1
	v_div_fmas_f64 v[24:25], v[24:25], v[26:27], v[30:31]
	v_div_fixup_f64 v[22:23], v[24:25], v[22:23], 1.0
	v_mul_f64 v[10:11], v[10:11], v[22:23]
	v_lshlrev_b64 v[22:23], 3, v[20:21]
	v_lshl_add_u64 v[24:25], s[6:7], 0, v[22:23]
	global_load_dwordx2 v[24:25], v[24:25], off
	v_min_f64 v[10:11], v[10:11], s[0:1]
	v_lshl_add_u64 v[22:23], s[8:9], 0, v[22:23]
	v_add_u32_e32 v20, s13, v20
	s_mul_i32 s13, s2, 3
	s_waitcnt vmcnt(0)
	v_mul_f64 v[10:11], v[24:25], v[10:11]
	global_store_dwordx2 v[22:23], v[10:11], off
	v_lshl_add_u64 v[10:11], v[20:21], 3, s[10:11]
	global_load_dwordx2 v[28:29], v[10:11], off
	v_add_u32_e32 v24, s13, v20
	v_mov_b32_e32 v25, v1
	s_waitcnt vmcnt(0)
	v_mul_f64 v[22:23], v[6:7], v[28:29]
	v_lshl_add_u64 v[6:7], v[24:25], 3, s[10:11]
	global_load_dwordx2 v[20:21], v[6:7], off
	v_add_u32_e32 v24, s4, v24
	s_waitcnt vmcnt(0)
	v_mul_f64 v[12:13], v[12:13], v[20:21]
	v_div_scale_f64 v[26:27], s[14:15], v[12:13], v[12:13], 1.0
	v_rcp_f64_e32 v[30:31], v[26:27]
	s_mul_i32 s14, s2, 0xffffff75
	v_fma_f64 v[32:33], -v[26:27], v[30:31], 1.0
	v_fmac_f64_e32 v[30:31], v[30:31], v[32:33]
	v_fma_f64 v[32:33], -v[26:27], v[30:31], 1.0
	v_fmac_f64_e32 v[30:31], v[30:31], v[32:33]
	v_div_scale_f64 v[32:33], vcc, 1.0, v[12:13], 1.0
	v_mul_f64 v[34:35], v[32:33], v[30:31]
	v_fma_f64 v[26:27], -v[26:27], v[34:35], v[32:33]
	s_nop 1
	v_div_fmas_f64 v[26:27], v[26:27], v[30:31], v[34:35]
	v_div_fixup_f64 v[12:13], v[26:27], v[12:13], 1.0
	v_lshlrev_b64 v[26:27], 3, v[24:25]
	v_lshl_add_u64 v[30:31], s[6:7], 0, v[26:27]
	global_load_dwordx2 v[30:31], v[30:31], off
	v_mul_f64 v[12:13], v[22:23], v[12:13]
	v_min_f64 v[12:13], v[12:13], s[0:1]
	v_lshl_add_u64 v[26:27], s[8:9], 0, v[26:27]
	s_waitcnt vmcnt(0)
	v_mul_f64 v[12:13], v[30:31], v[12:13]
	global_store_dwordx2 v[26:27], v[12:13], off
	v_add_u32_e32 v12, s14, v24
	v_mov_b32_e32 v13, v1
	v_lshl_add_u64 v[24:25], v[12:13], 3, s[10:11]
	v_add_u32_e32 v26, s13, v12
	v_mov_b32_e32 v27, v1
	global_load_dwordx2 v[36:37], v[24:25], off
	v_lshl_add_u64 v[12:13], v[26:27], 3, s[10:11]
	global_load_dwordx2 v[44:45], v[12:13], off
	s_mul_i32 s13, s2, 0x89
	s_waitcnt vmcnt(1)
	v_mul_f64 v[24:25], v[2:3], v[36:37]
	s_waitcnt vmcnt(0)
	v_mul_f64 v[24:25], v[24:25], v[44:45]
	v_mul_f64 v[24:25], v[4:5], v[24:25]
	v_div_scale_f64 v[30:31], s[14:15], v[24:25], v[24:25], 1.0
	v_rcp_f64_e32 v[32:33], v[30:31]
	s_nop 0
	v_fma_f64 v[34:35], -v[30:31], v[32:33], 1.0
	v_fmac_f64_e32 v[32:33], v[32:33], v[34:35]
	v_fma_f64 v[34:35], -v[30:31], v[32:33], 1.0
	v_fmac_f64_e32 v[32:33], v[32:33], v[34:35]
	v_div_scale_f64 v[34:35], vcc, 1.0, v[24:25], 1.0
	v_mul_f64 v[38:39], v[34:35], v[32:33]
	v_fma_f64 v[30:31], -v[30:31], v[38:39], v[34:35]
	s_nop 1
	v_div_fmas_f64 v[30:31], v[30:31], v[32:33], v[38:39]
	v_div_fixup_f64 v[24:25], v[30:31], v[24:25], 1.0
	v_mul_f64 v[22:23], v[22:23], v[24:25]
	v_add_u32_e32 v24, s13, v26
	v_mov_b32_e32 v25, v1
	v_lshlrev_b64 v[26:27], 3, v[24:25]
	v_lshl_add_u64 v[30:31], s[6:7], 0, v[26:27]
	global_load_dwordx2 v[30:31], v[30:31], off
	v_min_f64 v[22:23], v[22:23], s[0:1]
	s_mul_i32 s13, s2, 0xffffff7c
	v_lshl_add_u64 v[26:27], s[8:9], 0, v[26:27]
	v_add_u32_e32 v24, s13, v24
	s_mul_i32 s13, s2, 0x87
	s_waitcnt vmcnt(0)
	v_mul_f64 v[22:23], v[30:31], v[22:23]
	global_store_dwordx2 v[26:27], v[22:23], off
	v_lshl_add_u64 v[26:27], v[24:25], 3, s[10:11]
	v_subrev_u32_e32 v24, s5, v24
	v_lshl_add_u64 v[22:23], s[10:11], 0, v[18:19]
	v_lshl_add_u64 v[18:19], v[24:25], 3, s[10:11]
	global_load_dwordx2 v[30:31], v[26:27], off
	global_load_dwordx2 v[40:41], v[22:23], off
	v_add_u32_e32 v24, s13, v24
	global_load_dwordx2 v[18:19], v[18:19], off
	v_lshlrev_b64 v[24:25], 3, v[24:25]
	s_waitcnt vmcnt(2)
	v_mul_f64 v[14:15], v[14:15], v[30:31]
	s_waitcnt vmcnt(0)
	v_mul_f64 v[32:33], v[40:41], v[18:19]
	v_mul_f64 v[32:33], v[4:5], v[32:33]
	v_div_scale_f64 v[34:35], s[14:15], v[32:33], v[32:33], 1.0
	v_rcp_f64_e32 v[38:39], v[34:35]
	s_nop 0
	v_fma_f64 v[42:43], -v[34:35], v[38:39], 1.0
	v_fmac_f64_e32 v[38:39], v[38:39], v[42:43]
	v_fma_f64 v[42:43], -v[34:35], v[38:39], 1.0
	v_fmac_f64_e32 v[38:39], v[38:39], v[42:43]
	v_div_scale_f64 v[42:43], vcc, 1.0, v[32:33], 1.0
	v_mul_f64 v[46:47], v[42:43], v[38:39]
	v_fma_f64 v[34:35], -v[34:35], v[46:47], v[42:43]
	s_nop 1
	v_div_fmas_f64 v[34:35], v[34:35], v[38:39], v[46:47]
	v_div_fixup_f64 v[32:33], v[34:35], v[32:33], 1.0
	v_lshl_add_u64 v[34:35], s[6:7], 0, v[24:25]
	global_load_dwordx2 v[34:35], v[34:35], off
	v_mul_f64 v[32:33], v[30:31], v[32:33]
	v_min_f64 v[32:33], v[32:33], s[0:1]
	v_lshl_add_u64 v[24:25], s[8:9], 0, v[24:25]
	s_waitcnt vmcnt(0)
	v_mul_f64 v[32:33], v[34:35], v[32:33]
	global_store_dwordx2 v[24:25], v[32:33], off
	v_lshl_add_u64 v[32:33], v[0:1], 3, s[10:11]
	v_add_u32_e32 v0, s12, v0
	v_lshl_add_u64 v[24:25], v[0:1], 3, s[10:11]
	global_load_dwordx2 v[38:39], v[32:33], off
	global_load_dwordx2 v[42:43], v[24:25], off
	s_mul_i32 s12, s2, 0x85
	v_add_u32_e32 v0, s12, v0
	s_mul_i32 s12, s2, 0xffffff79
	s_waitcnt vmcnt(1)
	v_mul_f64 v[46:47], v[30:31], v[38:39]
	s_waitcnt vmcnt(0)
	v_div_scale_f64 v[48:49], s[14:15], v[42:43], v[42:43], 1.0
	v_rcp_f64_e32 v[50:51], v[48:49]
	v_mul_f64 v[34:35], v[4:5], v[46:47]
	v_fma_f64 v[52:53], -v[48:49], v[50:51], 1.0
	v_fmac_f64_e32 v[50:51], v[50:51], v[52:53]
	v_fma_f64 v[52:53], -v[48:49], v[50:51], 1.0
	v_fmac_f64_e32 v[50:51], v[50:51], v[52:53]
	v_div_scale_f64 v[52:53], vcc, 1.0, v[42:43], 1.0
	v_mul_f64 v[54:55], v[52:53], v[50:51]
	v_fma_f64 v[48:49], -v[48:49], v[54:55], v[52:53]
	s_nop 1
	v_div_fmas_f64 v[48:49], v[48:49], v[50:51], v[54:55]
	v_div_fixup_f64 v[48:49], v[48:49], v[42:43], 1.0
	v_mul_f64 v[34:35], v[34:35], v[48:49]
	v_lshlrev_b64 v[48:49], 3, v[0:1]
	v_lshl_add_u64 v[50:51], s[6:7], 0, v[48:49]
	global_load_dwordx2 v[50:51], v[50:51], off
	v_min_f64 v[34:35], v[34:35], s[0:1]
	v_lshl_add_u64 v[48:49], s[8:9], 0, v[48:49]
	v_add_u32_e32 v0, s12, v0
	s_waitcnt vmcnt(0)
	v_mul_f64 v[34:35], v[50:51], v[34:35]
	global_store_dwordx2 v[48:49], v[34:35], off
	v_lshl_add_u64 v[34:35], v[0:1], 3, s[10:11]
	global_load_dwordx2 v[48:49], v[34:35], off
	s_waitcnt vmcnt(0)
	v_mul_f64 v[40:41], v[40:41], v[48:49]
	v_div_scale_f64 v[50:51], s[14:15], v[40:41], v[40:41], 1.0
	v_rcp_f64_e32 v[52:53], v[50:51]
	s_mul_i32 s14, s2, 0x88
	v_add_u32_e32 v0, s14, v0
	s_mul_i32 s15, s2, 0xffffff6e
	v_fma_f64 v[54:55], -v[50:51], v[52:53], 1.0
	v_fmac_f64_e32 v[52:53], v[52:53], v[54:55]
	v_fma_f64 v[54:55], -v[50:51], v[52:53], 1.0
	v_fmac_f64_e32 v[52:53], v[52:53], v[54:55]
	v_div_scale_f64 v[54:55], vcc, 1.0, v[40:41], 1.0
	v_mul_f64 v[56:57], v[54:55], v[52:53]
	v_fma_f64 v[50:51], -v[50:51], v[56:57], v[54:55]
	v_mul_f64 v[16:17], v[16:17], v[48:49]
	s_nop 0
	v_div_fmas_f64 v[50:51], v[50:51], v[52:53], v[56:57]
	v_div_fixup_f64 v[40:41], v[50:51], v[40:41], 1.0
	v_mul_f64 v[40:41], v[46:47], v[40:41]
	v_lshlrev_b64 v[46:47], 3, v[0:1]
	v_lshl_add_u64 v[50:51], s[6:7], 0, v[46:47]
	global_load_dwordx2 v[50:51], v[50:51], off
	v_min_f64 v[40:41], v[40:41], s[0:1]
	v_lshl_add_u64 v[46:47], s[8:9], 0, v[46:47]
	v_add_u32_e32 v0, s2, v0
	s_waitcnt vmcnt(0)
	v_mul_f64 v[40:41], v[50:51], v[40:41]
	global_store_dwordx2 v[46:47], v[40:41], off
	v_mul_f64 v[40:41], v[2:3], v[48:49]
	v_div_scale_f64 v[46:47], s[16:17], v[40:41], v[40:41], 1.0
	v_rcp_f64_e32 v[50:51], v[46:47]
	s_nop 0
	v_fma_f64 v[52:53], -v[46:47], v[50:51], 1.0
	v_fmac_f64_e32 v[50:51], v[50:51], v[52:53]
	v_fma_f64 v[52:53], -v[46:47], v[50:51], 1.0
	v_fmac_f64_e32 v[50:51], v[50:51], v[52:53]
	v_div_scale_f64 v[52:53], vcc, 1.0, v[40:41], 1.0
	v_mul_f64 v[54:55], v[52:53], v[50:51]
	v_fma_f64 v[46:47], -v[46:47], v[54:55], v[52:53]
	s_nop 1
	v_div_fmas_f64 v[46:47], v[46:47], v[50:51], v[54:55]
	v_div_fixup_f64 v[40:41], v[46:47], v[40:41], 1.0
	v_lshlrev_b64 v[46:47], 3, v[0:1]
	v_lshl_add_u64 v[50:51], s[6:7], 0, v[46:47]
	global_load_dwordx2 v[50:51], v[50:51], off
	v_mul_f64 v[40:41], v[14:15], v[40:41]
	v_min_f64 v[40:41], v[40:41], s[0:1]
	v_lshl_add_u64 v[46:47], s[8:9], 0, v[46:47]
	v_add_u32_e32 v0, s15, v0
	s_mul_i32 s15, s2, 0x8f
	s_waitcnt vmcnt(0)
	v_mul_f64 v[40:41], v[50:51], v[40:41]
	global_store_dwordx2 v[46:47], v[40:41], off
	v_lshl_add_u64 v[40:41], v[0:1], 3, s[10:11]
	v_lshl_add_u32 v0, s2, 2, v0
	v_lshl_add_u64 v[50:51], v[0:1], 3, s[10:11]
	global_load_dwordx2 v[46:47], v[40:41], off
	v_add_u32_e32 v0, s15, v0
	global_load_dwordx2 v[50:51], v[50:51], off
	s_mul_i32 s15, s2, 0xffffff6b
	s_waitcnt vmcnt(0)
	v_mul_f64 v[46:47], v[46:47], v[50:51]
	v_div_scale_f64 v[52:53], s[16:17], v[46:47], v[46:47], 1.0
	v_rcp_f64_e32 v[54:55], v[52:53]
	s_nop 0
	v_fma_f64 v[56:57], -v[52:53], v[54:55], 1.0
	v_fmac_f64_e32 v[54:55], v[54:55], v[56:57]
	v_fma_f64 v[56:57], -v[52:53], v[54:55], 1.0
	v_fmac_f64_e32 v[54:55], v[54:55], v[56:57]
	v_div_scale_f64 v[56:57], vcc, 1.0, v[46:47], 1.0
	v_mul_f64 v[58:59], v[56:57], v[54:55]
	v_fma_f64 v[52:53], -v[52:53], v[58:59], v[56:57]
	s_nop 1
	v_div_fmas_f64 v[52:53], v[52:53], v[54:55], v[58:59]
	v_div_fixup_f64 v[46:47], v[52:53], v[46:47], 1.0
	v_lshlrev_b64 v[52:53], 3, v[0:1]
	v_lshl_add_u64 v[54:55], s[6:7], 0, v[52:53]
	global_load_dwordx2 v[54:55], v[54:55], off
	v_mul_f64 v[46:47], v[14:15], v[46:47]
	v_min_f64 v[46:47], v[46:47], s[0:1]
	v_lshl_add_u64 v[52:53], s[8:9], 0, v[52:53]
	v_add_u32_e32 v0, s15, v0
	s_mul_i32 s15, s2, 0x96
	s_waitcnt vmcnt(0)
	v_mul_f64 v[46:47], v[54:55], v[46:47]
	global_store_dwordx2 v[52:53], v[46:47], off
	v_lshl_add_u64 v[46:47], v[0:1], 3, s[10:11]
	global_load_dwordx2 v[46:47], v[46:47], off
	v_add_u32_e32 v0, s15, v0
	s_mul_i32 s15, s2, 0xffffff7a
	s_waitcnt vmcnt(0)
	v_mul_f64 v[44:45], v[44:45], v[46:47]
	v_div_scale_f64 v[52:53], s[16:17], v[44:45], v[44:45], 1.0
	v_rcp_f64_e32 v[54:55], v[52:53]
	s_nop 0
	v_fma_f64 v[56:57], -v[52:53], v[54:55], 1.0
	v_fmac_f64_e32 v[54:55], v[54:55], v[56:57]
	v_fma_f64 v[56:57], -v[52:53], v[54:55], 1.0
	v_fmac_f64_e32 v[54:55], v[54:55], v[56:57]
	v_div_scale_f64 v[56:57], vcc, 1.0, v[44:45], 1.0
	v_mul_f64 v[58:59], v[56:57], v[54:55]
	v_fma_f64 v[52:53], -v[52:53], v[58:59], v[56:57]
	s_nop 1
	v_div_fmas_f64 v[52:53], v[52:53], v[54:55], v[58:59]
	v_div_fixup_f64 v[44:45], v[52:53], v[44:45], 1.0
	v_mul_f64 v[14:15], v[14:15], v[44:45]
	v_lshlrev_b64 v[44:45], 3, v[0:1]
	v_lshl_add_u64 v[52:53], s[6:7], 0, v[44:45]
	global_load_dwordx2 v[52:53], v[52:53], off
	v_min_f64 v[14:15], v[14:15], s[0:1]
	v_lshl_add_u64 v[44:45], s[8:9], 0, v[44:45]
	v_add_u32_e32 v0, s2, v0
	s_waitcnt vmcnt(0)
	v_mul_f64 v[14:15], v[52:53], v[14:15]
	global_store_dwordx2 v[44:45], v[14:15], off
	v_div_scale_f64 v[44:45], s[16:17], v[16:17], v[16:17], 1.0
	v_rcp_f64_e32 v[52:53], v[44:45]
	v_mul_f64 v[14:15], v[2:3], v[30:31]
	v_fma_f64 v[54:55], -v[44:45], v[52:53], 1.0
	v_fmac_f64_e32 v[52:53], v[52:53], v[54:55]
	v_fma_f64 v[54:55], -v[44:45], v[52:53], 1.0
	v_fmac_f64_e32 v[52:53], v[52:53], v[54:55]
	v_div_scale_f64 v[54:55], vcc, 1.0, v[16:17], 1.0
	v_mul_f64 v[56:57], v[54:55], v[52:53]
	v_fma_f64 v[44:45], -v[44:45], v[56:57], v[54:55]
	s_nop 1
	v_div_fmas_f64 v[44:45], v[44:45], v[52:53], v[56:57]
	v_div_fixup_f64 v[16:17], v[44:45], v[16:17], 1.0
	v_mul_f64 v[14:15], v[14:15], v[16:17]
	v_lshlrev_b64 v[16:17], 3, v[0:1]
	v_lshl_add_u64 v[44:45], s[6:7], 0, v[16:17]
	global_load_dwordx2 v[44:45], v[44:45], off
	v_min_f64 v[14:15], v[14:15], s[0:1]
	v_lshl_add_u64 v[16:17], s[8:9], 0, v[16:17]
	v_add_u32_e32 v0, s2, v0
	s_waitcnt vmcnt(0)
	v_mul_f64 v[14:15], v[14:15], v[44:45]
	global_store_dwordx2 v[16:17], v[14:15], off
	v_mul_f64 v[16:17], v[20:21], v[48:49]
	v_mul_f64 v[14:15], v[28:29], v[30:31]
	v_div_scale_f64 v[28:29], s[16:17], v[16:17], v[16:17], 1.0
	v_rcp_f64_e32 v[44:45], v[28:29]
	s_nop 0
	v_fma_f64 v[48:49], -v[28:29], v[44:45], 1.0
	v_fmac_f64_e32 v[44:45], v[44:45], v[48:49]
	v_fma_f64 v[48:49], -v[28:29], v[44:45], 1.0
	v_fmac_f64_e32 v[44:45], v[44:45], v[48:49]
	v_div_scale_f64 v[48:49], vcc, 1.0, v[16:17], 1.0
	v_mul_f64 v[52:53], v[48:49], v[44:45]
	v_fma_f64 v[28:29], -v[28:29], v[52:53], v[48:49]
	s_nop 1
	v_div_fmas_f64 v[28:29], v[28:29], v[44:45], v[52:53]
	v_div_fixup_f64 v[16:17], v[28:29], v[16:17], 1.0
	v_mul_f64 v[14:15], v[14:15], v[16:17]
	v_lshlrev_b64 v[16:17], 3, v[0:1]
	v_lshl_add_u64 v[28:29], s[6:7], 0, v[16:17]
	global_load_dwordx2 v[28:29], v[28:29], off
	v_min_f64 v[14:15], v[14:15], s[0:1]
	v_lshl_add_u64 v[16:17], s[8:9], 0, v[16:17]
	v_add_u32_e32 v0, s15, v0
	s_waitcnt vmcnt(0)
	v_mul_f64 v[14:15], v[14:15], v[28:29]
	global_store_dwordx2 v[16:17], v[14:15], off
	v_lshl_add_u64 v[16:17], v[0:1], 3, s[10:11]
	v_mul_f64 v[14:15], v[20:21], v[30:31]
	global_load_dwordx2 v[20:21], v[16:17], off
	v_add_u32_e32 v0, s13, v0
	s_waitcnt vmcnt(0)
	v_mul_f64 v[2:3], v[2:3], v[20:21]
	v_div_scale_f64 v[20:21], s[16:17], v[2:3], v[2:3], 1.0
	v_rcp_f64_e32 v[28:29], v[20:21]
	s_nop 0
	v_fma_f64 v[44:45], -v[20:21], v[28:29], 1.0
	v_fmac_f64_e32 v[28:29], v[28:29], v[44:45]
	v_fma_f64 v[44:45], -v[20:21], v[28:29], 1.0
	v_fmac_f64_e32 v[28:29], v[28:29], v[44:45]
	v_div_scale_f64 v[44:45], vcc, 1.0, v[2:3], 1.0
	v_mul_f64 v[48:49], v[44:45], v[28:29]
	v_fma_f64 v[20:21], -v[20:21], v[48:49], v[44:45]
	s_nop 1
	v_div_fmas_f64 v[20:21], v[20:21], v[28:29], v[48:49]
	v_div_fixup_f64 v[2:3], v[20:21], v[2:3], 1.0
	v_mul_f64 v[2:3], v[14:15], v[2:3]
	v_lshlrev_b64 v[14:15], 3, v[0:1]
	v_lshl_add_u64 v[20:21], s[6:7], 0, v[14:15]
	global_load_dwordx2 v[20:21], v[20:21], off
	v_min_f64 v[2:3], v[2:3], s[0:1]
	v_lshl_add_u64 v[14:15], s[8:9], 0, v[14:15]
	v_add_u32_e32 v0, s2, v0
	s_waitcnt vmcnt(0)
	v_mul_f64 v[2:3], v[20:21], v[2:3]
	global_store_dwordx2 v[14:15], v[2:3], off
	v_mul_f64 v[14:15], v[36:37], v[42:43]
	v_div_scale_f64 v[20:21], s[16:17], v[14:15], v[14:15], 1.0
	v_rcp_f64_e32 v[28:29], v[20:21]
	v_mul_f64 v[2:3], v[30:31], v[50:51]
	v_fma_f64 v[36:37], -v[20:21], v[28:29], 1.0
	v_fmac_f64_e32 v[28:29], v[28:29], v[36:37]
	v_fma_f64 v[36:37], -v[20:21], v[28:29], 1.0
	v_fmac_f64_e32 v[28:29], v[28:29], v[36:37]
	v_div_scale_f64 v[36:37], vcc, 1.0, v[14:15], 1.0
	v_mul_f64 v[42:43], v[36:37], v[28:29]
	v_fma_f64 v[20:21], -v[20:21], v[42:43], v[36:37]
	s_nop 1
	v_div_fmas_f64 v[20:21], v[20:21], v[28:29], v[42:43]
	v_div_fixup_f64 v[14:15], v[20:21], v[14:15], 1.0
	v_mul_f64 v[2:3], v[14:15], v[2:3]
	v_lshlrev_b64 v[14:15], 3, v[0:1]
	v_lshl_add_u64 v[20:21], s[6:7], 0, v[14:15]
	global_load_dwordx2 v[20:21], v[20:21], off
	v_min_f64 v[2:3], v[2:3], s[0:1]
	v_lshl_add_u64 v[14:15], s[8:9], 0, v[14:15]
	v_add_u32_e32 v0, s12, v0
	s_waitcnt vmcnt(0)
	v_mul_f64 v[2:3], v[2:3], v[20:21]
	global_store_dwordx2 v[14:15], v[2:3], off
	v_lshl_add_u64 v[14:15], v[0:1], 3, s[10:11]
	global_load_dwordx2 v[14:15], v[14:15], off
	v_mul_f64 v[2:3], v[30:31], v[46:47]
	v_add_u32_e32 v0, s14, v0
	s_waitcnt vmcnt(0)
	v_mul_f64 v[20:21], v[38:39], v[14:15]
	v_div_scale_f64 v[28:29], s[12:13], v[20:21], v[20:21], 1.0
	v_rcp_f64_e32 v[36:37], v[28:29]
	s_mul_i32 s12, s2, 0xffffff66
	v_fma_f64 v[38:39], -v[28:29], v[36:37], 1.0
	v_fmac_f64_e32 v[36:37], v[36:37], v[38:39]
	v_fma_f64 v[38:39], -v[28:29], v[36:37], 1.0
	v_fmac_f64_e32 v[36:37], v[36:37], v[38:39]
	v_div_scale_f64 v[38:39], vcc, 1.0, v[20:21], 1.0
	v_mul_f64 v[42:43], v[38:39], v[36:37]
	v_fma_f64 v[28:29], -v[28:29], v[42:43], v[38:39]
	s_nop 1
	v_div_fmas_f64 v[28:29], v[28:29], v[36:37], v[42:43]
	v_div_fixup_f64 v[20:21], v[28:29], v[20:21], 1.0
	v_mul_f64 v[2:3], v[2:3], v[20:21]
	v_lshlrev_b64 v[20:21], 3, v[0:1]
	v_lshl_add_u64 v[28:29], s[6:7], 0, v[20:21]
	global_load_dwordx2 v[28:29], v[28:29], off
	v_min_f64 v[2:3], v[2:3], s[0:1]
	v_lshl_add_u64 v[20:21], s[8:9], 0, v[20:21]
	v_add_u32_e32 v0, s12, v0
	s_waitcnt vmcnt(0)
	v_mul_f64 v[2:3], v[28:29], v[2:3]
	global_store_dwordx2 v[20:21], v[2:3], off
	v_lshl_add_u64 v[2:3], v[0:1], 3, s[10:11]
	v_add_u32_e32 v0, s5, v0
	v_lshl_add_u64 v[20:21], v[0:1], 3, s[10:11]
	global_load_dwordx2 v[2:3], v[2:3], off
	s_mul_i32 s5, s2, 0x99
	global_load_dwordx2 v[28:29], v[20:21], off
	v_add_u32_e32 v0, s5, v0
	s_mul_i32 s5, s2, 0xffffff77
	s_waitcnt vmcnt(1)
	v_mul_f64 v[2:3], v[30:31], v[2:3]
	s_waitcnt vmcnt(0)
	v_mul_f64 v[18:19], v[18:19], v[28:29]
	v_div_scale_f64 v[20:21], s[12:13], v[18:19], v[18:19], 1.0
	v_rcp_f64_e32 v[30:31], v[20:21]
	s_nop 0
	v_fma_f64 v[36:37], -v[20:21], v[30:31], 1.0
	v_fmac_f64_e32 v[30:31], v[30:31], v[36:37]
	v_fma_f64 v[36:37], -v[20:21], v[30:31], 1.0
	v_fmac_f64_e32 v[30:31], v[30:31], v[36:37]
	v_div_scale_f64 v[36:37], vcc, 1.0, v[18:19], 1.0
	v_mul_f64 v[38:39], v[36:37], v[30:31]
	v_fma_f64 v[20:21], -v[20:21], v[38:39], v[36:37]
	s_nop 1
	v_div_fmas_f64 v[20:21], v[20:21], v[30:31], v[38:39]
	v_div_fixup_f64 v[18:19], v[20:21], v[18:19], 1.0
	v_lshlrev_b64 v[20:21], 3, v[0:1]
	v_lshl_add_u64 v[30:31], s[6:7], 0, v[20:21]
	global_load_dwordx2 v[30:31], v[30:31], off
	v_mul_f64 v[18:19], v[2:3], v[18:19]
	v_min_f64 v[18:19], v[18:19], s[0:1]
	v_lshl_add_u64 v[20:21], s[8:9], 0, v[20:21]
	v_add_u32_e32 v0, s2, v0
	s_waitcnt vmcnt(0)
	v_mul_f64 v[18:19], v[30:31], v[18:19]
	global_store_dwordx2 v[20:21], v[18:19], off
	global_load_dwordx2 v[18:19], v[32:33], off
	s_waitcnt vmcnt(0)
	v_mul_f64 v[14:15], v[18:19], v[14:15]
	v_div_scale_f64 v[20:21], s[12:13], v[14:15], v[14:15], 1.0
	v_rcp_f64_e32 v[30:31], v[20:21]
	s_nop 0
	v_fma_f64 v[32:33], -v[20:21], v[30:31], 1.0
	v_fmac_f64_e32 v[30:31], v[30:31], v[32:33]
	v_fma_f64 v[32:33], -v[20:21], v[30:31], 1.0
	v_fmac_f64_e32 v[30:31], v[30:31], v[32:33]
	v_div_scale_f64 v[32:33], vcc, 1.0, v[14:15], 1.0
	v_mul_f64 v[36:37], v[32:33], v[30:31]
	v_fma_f64 v[20:21], -v[20:21], v[36:37], v[32:33]
	s_nop 1
	v_div_fmas_f64 v[20:21], v[20:21], v[30:31], v[36:37]
	v_div_fixup_f64 v[14:15], v[20:21], v[14:15], 1.0
	v_mul_f64 v[2:3], v[2:3], v[14:15]
	v_lshlrev_b64 v[14:15], 3, v[0:1]
	v_lshl_add_u64 v[20:21], s[6:7], 0, v[14:15]
	global_load_dwordx2 v[20:21], v[20:21], off
	v_min_f64 v[2:3], v[2:3], s[0:1]
	v_lshl_add_u64 v[14:15], s[8:9], 0, v[14:15]
	v_add_u32_e32 v0, s2, v0
	s_waitcnt vmcnt(0)
	v_mul_f64 v[2:3], v[20:21], v[2:3]
	global_store_dwordx2 v[14:15], v[2:3], off
	global_load_dwordx2 v[20:21], v[40:41], off
	s_nop 0
	global_load_dwordx2 v[14:15], v[26:27], off
	s_waitcnt vmcnt(0)
	v_mul_f64 v[2:3], v[20:21], v[14:15]
	global_load_dwordx2 v[26:27], v[34:35], off
	s_waitcnt vmcnt(0)
	v_mul_f64 v[26:27], v[28:29], v[26:27]
	v_div_scale_f64 v[28:29], s[12:13], v[26:27], v[26:27], 1.0
	v_rcp_f64_e32 v[30:31], v[28:29]
	global_load_dwordx2 v[22:23], v[22:23], off
	v_fma_f64 v[32:33], -v[28:29], v[30:31], 1.0
	v_fmac_f64_e32 v[30:31], v[30:31], v[32:33]
	v_fma_f64 v[32:33], -v[28:29], v[30:31], 1.0
	v_fmac_f64_e32 v[30:31], v[30:31], v[32:33]
	v_div_scale_f64 v[32:33], vcc, 1.0, v[26:27], 1.0
	v_mul_f64 v[34:35], v[32:33], v[30:31]
	v_fma_f64 v[28:29], -v[28:29], v[34:35], v[32:33]
	global_load_dwordx2 v[8:9], v[8:9], off
	s_nop 0
	v_div_fmas_f64 v[28:29], v[28:29], v[30:31], v[34:35]
	v_div_fixup_f64 v[26:27], v[28:29], v[26:27], 1.0
	v_lshlrev_b64 v[28:29], 3, v[0:1]
	v_lshl_add_u64 v[30:31], s[6:7], 0, v[28:29]
	global_load_dwordx2 v[30:31], v[30:31], off
	v_mul_f64 v[26:27], v[2:3], v[26:27]
	v_min_f64 v[26:27], v[26:27], s[0:1]
	v_lshl_add_u64 v[28:29], s[8:9], 0, v[28:29]
	v_add_u32_e32 v0, s5, v0
	s_mul_i32 s5, s2, 0x8a
	v_mul_f64 v[2:3], v[4:5], v[2:3]
	global_load_dwordx2 v[12:13], v[12:13], off
	s_waitcnt vmcnt(3)
	v_mul_f64 v[22:23], v[22:23], v[14:15]
	global_load_dwordx2 v[6:7], v[6:7], off
	s_waitcnt vmcnt(2)
	v_mul_f64 v[26:27], v[30:31], v[26:27]
	global_store_dwordx2 v[28:29], v[26:27], off
	v_lshl_add_u64 v[26:27], v[0:1], 3, s[10:11]
	global_load_dwordx2 v[26:27], v[26:27], off
	v_add_u32_e32 v0, s5, v0
	s_waitcnt vmcnt(3)
	v_mul_f64 v[12:13], v[20:21], v[12:13]
	s_waitcnt vmcnt(0)
	v_div_scale_f64 v[28:29], s[12:13], v[26:27], v[26:27], 1.0
	v_rcp_f64_e32 v[30:31], v[28:29]
	s_nop 0
	v_fma_f64 v[32:33], -v[28:29], v[30:31], 1.0
	v_fmac_f64_e32 v[30:31], v[30:31], v[32:33]
	v_fma_f64 v[32:33], -v[28:29], v[30:31], 1.0
	v_fmac_f64_e32 v[30:31], v[30:31], v[32:33]
	v_div_scale_f64 v[32:33], vcc, 1.0, v[26:27], 1.0
	v_mul_f64 v[34:35], v[32:33], v[30:31]
	v_fma_f64 v[28:29], -v[28:29], v[34:35], v[32:33]
	s_nop 1
	v_div_fmas_f64 v[28:29], v[28:29], v[30:31], v[34:35]
	v_div_fixup_f64 v[26:27], v[28:29], v[26:27], 1.0
	v_mul_f64 v[2:3], v[2:3], v[26:27]
	v_lshlrev_b64 v[26:27], 3, v[0:1]
	v_lshl_add_u64 v[28:29], s[6:7], 0, v[26:27]
	global_load_dwordx2 v[28:29], v[28:29], off
	v_min_f64 v[2:3], v[2:3], s[0:1]
	v_lshl_add_u64 v[26:27], s[8:9], 0, v[26:27]
	v_add_u32_e32 v0, s3, v0
	s_waitcnt vmcnt(0)
	v_mul_f64 v[2:3], v[28:29], v[2:3]
	global_store_dwordx2 v[26:27], v[2:3], off
	global_load_dwordx2 v[2:3], v[24:25], off
	s_waitcnt vmcnt(0)
	v_mul_f64 v[24:25], v[18:19], v[2:3]
	v_mul_f64 v[26:27], v[4:5], v[24:25]
	v_lshl_add_u64 v[4:5], v[0:1], 3, s[10:11]
	global_load_dwordx2 v[4:5], v[4:5], off
	v_add_u32_e32 v0, s4, v0
	v_div_scale_f64 v[20:21], s[4:5], v[12:13], v[12:13], 1.0
	v_mul_f64 v[8:9], v[8:9], v[2:3]
	s_waitcnt vmcnt(0)
	v_div_scale_f64 v[28:29], s[10:11], v[4:5], v[4:5], 1.0
	v_rcp_f64_e32 v[30:31], v[28:29]
	s_nop 0
	v_fma_f64 v[32:33], -v[28:29], v[30:31], 1.0
	v_fmac_f64_e32 v[30:31], v[30:31], v[32:33]
	v_fma_f64 v[32:33], -v[28:29], v[30:31], 1.0
	v_fmac_f64_e32 v[30:31], v[30:31], v[32:33]
	v_div_scale_f64 v[32:33], vcc, 1.0, v[4:5], 1.0
	v_mul_f64 v[34:35], v[32:33], v[30:31]
	v_fma_f64 v[28:29], -v[28:29], v[34:35], v[32:33]
	s_nop 1
	v_div_fmas_f64 v[28:29], v[28:29], v[30:31], v[34:35]
	v_div_fixup_f64 v[28:29], v[28:29], v[4:5], 1.0
	v_mul_f64 v[26:27], v[26:27], v[28:29]
	v_lshlrev_b64 v[28:29], 3, v[0:1]
	v_lshl_add_u64 v[30:31], s[6:7], 0, v[28:29]
	global_load_dwordx2 v[30:31], v[30:31], off
	v_min_f64 v[26:27], v[26:27], s[0:1]
	v_lshl_add_u64 v[28:29], s[8:9], 0, v[28:29]
	v_add_u32_e32 v0, s2, v0
	s_waitcnt vmcnt(0)
	v_mul_f64 v[26:27], v[30:31], v[26:27]
	global_store_dwordx2 v[28:29], v[26:27], off
	v_div_scale_f64 v[26:27], s[4:5], v[22:23], v[22:23], 1.0
	v_rcp_f64_e32 v[28:29], v[26:27]
	s_nop 0
	v_fma_f64 v[30:31], -v[26:27], v[28:29], 1.0
	v_fmac_f64_e32 v[28:29], v[28:29], v[30:31]
	v_fma_f64 v[30:31], -v[26:27], v[28:29], 1.0
	v_fmac_f64_e32 v[28:29], v[28:29], v[30:31]
	v_div_scale_f64 v[30:31], vcc, 1.0, v[22:23], 1.0
	v_mul_f64 v[32:33], v[30:31], v[28:29]
	v_fma_f64 v[26:27], -v[26:27], v[32:33], v[30:31]
	s_nop 1
	v_div_fmas_f64 v[26:27], v[26:27], v[28:29], v[32:33]
	v_div_fixup_f64 v[22:23], v[26:27], v[22:23], 1.0
	v_mul_f64 v[22:23], v[24:25], v[22:23]
	v_lshlrev_b64 v[24:25], 3, v[0:1]
	v_lshl_add_u64 v[26:27], s[6:7], 0, v[24:25]
	global_load_dwordx2 v[26:27], v[26:27], off
	v_min_f64 v[22:23], v[22:23], s[0:1]
	v_lshl_add_u64 v[24:25], s[8:9], 0, v[24:25]
	v_add_u32_e32 v0, s2, v0
	s_waitcnt vmcnt(0)
	v_mul_f64 v[22:23], v[26:27], v[22:23]
	global_store_dwordx2 v[24:25], v[22:23], off
	v_rcp_f64_e32 v[22:23], v[20:21]
	s_nop 0
	v_fma_f64 v[24:25], -v[20:21], v[22:23], 1.0
	v_fmac_f64_e32 v[22:23], v[22:23], v[24:25]
	v_fma_f64 v[24:25], -v[20:21], v[22:23], 1.0
	v_fmac_f64_e32 v[22:23], v[22:23], v[24:25]
	v_div_scale_f64 v[24:25], vcc, 1.0, v[12:13], 1.0
	v_mul_f64 v[26:27], v[24:25], v[22:23]
	v_fma_f64 v[20:21], -v[20:21], v[26:27], v[24:25]
	s_nop 1
	v_div_fmas_f64 v[20:21], v[20:21], v[22:23], v[26:27]
	v_div_fixup_f64 v[12:13], v[20:21], v[12:13], 1.0
	v_lshlrev_b64 v[20:21], 3, v[0:1]
	v_lshl_add_u64 v[22:23], s[6:7], 0, v[20:21]
	global_load_dwordx2 v[22:23], v[22:23], off
	v_mul_f64 v[12:13], v[8:9], v[12:13]
	v_min_f64 v[12:13], v[12:13], s[0:1]
	v_lshl_add_u64 v[20:21], s[8:9], 0, v[20:21]
	v_add_u32_e32 v0, s2, v0
	s_waitcnt vmcnt(0)
	v_mul_f64 v[12:13], v[22:23], v[12:13]
	global_store_dwordx2 v[20:21], v[12:13], off
	global_load_dwordx2 v[12:13], v[16:17], off
	s_waitcnt vmcnt(0)
	v_mul_f64 v[12:13], v[18:19], v[12:13]
	v_div_scale_f64 v[16:17], s[4:5], v[12:13], v[12:13], 1.0
	v_rcp_f64_e32 v[18:19], v[16:17]
	s_nop 0
	v_fma_f64 v[20:21], -v[16:17], v[18:19], 1.0
	v_fmac_f64_e32 v[18:19], v[18:19], v[20:21]
	v_fma_f64 v[20:21], -v[16:17], v[18:19], 1.0
	v_fmac_f64_e32 v[18:19], v[18:19], v[20:21]
	v_div_scale_f64 v[20:21], vcc, 1.0, v[12:13], 1.0
	v_mul_f64 v[22:23], v[20:21], v[18:19]
	v_fma_f64 v[16:17], -v[16:17], v[22:23], v[20:21]
	s_nop 1
	v_div_fmas_f64 v[16:17], v[16:17], v[18:19], v[22:23]
	v_div_fixup_f64 v[12:13], v[16:17], v[12:13], 1.0
	v_mul_f64 v[8:9], v[8:9], v[12:13]
	v_lshlrev_b64 v[12:13], 3, v[0:1]
	v_lshl_add_u64 v[16:17], s[6:7], 0, v[12:13]
	global_load_dwordx2 v[16:17], v[16:17], off
	v_min_f64 v[8:9], v[8:9], s[0:1]
	v_lshl_add_u64 v[12:13], s[8:9], 0, v[12:13]
	v_add_u32_e32 v0, s2, v0
	s_waitcnt vmcnt(0)
	v_mul_f64 v[8:9], v[16:17], v[8:9]
	global_store_dwordx2 v[12:13], v[8:9], off
	global_load_dwordx2 v[8:9], v[10:11], off
	v_mul_f64 v[12:13], v[6:7], v[14:15]
	v_div_scale_f64 v[14:15], s[4:5], v[12:13], v[12:13], 1.0
	v_rcp_f64_e32 v[16:17], v[14:15]
	s_waitcnt vmcnt(0)
	v_mul_f64 v[10:11], v[8:9], v[2:3]
	v_fma_f64 v[18:19], -v[14:15], v[16:17], 1.0
	v_fmac_f64_e32 v[16:17], v[16:17], v[18:19]
	v_fma_f64 v[18:19], -v[14:15], v[16:17], 1.0
	v_fmac_f64_e32 v[16:17], v[16:17], v[18:19]
	v_div_scale_f64 v[18:19], vcc, 1.0, v[12:13], 1.0
	v_mul_f64 v[20:21], v[18:19], v[16:17]
	v_fma_f64 v[14:15], -v[14:15], v[20:21], v[18:19]
	v_mul_f64 v[4:5], v[8:9], v[4:5]
	s_nop 0
	v_div_fmas_f64 v[14:15], v[14:15], v[16:17], v[20:21]
	v_div_fixup_f64 v[12:13], v[14:15], v[12:13], 1.0
	v_mul_f64 v[10:11], v[10:11], v[12:13]
	v_lshlrev_b64 v[12:13], 3, v[0:1]
	v_lshl_add_u64 v[14:15], s[6:7], 0, v[12:13]
	global_load_dwordx2 v[14:15], v[14:15], off
	v_mul_f64 v[2:3], v[6:7], v[2:3]
	v_div_scale_f64 v[6:7], s[4:5], v[4:5], v[4:5], 1.0
	v_rcp_f64_e32 v[8:9], v[6:7]
	v_min_f64 v[10:11], v[10:11], s[0:1]
	v_lshl_add_u64 v[12:13], s[8:9], 0, v[12:13]
	v_add_u32_e32 v0, s2, v0
	v_lshlrev_b64 v[0:1], 3, v[0:1]
	s_waitcnt vmcnt(0)
	v_mul_f64 v[10:11], v[14:15], v[10:11]
	global_store_dwordx2 v[12:13], v[10:11], off
	v_fma_f64 v[10:11], -v[6:7], v[8:9], 1.0
	v_fmac_f64_e32 v[8:9], v[8:9], v[10:11]
	v_fma_f64 v[10:11], -v[6:7], v[8:9], 1.0
	v_fmac_f64_e32 v[8:9], v[8:9], v[10:11]
	v_div_scale_f64 v[10:11], vcc, 1.0, v[4:5], 1.0
	v_mul_f64 v[12:13], v[10:11], v[8:9]
	v_fma_f64 v[6:7], -v[6:7], v[12:13], v[10:11]
	s_nop 1
	v_div_fmas_f64 v[6:7], v[6:7], v[8:9], v[12:13]
	v_div_fixup_f64 v[4:5], v[6:7], v[4:5], 1.0
	v_mul_f64 v[2:3], v[2:3], v[4:5]
	v_lshl_add_u64 v[4:5], s[6:7], 0, v[0:1]
	global_load_dwordx2 v[4:5], v[4:5], off
	v_min_f64 v[2:3], v[2:3], s[0:1]
	v_lshl_add_u64 v[0:1], s[8:9], 0, v[0:1]
	s_waitcnt vmcnt(0)
	v_mul_f64 v[2:3], v[4:5], v[2:3]
	global_store_dwordx2 v[0:1], v[2:3], off
	s_endpgm
	.section	.rodata,"a",@progbits
	.p2align	6, 0x0
	.amdhsa_kernel _Z12ratt8_kernelIdEvPKT_S2_PS0_S2_S0_
		.amdhsa_group_segment_fixed_size 0
		.amdhsa_private_segment_fixed_size 0
		.amdhsa_kernarg_size 296
		.amdhsa_user_sgpr_count 2
		.amdhsa_user_sgpr_dispatch_ptr 0
		.amdhsa_user_sgpr_queue_ptr 0
		.amdhsa_user_sgpr_kernarg_segment_ptr 1
		.amdhsa_user_sgpr_dispatch_id 0
		.amdhsa_user_sgpr_kernarg_preload_length 0
		.amdhsa_user_sgpr_kernarg_preload_offset 0
		.amdhsa_user_sgpr_private_segment_size 0
		.amdhsa_uses_dynamic_stack 0
		.amdhsa_enable_private_segment 0
		.amdhsa_system_sgpr_workgroup_id_x 1
		.amdhsa_system_sgpr_workgroup_id_y 0
		.amdhsa_system_sgpr_workgroup_id_z 0
		.amdhsa_system_sgpr_workgroup_info 0
		.amdhsa_system_vgpr_workitem_id 0
		.amdhsa_next_free_vgpr 60
		.amdhsa_next_free_sgpr 18
		.amdhsa_accum_offset 60
		.amdhsa_reserve_vcc 1
		.amdhsa_float_round_mode_32 0
		.amdhsa_float_round_mode_16_64 0
		.amdhsa_float_denorm_mode_32 3
		.amdhsa_float_denorm_mode_16_64 3
		.amdhsa_dx10_clamp 1
		.amdhsa_ieee_mode 1
		.amdhsa_fp16_overflow 0
		.amdhsa_tg_split 0
		.amdhsa_exception_fp_ieee_invalid_op 0
		.amdhsa_exception_fp_denorm_src 0
		.amdhsa_exception_fp_ieee_div_zero 0
		.amdhsa_exception_fp_ieee_overflow 0
		.amdhsa_exception_fp_ieee_underflow 0
		.amdhsa_exception_fp_ieee_inexact 0
		.amdhsa_exception_int_div_zero 0
	.end_amdhsa_kernel
	.section	.text._Z12ratt8_kernelIdEvPKT_S2_PS0_S2_S0_,"axG",@progbits,_Z12ratt8_kernelIdEvPKT_S2_PS0_S2_S0_,comdat
.Lfunc_end36:
	.size	_Z12ratt8_kernelIdEvPKT_S2_PS0_S2_S0_, .Lfunc_end36-_Z12ratt8_kernelIdEvPKT_S2_PS0_S2_S0_
                                        ; -- End function
	.set _Z12ratt8_kernelIdEvPKT_S2_PS0_S2_S0_.num_vgpr, 60
	.set _Z12ratt8_kernelIdEvPKT_S2_PS0_S2_S0_.num_agpr, 0
	.set _Z12ratt8_kernelIdEvPKT_S2_PS0_S2_S0_.numbered_sgpr, 18
	.set _Z12ratt8_kernelIdEvPKT_S2_PS0_S2_S0_.num_named_barrier, 0
	.set _Z12ratt8_kernelIdEvPKT_S2_PS0_S2_S0_.private_seg_size, 0
	.set _Z12ratt8_kernelIdEvPKT_S2_PS0_S2_S0_.uses_vcc, 1
	.set _Z12ratt8_kernelIdEvPKT_S2_PS0_S2_S0_.uses_flat_scratch, 0
	.set _Z12ratt8_kernelIdEvPKT_S2_PS0_S2_S0_.has_dyn_sized_stack, 0
	.set _Z12ratt8_kernelIdEvPKT_S2_PS0_S2_S0_.has_recursion, 0
	.set _Z12ratt8_kernelIdEvPKT_S2_PS0_S2_S0_.has_indirect_call, 0
	.section	.AMDGPU.csdata,"",@progbits
; Kernel info:
; codeLenInByte = 5360
; TotalNumSgprs: 24
; NumVgprs: 60
; NumAgprs: 0
; TotalNumVgprs: 60
; ScratchSize: 0
; MemoryBound: 0
; FloatMode: 240
; IeeeMode: 1
; LDSByteSize: 0 bytes/workgroup (compile time only)
; SGPRBlocks: 2
; VGPRBlocks: 7
; NumSGPRsForWavesPerEU: 24
; NumVGPRsForWavesPerEU: 60
; AccumOffset: 60
; Occupancy: 8
; WaveLimiterHint : 0
; COMPUTE_PGM_RSRC2:SCRATCH_EN: 0
; COMPUTE_PGM_RSRC2:USER_SGPR: 2
; COMPUTE_PGM_RSRC2:TRAP_HANDLER: 0
; COMPUTE_PGM_RSRC2:TGID_X_EN: 1
; COMPUTE_PGM_RSRC2:TGID_Y_EN: 0
; COMPUTE_PGM_RSRC2:TGID_Z_EN: 0
; COMPUTE_PGM_RSRC2:TIDIG_COMP_CNT: 0
; COMPUTE_PGM_RSRC3_GFX90A:ACCUM_OFFSET: 14
; COMPUTE_PGM_RSRC3_GFX90A:TG_SPLIT: 0
	.section	.text._Z12ratt9_kernelIdEvPKT_S2_PS0_S2_S0_,"axG",@progbits,_Z12ratt9_kernelIdEvPKT_S2_PS0_S2_S0_,comdat
	.protected	_Z12ratt9_kernelIdEvPKT_S2_PS0_S2_S0_ ; -- Begin function _Z12ratt9_kernelIdEvPKT_S2_PS0_S2_S0_
	.globl	_Z12ratt9_kernelIdEvPKT_S2_PS0_S2_S0_
	.p2align	8
	.type	_Z12ratt9_kernelIdEvPKT_S2_PS0_S2_S0_,@function
_Z12ratt9_kernelIdEvPKT_S2_PS0_S2_S0_:  ; @_Z12ratt9_kernelIdEvPKT_S2_PS0_S2_S0_
; %bb.0:
	s_load_dword s3, s[0:1], 0x34
	s_load_dwordx8 s[4:11], s[0:1], 0x0
	s_load_dword s12, s[0:1], 0x28
	v_mov_b32_e32 v1, 0
	v_mov_b32_e32 v13, v1
	s_waitcnt lgkmcnt(0)
	s_and_b32 s3, s3, 0xffff
	s_mul_i32 s2, s2, s3
	v_add_u32_e32 v0, s2, v0
	v_lshlrev_b64 v[4:5], 3, v[0:1]
	v_lshl_add_u64 v[2:3], s[4:5], 0, v[4:5]
	s_mul_i32 s4, s12, s3
	global_load_dwordx2 v[2:3], v[2:3], off
	v_mad_u64_u32 v[14:15], s[2:3], s4, 6, v[0:1]
	v_lshl_add_u32 v12, s4, 4, v14
	v_mad_u64_u32 v[8:9], s[2:3], s4, -15, v[12:13]
	v_mov_b32_e32 v9, v1
	v_lshl_add_u64 v[16:17], v[8:9], 3, s[10:11]
	v_mad_u64_u32 v[8:9], s[2:3], s4, 14, v[8:9]
	v_mov_b32_e32 v9, v1
	v_lshl_add_u64 v[10:11], v[8:9], 3, s[10:11]
	global_load_dwordx2 v[6:7], v[16:17], off
	s_load_dwordx2 s[0:1], s[0:1], 0x20
	global_load_dwordx2 v[10:11], v[10:11], off
	s_mul_i32 s12, s4, 0x9a
	s_mul_i32 s5, s4, 0xffffff55
	v_add_u32_e32 v20, s12, v8
	v_mov_b32_e32 v21, v1
	v_add_u32_e32 v8, s5, v20
	v_mov_b32_e32 v15, v1
	v_lshlrev_b64 v[28:29], 3, v[20:21]
	v_mad_u64_u32 v[30:31], s[16:17], s4, 7, v[8:9]
	s_brev_b32 s2, 12
	v_lshl_add_u64 v[18:19], v[14:15], 3, s[10:11]
	v_lshl_add_u64 v[14:15], s[6:7], 0, v[28:29]
	v_mov_b32_e32 v31, v1
	s_mov_b32 s3, 0x4193d2c6
	s_mul_i32 s14, s4, 0xa0
	v_lshl_add_u64 v[12:13], v[12:13], 3, s[10:11]
	global_load_dwordx2 v[32:33], v[18:19], off
	global_load_dwordx2 v[26:27], v[12:13], off
	v_lshl_add_u64 v[20:21], v[8:9], 3, s[10:11]
	global_load_dwordx2 v[40:41], v[14:15], off
	global_load_dwordx2 v[34:35], v[20:21], off
	v_mad_u64_u32 v[14:15], s[16:17], s4, 5, v[30:31]
	v_mov_b32_e32 v25, v1
	s_mul_i32 s13, s4, 0xffffff67
	v_add_u32_e32 v24, s14, v14
	v_lshlrev_b64 v[42:43], 3, v[24:25]
	v_add_u32_e32 v22, s13, v24
	v_lshl_add_u64 v[8:9], v[30:31], 3, s[10:11]
	v_mov_b32_e32 v15, v1
	global_load_dwordx2 v[30:31], v[8:9], off
	v_lshl_add_u64 v[14:15], v[14:15], 3, s[10:11]
	global_load_dwordx2 v[38:39], v[14:15], off
	v_mov_b32_e32 v23, v1
	v_lshl_add_u64 v[28:29], s[8:9], 0, v[28:29]
	v_add_u32_e32 v0, s4, v0
	s_waitcnt vmcnt(8) lgkmcnt(0)
	v_mul_f64 v[2:3], s[0:1], v[2:3]
	v_mul_f64 v[2:3], v[2:3], s[2:3]
	v_div_scale_f64 v[24:25], s[0:1], v[2:3], v[2:3], 1.0
	v_rcp_f64_e32 v[44:45], v[24:25]
	v_div_scale_f64 v[36:37], vcc, 1.0, v[2:3], 1.0
	s_mov_b32 s2, 0
	v_fma_f64 v[50:51], -v[24:25], v[44:45], 1.0
	v_fmac_f64_e32 v[44:45], v[44:45], v[50:51]
	v_fma_f64 v[50:51], -v[24:25], v[44:45], 1.0
	v_fmac_f64_e32 v[44:45], v[44:45], v[50:51]
	v_mul_f64 v[50:51], v[36:37], v[44:45]
	v_fma_f64 v[24:25], -v[24:25], v[50:51], v[36:37]
	s_waitcnt vmcnt(6)
	v_mul_f64 v[46:47], v[6:7], v[10:11]
	v_div_scale_f64 v[48:49], s[0:1], v[46:47], v[46:47], 1.0
	v_rcp_f64_e32 v[52:53], v[48:49]
	v_div_fmas_f64 v[24:25], v[24:25], v[44:45], v[50:51]
	v_div_scale_f64 v[36:37], vcc, 1.0, v[46:47], 1.0
	v_fma_f64 v[44:45], -v[48:49], v[52:53], 1.0
	v_fmac_f64_e32 v[52:53], v[52:53], v[44:45]
	v_fma_f64 v[44:45], -v[48:49], v[52:53], 1.0
	v_fmac_f64_e32 v[52:53], v[52:53], v[44:45]
	v_mul_f64 v[44:45], v[36:37], v[52:53]
	v_fma_f64 v[48:49], -v[48:49], v[44:45], v[36:37]
	v_lshl_add_u64 v[36:37], v[22:23], 3, s[10:11]
	global_load_dwordx2 v[36:37], v[36:37], off
	v_div_fmas_f64 v[44:45], v[48:49], v[52:53], v[44:45]
	v_lshl_add_u64 v[48:49], s[6:7], 0, v[42:43]
	global_load_dwordx2 v[48:49], v[48:49], off
	s_mov_b32 s3, 0x412eec04
	v_div_fixup_f64 v[2:3], v[24:25], v[2:3], 1.0
	s_mov_b32 s0, 0x4357691b
	s_waitcnt vmcnt(6)
	v_mul_f64 v[50:51], v[32:33], v[26:27]
	v_mul_f64 v[2:3], v[2:3], s[2:3]
	v_div_fixup_f64 v[44:45], v[44:45], v[46:47], 1.0
	s_mov_b32 s1, 0x479e17b8
	v_mul_f64 v[44:45], v[50:51], v[44:45]
	v_min_f64 v[44:45], v[44:45], s[0:1]
	s_waitcnt vmcnt(5)
	v_mul_f64 v[40:41], v[40:41], v[44:45]
	global_store_dwordx2 v[28:29], v[40:41], off
	s_waitcnt vmcnt(4)
	v_mul_f64 v[24:25], v[34:35], v[30:31]
	v_lshl_add_u64 v[42:43], s[8:9], 0, v[42:43]
	s_waitcnt vmcnt(3)
	v_mul_f64 v[24:25], v[24:25], v[38:39]
	v_mul_f64 v[24:25], v[2:3], v[24:25]
	v_div_scale_f64 v[46:47], s[2:3], v[24:25], v[24:25], 1.0
	v_rcp_f64_e32 v[44:45], v[46:47]
	v_add_u32_e32 v22, s12, v22
	v_mov_b32_e32 v53, v1
	v_mul_f64 v[6:7], v[26:27], v[6:7]
	v_fma_f64 v[28:29], -v[46:47], v[44:45], 1.0
	v_fmac_f64_e32 v[44:45], v[44:45], v[28:29]
	v_fma_f64 v[28:29], -v[46:47], v[44:45], 1.0
	v_fmac_f64_e32 v[44:45], v[44:45], v[28:29]
	v_div_scale_f64 v[28:29], vcc, 1.0, v[24:25], 1.0
	v_mul_f64 v[40:41], v[28:29], v[44:45]
	v_fma_f64 v[28:29], -v[46:47], v[40:41], v[28:29]
	s_mul_i32 s12, s4, 0xb2
	s_nop 0
	v_div_fmas_f64 v[28:29], v[28:29], v[44:45], v[40:41]
	v_div_fixup_f64 v[24:25], v[28:29], v[24:25], 1.0
	v_mul_f64 v[24:25], v[50:51], v[24:25]
	v_min_f64 v[24:25], v[24:25], s[0:1]
	v_mul_f64 v[10:11], v[10:11], v[30:31]
	s_waitcnt vmcnt(2)
	v_mul_f64 v[28:29], v[32:33], v[36:37]
	v_div_scale_f64 v[40:41], s[2:3], v[28:29], v[28:29], 1.0
	v_rcp_f64_e32 v[46:47], v[40:41]
	s_waitcnt vmcnt(1)
	v_mul_f64 v[24:25], v[48:49], v[24:25]
	global_store_dwordx2 v[42:43], v[24:25], off
	s_mul_i32 s2, s4, 0xffffff5e
	v_fma_f64 v[24:25], -v[40:41], v[46:47], 1.0
	v_fmac_f64_e32 v[46:47], v[46:47], v[24:25]
	v_fma_f64 v[24:25], -v[40:41], v[46:47], 1.0
	v_fmac_f64_e32 v[46:47], v[46:47], v[24:25]
	v_div_scale_f64 v[24:25], vcc, 1.0, v[28:29], 1.0
	v_mul_f64 v[42:43], v[24:25], v[46:47]
	v_fma_f64 v[24:25], -v[40:41], v[42:43], v[24:25]
	v_lshlrev_b64 v[40:41], 3, v[22:23]
	v_add_u32_e32 v22, s2, v22
	s_lshl_b32 s2, s4, 1
	v_lshl_add_u64 v[44:45], s[6:7], 0, v[40:41]
	v_subrev_u32_e32 v52, s2, v22
	global_load_dwordx2 v[48:49], v[44:45], off
	v_lshl_add_u64 v[44:45], v[52:53], 3, s[10:11]
	global_load_dwordx2 v[44:45], v[44:45], off
	v_div_fmas_f64 v[24:25], v[24:25], v[46:47], v[42:43]
	v_div_fixup_f64 v[24:25], v[24:25], v[28:29], 1.0
	v_mul_f64 v[6:7], v[6:7], v[24:25]
	v_min_f64 v[6:7], v[6:7], s[0:1]
	v_lshl_add_u64 v[24:25], s[8:9], 0, v[40:41]
	v_lshl_add_u64 v[40:41], v[22:23], 3, s[10:11]
	v_mov_b32_e32 v29, v1
	global_load_dwordx2 v[50:51], v[40:41], off
	s_waitcnt vmcnt(2)
	v_mul_f64 v[6:7], v[48:49], v[6:7]
	global_store_dwordx2 v[24:25], v[6:7], off
	s_waitcnt vmcnt(2)
	v_mul_f64 v[6:7], v[36:37], v[44:45]
	v_div_scale_f64 v[24:25], s[2:3], v[6:7], v[6:7], 1.0
	s_mul_i32 s2, s4, 0xa5
	s_nop 0
	v_add_u32_e32 v28, s2, v52
	v_lshlrev_b64 v[48:49], 3, v[28:29]
	v_lshl_add_u64 v[28:29], s[6:7], 0, v[48:49]
	global_load_dwordx2 v[52:53], v[28:29], off
	v_lshl_add_u64 v[28:29], s[10:11], 0, v[4:5]
	global_load_dwordx2 v[4:5], v[28:29], off
	v_rcp_f64_e32 v[42:43], v[24:25]
	s_waitcnt vmcnt(0)
	v_mul_f64 v[4:5], v[26:27], v[4:5]
	v_fma_f64 v[22:23], -v[24:25], v[42:43], 1.0
	v_fmac_f64_e32 v[42:43], v[42:43], v[22:23]
	v_fma_f64 v[22:23], -v[24:25], v[42:43], 1.0
	v_fmac_f64_e32 v[42:43], v[42:43], v[22:23]
	v_div_scale_f64 v[22:23], vcc, 1.0, v[6:7], 1.0
	v_mul_f64 v[46:47], v[22:23], v[42:43]
	v_fma_f64 v[22:23], -v[24:25], v[46:47], v[22:23]
	v_mul_f64 v[24:25], v[26:27], v[50:51]
	s_nop 0
	v_div_fmas_f64 v[22:23], v[22:23], v[42:43], v[46:47]
	v_div_fixup_f64 v[6:7], v[22:23], v[6:7], 1.0
	v_mul_f64 v[6:7], v[24:25], v[6:7]
	v_min_f64 v[6:7], v[6:7], s[0:1]
	v_mul_f64 v[6:7], v[52:53], v[6:7]
	v_lshl_add_u64 v[22:23], s[8:9], 0, v[48:49]
	global_store_dwordx2 v[22:23], v[6:7], off
	v_div_scale_f64 v[6:7], s[2:3], v[4:5], v[4:5], 1.0
	v_rcp_f64_e32 v[22:23], v[6:7]
	v_lshl_add_u64 v[46:47], v[0:1], 3, s[10:11]
	global_load_dwordx2 v[48:49], v[46:47], off
	v_add_u32_e32 v0, s12, v0
	v_fma_f64 v[24:25], -v[6:7], v[22:23], 1.0
	v_fmac_f64_e32 v[22:23], v[22:23], v[24:25]
	v_fma_f64 v[24:25], -v[6:7], v[22:23], 1.0
	v_fmac_f64_e32 v[22:23], v[22:23], v[24:25]
	v_div_scale_f64 v[24:25], vcc, 1.0, v[4:5], 1.0
	v_mul_f64 v[42:43], v[24:25], v[22:23]
	v_fma_f64 v[6:7], -v[6:7], v[42:43], v[24:25]
	s_nop 1
	v_div_fmas_f64 v[6:7], v[6:7], v[22:23], v[42:43]
	v_lshlrev_b64 v[22:23], 3, v[0:1]
	v_lshl_add_u64 v[24:25], s[6:7], 0, v[22:23]
	global_load_dwordx2 v[24:25], v[24:25], off
	v_div_fixup_f64 v[4:5], v[6:7], v[4:5], 1.0
	v_lshl_add_u64 v[6:7], s[8:9], 0, v[22:23]
	v_mul_f64 v[22:23], v[26:27], v[34:35]
	s_waitcnt vmcnt(1)
	v_mul_f64 v[42:43], v[36:37], v[48:49]
	v_mul_f64 v[4:5], v[42:43], v[4:5]
	v_min_f64 v[4:5], v[4:5], s[0:1]
	s_waitcnt vmcnt(0)
	v_mul_f64 v[4:5], v[24:25], v[4:5]
	v_div_scale_f64 v[24:25], s[2:3], v[22:23], v[22:23], 1.0
	v_rcp_f64_e32 v[42:43], v[24:25]
	global_store_dwordx2 v[6:7], v[4:5], off
	s_mul_i32 s2, s4, 0xffffff4f
	v_add_u32_e32 v0, s2, v0
	v_fma_f64 v[4:5], -v[24:25], v[42:43], 1.0
	v_fmac_f64_e32 v[42:43], v[42:43], v[4:5]
	v_fma_f64 v[4:5], -v[24:25], v[42:43], 1.0
	v_fmac_f64_e32 v[42:43], v[42:43], v[4:5]
	v_div_scale_f64 v[4:5], vcc, 1.0, v[22:23], 1.0
	v_mul_f64 v[6:7], v[4:5], v[42:43]
	v_fma_f64 v[4:5], -v[24:25], v[6:7], v[4:5]
	v_lshl_add_u64 v[24:25], v[0:1], 3, s[10:11]
	s_nop 0
	v_div_fmas_f64 v[4:5], v[4:5], v[42:43], v[6:7]
	global_load_dwordx2 v[6:7], v[24:25], off
	v_add_u32_e32 v0, s12, v0
	v_div_fixup_f64 v[4:5], v[4:5], v[22:23], 1.0
	v_lshlrev_b64 v[22:23], 3, v[0:1]
	v_lshl_add_u64 v[42:43], s[6:7], 0, v[22:23]
	global_load_dwordx2 v[42:43], v[42:43], off
	s_mul_i32 s2, s4, 0xffffff51
	v_add_u32_e32 v0, s2, v0
	v_lshl_add_u64 v[22:23], s[8:9], 0, v[22:23]
	s_mul_i32 s12, s4, 0xa7
	s_waitcnt vmcnt(1)
	v_mul_f64 v[6:7], v[36:37], v[6:7]
	v_mul_f64 v[4:5], v[4:5], v[6:7]
	v_min_f64 v[4:5], v[4:5], s[0:1]
	s_waitcnt vmcnt(0)
	v_mul_f64 v[4:5], v[42:43], v[4:5]
	v_lshl_add_u64 v[42:43], v[0:1], 3, s[10:11]
	global_load_dwordx2 v[6:7], v[42:43], off
	s_nop 0
	global_store_dwordx2 v[22:23], v[4:5], off
	s_waitcnt vmcnt(1)
	v_mul_f64 v[4:5], v[26:27], v[6:7]
	v_div_scale_f64 v[6:7], s[2:3], v[4:5], v[4:5], 1.0
	v_rcp_f64_e32 v[22:23], v[6:7]
	s_mul_i32 s2, s4, 0xb0
	v_add_u32_e32 v0, s2, v0
	v_fma_f64 v[52:53], -v[6:7], v[22:23], 1.0
	v_fmac_f64_e32 v[22:23], v[22:23], v[52:53]
	v_fma_f64 v[52:53], -v[6:7], v[22:23], 1.0
	v_fmac_f64_e32 v[22:23], v[22:23], v[52:53]
	v_div_scale_f64 v[52:53], vcc, 1.0, v[4:5], 1.0
	v_mul_f64 v[54:55], v[52:53], v[22:23]
	v_fma_f64 v[6:7], -v[6:7], v[54:55], v[52:53]
	s_nop 1
	v_div_fmas_f64 v[6:7], v[6:7], v[22:23], v[54:55]
	v_mul_f64 v[22:23], v[34:35], v[36:37]
	v_div_fixup_f64 v[4:5], v[6:7], v[4:5], 1.0
	v_lshlrev_b64 v[6:7], 3, v[0:1]
	v_mul_f64 v[4:5], v[22:23], v[4:5]
	v_lshl_add_u64 v[22:23], s[6:7], 0, v[6:7]
	global_load_dwordx2 v[22:23], v[22:23], off
	v_min_f64 v[4:5], v[4:5], s[0:1]
	v_lshl_add_u64 v[6:7], s[8:9], 0, v[6:7]
	v_add_u32_e32 v0, s5, v0
	s_mul_i32 s5, s4, 0xffffff5a
	v_mul_f64 v[34:35], v[34:35], v[38:39]
	s_waitcnt vmcnt(0)
	v_mul_f64 v[4:5], v[22:23], v[4:5]
	global_store_dwordx2 v[6:7], v[4:5], off
	v_mul_f64 v[4:5], v[26:27], v[30:31]
	v_div_scale_f64 v[6:7], s[2:3], v[4:5], v[4:5], 1.0
	v_rcp_f64_e32 v[22:23], v[6:7]
	s_mul_i32 s2, s4, 0xac
	v_fma_f64 v[52:53], -v[6:7], v[22:23], 1.0
	v_fmac_f64_e32 v[22:23], v[22:23], v[52:53]
	v_fma_f64 v[52:53], -v[6:7], v[22:23], 1.0
	v_fmac_f64_e32 v[22:23], v[22:23], v[52:53]
	v_div_scale_f64 v[52:53], vcc, 1.0, v[4:5], 1.0
	v_mul_f64 v[54:55], v[52:53], v[22:23]
	v_fma_f64 v[6:7], -v[6:7], v[54:55], v[52:53]
	s_nop 1
	v_div_fmas_f64 v[6:7], v[6:7], v[22:23], v[54:55]
	v_lshl_add_u64 v[22:23], v[0:1], 3, s[10:11]
	global_load_dwordx2 v[22:23], v[22:23], off
	v_add_u32_e32 v0, s2, v0
	v_div_fixup_f64 v[4:5], v[6:7], v[4:5], 1.0
	v_lshlrev_b64 v[6:7], 3, v[0:1]
	s_mul_i32 s2, s4, 0xffffff56
	v_add_u32_e32 v0, s2, v0
	s_waitcnt vmcnt(0)
	v_mul_f64 v[22:23], v[36:37], v[22:23]
	v_mul_f64 v[4:5], v[4:5], v[22:23]
	v_lshl_add_u64 v[22:23], s[6:7], 0, v[6:7]
	global_load_dwordx2 v[22:23], v[22:23], off
	v_min_f64 v[4:5], v[4:5], s[0:1]
	v_lshl_add_u64 v[6:7], s[8:9], 0, v[6:7]
	v_mul_f64 v[36:37], v[30:31], v[36:37]
	s_waitcnt vmcnt(0)
	v_mul_f64 v[4:5], v[22:23], v[4:5]
	v_lshl_add_u64 v[22:23], v[0:1], 3, s[10:11]
	global_store_dwordx2 v[6:7], v[4:5], off
	global_load_dwordx2 v[4:5], v[22:23], off
	s_waitcnt vmcnt(0)
	v_mul_f64 v[6:7], v[26:27], v[4:5]
	v_div_scale_f64 v[26:27], s[2:3], v[6:7], v[6:7], 1.0
	v_rcp_f64_e32 v[52:53], v[26:27]
	s_mul_i32 s2, s4, 0xab
	v_add_u32_e32 v0, s2, v0
	s_mul_i32 s2, s4, 0xffffff65
	v_fma_f64 v[54:55], -v[26:27], v[52:53], 1.0
	v_fmac_f64_e32 v[52:53], v[52:53], v[54:55]
	v_fma_f64 v[54:55], -v[26:27], v[52:53], 1.0
	v_fmac_f64_e32 v[52:53], v[52:53], v[54:55]
	v_div_scale_f64 v[54:55], vcc, 1.0, v[6:7], 1.0
	v_mul_f64 v[56:57], v[54:55], v[52:53]
	v_fma_f64 v[26:27], -v[26:27], v[56:57], v[54:55]
	s_nop 1
	v_div_fmas_f64 v[26:27], v[26:27], v[52:53], v[56:57]
	v_div_fixup_f64 v[6:7], v[26:27], v[6:7], 1.0
	v_lshlrev_b64 v[26:27], 3, v[0:1]
	v_mul_f64 v[6:7], v[36:37], v[6:7]
	v_lshl_add_u64 v[36:37], s[6:7], 0, v[26:27]
	global_load_dwordx2 v[36:37], v[36:37], off
	v_min_f64 v[6:7], v[6:7], s[0:1]
	v_lshl_add_u64 v[26:27], s[8:9], 0, v[26:27]
	v_add_u32_e32 v0, s2, v0
	s_waitcnt vmcnt(0)
	v_mul_f64 v[6:7], v[36:37], v[6:7]
	global_store_dwordx2 v[26:27], v[6:7], off
	v_lshl_add_u64 v[6:7], v[0:1], 3, s[10:11]
	v_add_u32_e32 v0, s4, v0
	v_lshl_add_u64 v[36:37], v[0:1], 3, s[10:11]
	global_load_dwordx2 v[52:53], v[36:37], off
	s_waitcnt vmcnt(0)
	v_div_scale_f64 v[26:27], s[2:3], v[52:53], v[52:53], 1.0
	v_rcp_f64_e32 v[54:55], v[26:27]
	s_mul_i32 s2, s4, 0x9b
	v_add_u32_e32 v0, s2, v0
	s_mul_i32 s2, s4, 0xffffff5b
	v_fma_f64 v[56:57], -v[26:27], v[54:55], 1.0
	v_fmac_f64_e32 v[54:55], v[54:55], v[56:57]
	v_fma_f64 v[56:57], -v[26:27], v[54:55], 1.0
	v_fmac_f64_e32 v[54:55], v[54:55], v[56:57]
	v_div_scale_f64 v[56:57], vcc, 1.0, v[52:53], 1.0
	v_mul_f64 v[58:59], v[56:57], v[54:55]
	v_fma_f64 v[26:27], -v[26:27], v[58:59], v[56:57]
	s_nop 1
	v_div_fmas_f64 v[26:27], v[26:27], v[54:55], v[58:59]
	global_load_dwordx2 v[54:55], v[6:7], off
	v_div_fixup_f64 v[26:27], v[26:27], v[52:53], 1.0
	s_waitcnt vmcnt(0)
	v_mul_f64 v[56:57], v[48:49], v[54:55]
	v_mul_f64 v[58:59], v[2:3], v[56:57]
	;; [unrolled: 1-line block ×3, first 2 shown]
	v_lshlrev_b64 v[58:59], 3, v[0:1]
	v_lshl_add_u64 v[60:61], s[6:7], 0, v[58:59]
	global_load_dwordx2 v[60:61], v[60:61], off
	v_min_f64 v[26:27], v[26:27], s[0:1]
	v_lshl_add_u64 v[58:59], s[8:9], 0, v[58:59]
	v_add_u32_e32 v0, s2, v0
	v_mul_f64 v[32:33], v[32:33], v[54:55]
	s_waitcnt vmcnt(0)
	v_mul_f64 v[26:27], v[60:61], v[26:27]
	global_store_dwordx2 v[58:59], v[26:27], off
	v_lshl_add_u64 v[26:27], v[0:1], 3, s[10:11]
	global_load_dwordx2 v[26:27], v[26:27], off
	s_waitcnt vmcnt(0)
	v_mul_f64 v[4:5], v[4:5], v[26:27]
	v_div_scale_f64 v[26:27], s[2:3], v[4:5], v[4:5], 1.0
	v_rcp_f64_e32 v[58:59], v[26:27]
	s_mul_i32 s2, s4, 0xa6
	v_add_u32_e32 v0, s2, v0
	s_mul_i32 s2, s4, 0xffffff4a
	v_fma_f64 v[60:61], -v[26:27], v[58:59], 1.0
	v_fmac_f64_e32 v[58:59], v[58:59], v[60:61]
	v_fma_f64 v[60:61], -v[26:27], v[58:59], 1.0
	v_fmac_f64_e32 v[58:59], v[58:59], v[60:61]
	v_div_scale_f64 v[60:61], vcc, 1.0, v[4:5], 1.0
	v_mul_f64 v[62:63], v[60:61], v[58:59]
	v_fma_f64 v[26:27], -v[26:27], v[62:63], v[60:61]
	s_nop 1
	v_div_fmas_f64 v[26:27], v[26:27], v[58:59], v[62:63]
	v_div_fixup_f64 v[4:5], v[26:27], v[4:5], 1.0
	v_lshlrev_b64 v[26:27], 3, v[0:1]
	v_mul_f64 v[4:5], v[56:57], v[4:5]
	v_lshl_add_u64 v[56:57], s[6:7], 0, v[26:27]
	global_load_dwordx2 v[56:57], v[56:57], off
	v_min_f64 v[4:5], v[4:5], s[0:1]
	v_lshl_add_u64 v[26:27], s[8:9], 0, v[26:27]
	v_add_u32_e32 v0, s2, v0
	s_waitcnt vmcnt(0)
	v_mul_f64 v[4:5], v[56:57], v[4:5]
	global_store_dwordx2 v[26:27], v[4:5], off
	v_lshl_add_u64 v[26:27], v[0:1], 3, s[10:11]
	global_load_dwordx2 v[4:5], v[26:27], off
	s_waitcnt vmcnt(0)
	v_mul_f64 v[4:5], v[52:53], v[4:5]
	v_div_scale_f64 v[56:57], s[2:3], v[4:5], v[4:5], 1.0
	v_rcp_f64_e32 v[58:59], v[56:57]
	s_mul_i32 s2, s4, 0xb7
	v_add_u32_e32 v0, s2, v0
	v_fma_f64 v[60:61], -v[56:57], v[58:59], 1.0
	v_fmac_f64_e32 v[58:59], v[58:59], v[60:61]
	v_fma_f64 v[60:61], -v[56:57], v[58:59], 1.0
	v_fmac_f64_e32 v[58:59], v[58:59], v[60:61]
	v_div_scale_f64 v[60:61], vcc, 1.0, v[4:5], 1.0
	v_mul_f64 v[62:63], v[60:61], v[58:59]
	v_fma_f64 v[56:57], -v[56:57], v[62:63], v[60:61]
	s_nop 1
	v_div_fmas_f64 v[56:57], v[56:57], v[58:59], v[62:63]
	v_div_fixup_f64 v[4:5], v[56:57], v[4:5], 1.0
	v_lshlrev_b64 v[56:57], 3, v[0:1]
	v_lshl_add_u64 v[58:59], s[6:7], 0, v[56:57]
	global_load_dwordx2 v[58:59], v[58:59], off
	v_mul_f64 v[4:5], v[32:33], v[4:5]
	v_min_f64 v[4:5], v[4:5], s[0:1]
	v_lshl_add_u64 v[56:57], s[8:9], 0, v[56:57]
	v_add_u32_e32 v0, s5, v0
	s_waitcnt vmcnt(0)
	v_mul_f64 v[4:5], v[58:59], v[4:5]
	global_store_dwordx2 v[56:57], v[4:5], off
	v_lshl_add_u64 v[4:5], v[0:1], 3, s[10:11]
	global_load_dwordx2 v[38:39], v[4:5], off
	v_add_u32_e32 v0, s12, v0
	s_waitcnt vmcnt(0)
	v_mul_f64 v[34:35], v[34:35], v[38:39]
	v_mul_f64 v[34:35], v[2:3], v[34:35]
	v_div_scale_f64 v[38:39], s[2:3], v[34:35], v[34:35], 1.0
	v_rcp_f64_e32 v[56:57], v[38:39]
	s_nop 0
	v_fma_f64 v[58:59], -v[38:39], v[56:57], 1.0
	v_fmac_f64_e32 v[56:57], v[56:57], v[58:59]
	v_fma_f64 v[58:59], -v[38:39], v[56:57], 1.0
	v_fmac_f64_e32 v[56:57], v[56:57], v[58:59]
	v_div_scale_f64 v[58:59], vcc, 1.0, v[34:35], 1.0
	v_mul_f64 v[60:61], v[58:59], v[56:57]
	v_fma_f64 v[38:39], -v[38:39], v[60:61], v[58:59]
	s_nop 1
	v_div_fmas_f64 v[38:39], v[38:39], v[56:57], v[60:61]
	v_div_fixup_f64 v[34:35], v[38:39], v[34:35], 1.0
	v_mul_f64 v[32:33], v[32:33], v[34:35]
	v_lshlrev_b64 v[34:35], 3, v[0:1]
	v_lshl_add_u64 v[38:39], s[6:7], 0, v[34:35]
	global_load_dwordx2 v[38:39], v[38:39], off
	v_min_f64 v[32:33], v[32:33], s[0:1]
	v_lshl_add_u64 v[34:35], s[8:9], 0, v[34:35]
	v_add_u32_e32 v0, s4, v0
	s_waitcnt vmcnt(0)
	v_mul_f64 v[32:33], v[38:39], v[32:33]
	global_store_dwordx2 v[34:35], v[32:33], off
	v_mul_f64 v[32:33], v[44:45], v[52:53]
	v_div_scale_f64 v[34:35], s[2:3], v[32:33], v[32:33], 1.0
	v_rcp_f64_e32 v[38:39], v[34:35]
	s_mul_i32 s2, s4, 0xffffff62
	v_fma_f64 v[44:45], -v[34:35], v[38:39], 1.0
	v_fmac_f64_e32 v[38:39], v[38:39], v[44:45]
	v_fma_f64 v[44:45], -v[34:35], v[38:39], 1.0
	v_fmac_f64_e32 v[38:39], v[38:39], v[44:45]
	v_div_scale_f64 v[44:45], vcc, 1.0, v[32:33], 1.0
	v_mul_f64 v[56:57], v[44:45], v[38:39]
	v_fma_f64 v[34:35], -v[34:35], v[56:57], v[44:45]
	s_nop 1
	v_div_fmas_f64 v[34:35], v[34:35], v[38:39], v[56:57]
	v_div_fixup_f64 v[32:33], v[34:35], v[32:33], 1.0
	v_lshlrev_b64 v[34:35], 3, v[0:1]
	v_lshl_add_u64 v[44:45], s[6:7], 0, v[34:35]
	global_load_dwordx2 v[44:45], v[44:45], off
	v_mul_f64 v[38:39], v[50:51], v[54:55]
	v_mul_f64 v[32:33], v[38:39], v[32:33]
	v_add_u32_e32 v0, s2, v0
	v_min_f64 v[32:33], v[32:33], s[0:1]
	v_lshl_add_u64 v[38:39], v[0:1], 3, s[10:11]
	v_lshl_add_u64 v[34:35], s[8:9], 0, v[34:35]
	s_waitcnt vmcnt(0)
	v_mul_f64 v[32:33], v[32:33], v[44:45]
	global_load_dwordx2 v[44:45], v[38:39], off
	s_nop 0
	global_store_dwordx2 v[34:35], v[32:33], off
	s_waitcnt vmcnt(1)
	v_div_scale_f64 v[32:33], s[2:3], v[44:45], v[44:45], 1.0
	v_rcp_f64_e32 v[34:35], v[32:33]
	s_mul_i32 s2, s4, 0x9f
	v_add_u32_e32 v0, s2, v0
	v_div_scale_f64 v[30:31], s[2:3], v[10:11], v[10:11], 1.0
	v_fma_f64 v[50:51], -v[32:33], v[34:35], 1.0
	v_fmac_f64_e32 v[34:35], v[34:35], v[50:51]
	v_fma_f64 v[50:51], -v[32:33], v[34:35], 1.0
	v_fmac_f64_e32 v[34:35], v[34:35], v[50:51]
	v_div_scale_f64 v[50:51], vcc, 1.0, v[44:45], 1.0
	v_mul_f64 v[54:55], v[50:51], v[34:35]
	v_fma_f64 v[32:33], -v[32:33], v[54:55], v[50:51]
	s_nop 1
	v_div_fmas_f64 v[32:33], v[32:33], v[34:35], v[54:55]
	v_mul_f64 v[34:35], v[48:49], v[52:53]
	v_mul_f64 v[50:51], v[2:3], v[34:35]
	v_div_fixup_f64 v[32:33], v[32:33], v[44:45], 1.0
	v_lshlrev_b64 v[44:45], 3, v[0:1]
	v_mul_f64 v[32:33], v[50:51], v[32:33]
	v_lshl_add_u64 v[50:51], s[6:7], 0, v[44:45]
	global_load_dwordx2 v[50:51], v[50:51], off
	v_min_f64 v[32:33], v[32:33], s[0:1]
	v_lshl_add_u64 v[44:45], s[8:9], 0, v[44:45]
	v_add_u32_e32 v0, s4, v0
	s_waitcnt vmcnt(0)
	v_mul_f64 v[32:33], v[50:51], v[32:33]
	v_rcp_f64_e32 v[50:51], v[30:31]
	global_store_dwordx2 v[44:45], v[32:33], off
	v_fma_f64 v[32:33], -v[30:31], v[50:51], 1.0
	v_fmac_f64_e32 v[50:51], v[50:51], v[32:33]
	v_fma_f64 v[32:33], -v[30:31], v[50:51], 1.0
	v_fmac_f64_e32 v[50:51], v[50:51], v[32:33]
	v_div_scale_f64 v[32:33], vcc, 1.0, v[10:11], 1.0
	v_mul_f64 v[44:45], v[32:33], v[50:51]
	v_fma_f64 v[30:31], -v[30:31], v[44:45], v[32:33]
	s_nop 1
	v_div_fmas_f64 v[30:31], v[30:31], v[50:51], v[44:45]
	v_div_fixup_f64 v[10:11], v[30:31], v[10:11], 1.0
	v_lshlrev_b64 v[30:31], 3, v[0:1]
	v_lshl_add_u64 v[32:33], s[6:7], 0, v[30:31]
	global_load_dwordx2 v[50:51], v[32:33], off
	global_load_dwordx2 v[52:53], v[28:29], off
	;; [unrolled: 1-line block ×3, first 2 shown]
	v_mul_f64 v[10:11], v[10:11], v[34:35]
	v_min_f64 v[10:11], v[10:11], s[0:1]
	v_lshl_add_u64 v[30:31], s[8:9], 0, v[30:31]
	v_add_u32_e32 v0, s4, v0
	s_waitcnt vmcnt(2)
	v_mul_f64 v[10:11], v[10:11], v[50:51]
	global_store_dwordx2 v[30:31], v[10:11], off
	s_waitcnt vmcnt(1)
	v_mul_f64 v[34:35], v[52:53], v[44:45]
	v_div_scale_f64 v[32:33], s[2:3], v[34:35], v[34:35], 1.0
	v_rcp_f64_e32 v[50:51], v[32:33]
	s_nop 0
	v_fma_f64 v[10:11], -v[32:33], v[50:51], 1.0
	v_fmac_f64_e32 v[50:51], v[50:51], v[10:11]
	v_fma_f64 v[10:11], -v[32:33], v[50:51], 1.0
	v_fmac_f64_e32 v[50:51], v[50:51], v[10:11]
	v_div_scale_f64 v[10:11], vcc, 1.0, v[34:35], 1.0
	v_mul_f64 v[30:31], v[10:11], v[50:51]
	v_fma_f64 v[10:11], -v[32:33], v[30:31], v[10:11]
	global_load_dwordx2 v[32:33], v[36:37], off
	s_nop 0
	v_div_fmas_f64 v[10:11], v[10:11], v[50:51], v[30:31]
	v_div_fixup_f64 v[10:11], v[10:11], v[34:35], 1.0
	s_waitcnt vmcnt(0)
	v_mul_f64 v[48:49], v[48:49], v[32:33]
	v_mul_f64 v[10:11], v[48:49], v[10:11]
	v_lshlrev_b64 v[48:49], 3, v[0:1]
	v_lshl_add_u64 v[50:51], s[6:7], 0, v[48:49]
	v_add_u32_e32 v0, s5, v0
	global_load_dwordx2 v[52:53], v[50:51], off
	global_load_dwordx2 v[30:31], v[46:47], off
	;; [unrolled: 1-line block ×3, first 2 shown]
	v_lshl_add_u64 v[46:47], v[0:1], 3, s[10:11]
	global_load_dwordx2 v[46:47], v[46:47], off
	v_min_f64 v[10:11], v[10:11], s[0:1]
	v_lshl_add_u64 v[48:49], s[8:9], 0, v[48:49]
	v_add_u32_e32 v0, s12, v0
	s_waitcnt vmcnt(3)
	v_mul_f64 v[10:11], v[52:53], v[10:11]
	global_store_dwordx2 v[48:49], v[10:11], off
	s_waitcnt vmcnt(2)
	v_mul_f64 v[10:11], v[30:31], v[34:35]
	s_waitcnt vmcnt(1)
	v_mul_f64 v[10:11], v[10:11], v[46:47]
	v_mul_f64 v[10:11], v[2:3], v[10:11]
	v_div_scale_f64 v[46:47], s[2:3], v[10:11], v[10:11], 1.0
	v_rcp_f64_e32 v[48:49], v[46:47]
	s_nop 0
	v_fma_f64 v[50:51], -v[46:47], v[48:49], 1.0
	v_fmac_f64_e32 v[48:49], v[48:49], v[50:51]
	v_fma_f64 v[50:51], -v[46:47], v[48:49], 1.0
	v_fmac_f64_e32 v[48:49], v[48:49], v[50:51]
	v_div_scale_f64 v[50:51], vcc, 1.0, v[10:11], 1.0
	v_mul_f64 v[52:53], v[50:51], v[48:49]
	v_fma_f64 v[46:47], -v[46:47], v[52:53], v[50:51]
	s_nop 1
	v_div_fmas_f64 v[46:47], v[46:47], v[48:49], v[52:53]
	global_load_dwordx2 v[48:49], v[24:25], off
	v_div_fixup_f64 v[50:51], v[46:47], v[10:11], 1.0
	v_lshlrev_b64 v[46:47], 3, v[0:1]
	v_lshl_add_u64 v[56:57], s[6:7], 0, v[46:47]
	global_load_dwordx2 v[54:55], v[56:57], off
	global_load_dwordx2 v[52:53], v[40:41], off
	;; [unrolled: 1-line block ×3, first 2 shown]
	v_lshl_add_u64 v[46:47], s[8:9], 0, v[46:47]
	v_add_u32_e32 v0, s4, v0
	s_waitcnt vmcnt(3)
	v_mul_f64 v[40:41], v[48:49], v[32:33]
	v_mul_f64 v[12:13], v[40:41], v[50:51]
	v_min_f64 v[12:13], v[12:13], s[0:1]
	s_waitcnt vmcnt(2)
	v_mul_f64 v[12:13], v[54:55], v[12:13]
	global_store_dwordx2 v[46:47], v[12:13], off
	s_waitcnt vmcnt(1)
	v_mul_f64 v[46:47], v[52:53], v[10:11]
	v_div_scale_f64 v[12:13], s[2:3], v[46:47], v[46:47], 1.0
	v_rcp_f64_e32 v[48:49], v[12:13]
	s_nop 0
	v_fma_f64 v[50:51], -v[12:13], v[48:49], 1.0
	v_fmac_f64_e32 v[48:49], v[48:49], v[50:51]
	v_fma_f64 v[50:51], -v[12:13], v[48:49], 1.0
	v_fmac_f64_e32 v[48:49], v[48:49], v[50:51]
	v_div_scale_f64 v[50:51], vcc, 1.0, v[46:47], 1.0
	v_mul_f64 v[52:53], v[50:51], v[48:49]
	v_fma_f64 v[12:13], -v[12:13], v[52:53], v[50:51]
	v_lshlrev_b64 v[50:51], 3, v[0:1]
	s_nop 0
	v_div_fmas_f64 v[48:49], v[12:13], v[48:49], v[52:53]
	v_lshl_add_u64 v[52:53], s[6:7], 0, v[50:51]
	global_load_dwordx2 v[54:55], v[52:53], off
	global_load_dwordx2 v[12:13], v[20:21], off
	v_div_fixup_f64 v[20:21], v[48:49], v[46:47], 1.0
	v_mul_f64 v[20:21], v[40:41], v[20:21]
	v_min_f64 v[20:21], v[20:21], s[0:1]
	v_lshl_add_u64 v[46:47], s[8:9], 0, v[50:51]
	v_add_u32_e32 v0, s4, v0
	s_waitcnt vmcnt(1)
	v_mul_f64 v[20:21], v[54:55], v[20:21]
	global_store_dwordx2 v[46:47], v[20:21], off
	s_waitcnt vmcnt(1)
	v_mul_f64 v[20:21], v[12:13], v[44:45]
	v_div_scale_f64 v[46:47], s[2:3], v[20:21], v[20:21], 1.0
	v_rcp_f64_e32 v[48:49], v[46:47]
	s_nop 0
	v_fma_f64 v[50:51], -v[46:47], v[48:49], 1.0
	v_fmac_f64_e32 v[48:49], v[48:49], v[50:51]
	v_fma_f64 v[50:51], -v[46:47], v[48:49], 1.0
	v_fmac_f64_e32 v[48:49], v[48:49], v[50:51]
	v_div_scale_f64 v[50:51], vcc, 1.0, v[20:21], 1.0
	v_mul_f64 v[52:53], v[50:51], v[48:49]
	v_fma_f64 v[46:47], -v[46:47], v[52:53], v[50:51]
	v_lshlrev_b64 v[50:51], 3, v[0:1]
	s_nop 0
	v_div_fmas_f64 v[48:49], v[46:47], v[48:49], v[52:53]
	v_lshl_add_u64 v[52:53], s[6:7], 0, v[50:51]
	global_load_dwordx2 v[54:55], v[52:53], off
	global_load_dwordx2 v[46:47], v[42:43], off
	v_div_fixup_f64 v[20:21], v[48:49], v[20:21], 1.0
	v_mul_f64 v[20:21], v[40:41], v[20:21]
	v_min_f64 v[20:21], v[20:21], s[0:1]
	v_lshl_add_u64 v[50:51], s[8:9], 0, v[50:51]
	v_add_u32_e32 v0, s4, v0
	s_waitcnt vmcnt(1)
	v_mul_f64 v[20:21], v[54:55], v[20:21]
	s_waitcnt vmcnt(0)
	v_mul_f64 v[40:41], v[46:47], v[44:45]
	v_div_scale_f64 v[42:43], s[2:3], v[40:41], v[40:41], 1.0
	v_rcp_f64_e32 v[48:49], v[42:43]
	global_store_dwordx2 v[50:51], v[20:21], off
	v_fma_f64 v[20:21], -v[42:43], v[48:49], 1.0
	v_fmac_f64_e32 v[48:49], v[48:49], v[20:21]
	v_fma_f64 v[20:21], -v[42:43], v[48:49], 1.0
	v_fmac_f64_e32 v[48:49], v[48:49], v[20:21]
	v_div_scale_f64 v[20:21], vcc, 1.0, v[40:41], 1.0
	v_mul_f64 v[50:51], v[20:21], v[48:49]
	v_fma_f64 v[20:21], -v[42:43], v[50:51], v[20:21]
	v_lshlrev_b64 v[42:43], 3, v[0:1]
	s_nop 0
	v_div_fmas_f64 v[20:21], v[20:21], v[48:49], v[50:51]
	v_lshl_add_u64 v[48:49], s[6:7], 0, v[42:43]
	global_load_dwordx2 v[50:51], v[48:49], off
	global_load_dwordx2 v[52:53], v[16:17], off
	v_mul_f64 v[16:17], v[12:13], v[32:33]
	v_div_fixup_f64 v[20:21], v[20:21], v[40:41], 1.0
	v_mul_f64 v[16:17], v[16:17], v[20:21]
	v_min_f64 v[16:17], v[16:17], s[0:1]
	v_lshl_add_u64 v[42:43], s[8:9], 0, v[42:43]
	v_add_u32_e32 v0, s4, v0
	global_load_dwordx2 v[18:19], v[18:19], off
	s_waitcnt vmcnt(2)
	v_mul_f64 v[48:49], v[50:51], v[16:17]
	s_waitcnt vmcnt(1)
	v_mul_f64 v[20:21], v[52:53], v[44:45]
	v_div_scale_f64 v[16:17], s[2:3], v[20:21], v[20:21], 1.0
	v_rcp_f64_e32 v[40:41], v[16:17]
	global_store_dwordx2 v[42:43], v[48:49], off
	v_lshlrev_b64 v[50:51], 3, v[0:1]
	v_lshl_add_u64 v[52:53], s[6:7], 0, v[50:51]
	v_fma_f64 v[42:43], -v[16:17], v[40:41], 1.0
	v_fmac_f64_e32 v[40:41], v[40:41], v[42:43]
	v_fma_f64 v[42:43], -v[16:17], v[40:41], 1.0
	v_fmac_f64_e32 v[40:41], v[40:41], v[42:43]
	v_div_scale_f64 v[42:43], vcc, 1.0, v[20:21], 1.0
	v_mul_f64 v[48:49], v[42:43], v[40:41]
	v_fma_f64 v[42:43], -v[16:17], v[48:49], v[42:43]
	global_load_dwordx2 v[54:55], v[52:53], off
	global_load_dwordx2 v[16:17], v[22:23], off
	v_add_u32_e32 v0, s4, v0
	v_div_fmas_f64 v[22:23], v[42:43], v[40:41], v[48:49]
	v_lshlrev_b64 v[40:41], 3, v[0:1]
	v_lshl_add_u64 v[42:43], s[6:7], 0, v[40:41]
	global_load_dwordx2 v[48:49], v[42:43], off
	v_div_fixup_f64 v[20:21], v[22:23], v[20:21], 1.0
	s_waitcnt vmcnt(4)
	v_mul_f64 v[22:23], v[18:19], v[32:33]
	v_mul_f64 v[20:21], v[22:23], v[20:21]
	v_min_f64 v[20:21], v[20:21], s[0:1]
	v_lshl_add_u64 v[50:51], s[8:9], 0, v[50:51]
	v_add_u32_e32 v0, s4, v0
	v_lshl_add_u64 v[40:41], s[8:9], 0, v[40:41]
	s_waitcnt vmcnt(2)
	v_mul_f64 v[20:21], v[54:55], v[20:21]
	s_waitcnt vmcnt(1)
	v_mul_f64 v[42:43], v[16:17], v[44:45]
	v_div_scale_f64 v[22:23], s[2:3], v[42:43], v[42:43], 1.0
	v_rcp_f64_e32 v[44:45], v[22:23]
	global_store_dwordx2 v[50:51], v[20:21], off
	v_fma_f64 v[20:21], -v[22:23], v[44:45], 1.0
	v_fmac_f64_e32 v[44:45], v[44:45], v[20:21]
	v_fma_f64 v[20:21], -v[22:23], v[44:45], 1.0
	v_fmac_f64_e32 v[44:45], v[44:45], v[20:21]
	v_div_scale_f64 v[20:21], vcc, 1.0, v[42:43], 1.0
	v_mul_f64 v[50:51], v[20:21], v[44:45]
	v_fma_f64 v[22:23], -v[22:23], v[50:51], v[20:21]
	global_load_dwordx2 v[20:21], v[38:39], off
	s_nop 0
	v_div_fmas_f64 v[52:53], v[22:23], v[44:45], v[50:51]
	global_load_dwordx2 v[38:39], v[28:29], off
	global_load_dwordx2 v[22:23], v[36:37], off
	v_lshlrev_b64 v[44:45], 3, v[0:1]
	v_lshl_add_u64 v[28:29], s[6:7], 0, v[44:45]
	global_load_dwordx2 v[50:51], v[28:29], off
	v_add_u32_e32 v0, s4, v0
	v_lshlrev_b64 v[36:37], 3, v[0:1]
	v_lshl_add_u64 v[54:55], s[6:7], 0, v[36:37]
	v_div_fixup_f64 v[52:53], v[52:53], v[42:43], 1.0
	global_load_dwordx2 v[42:43], v[54:55], off
	global_load_dwordx2 v[28:29], v[14:15], off
	v_mul_f64 v[14:15], v[34:35], v[32:33]
	v_mul_f64 v[14:15], v[14:15], v[52:53]
	global_load_dwordx2 v[24:25], v[24:25], off
	v_mul_f64 v[32:33], v[34:35], v[10:11]
	v_min_f64 v[14:15], v[14:15], s[0:1]
	v_div_scale_f64 v[34:35], s[2:3], v[32:33], v[32:33], 1.0
	s_waitcnt vmcnt(8)
	v_mul_f64 v[14:15], v[48:49], v[14:15]
	v_rcp_f64_e32 v[48:49], v[34:35]
	global_store_dwordx2 v[40:41], v[14:15], off
	v_add_u32_e32 v0, s4, v0
	v_lshl_add_u64 v[36:37], s[8:9], 0, v[36:37]
	v_fma_f64 v[14:15], -v[34:35], v[48:49], 1.0
	v_fmac_f64_e32 v[48:49], v[48:49], v[14:15]
	v_fma_f64 v[14:15], -v[34:35], v[48:49], 1.0
	v_fmac_f64_e32 v[48:49], v[48:49], v[14:15]
	v_div_scale_f64 v[14:15], vcc, 1.0, v[32:33], 1.0
	v_mul_f64 v[40:41], v[14:15], v[48:49]
	v_fma_f64 v[14:15], -v[34:35], v[40:41], v[14:15]
	v_lshlrev_b64 v[34:35], 3, v[0:1]
	s_nop 0
	v_div_fmas_f64 v[14:15], v[14:15], v[48:49], v[40:41]
	v_lshl_add_u64 v[40:41], s[6:7], 0, v[34:35]
	global_load_dwordx2 v[52:53], v[40:41], off
	v_div_fixup_f64 v[14:15], v[14:15], v[32:33], 1.0
	v_add_u32_e32 v0, s4, v0
	v_lshl_add_u64 v[34:35], s[8:9], 0, v[34:35]
	s_waitcnt vmcnt(8)
	v_mul_f64 v[30:31], v[30:31], v[20:21]
	v_mul_f64 v[14:15], v[30:31], v[14:15]
	s_waitcnt vmcnt(6)
	v_mul_f64 v[48:49], v[38:39], v[22:23]
	v_div_scale_f64 v[32:33], s[2:3], v[48:49], v[48:49], 1.0
	v_rcp_f64_e32 v[54:55], v[32:33]
	v_min_f64 v[14:15], v[14:15], s[0:1]
	s_waitcnt vmcnt(5)
	v_mul_f64 v[14:15], v[50:51], v[14:15]
	v_lshl_add_u64 v[38:39], s[8:9], 0, v[44:45]
	global_store_dwordx2 v[38:39], v[14:15], off
	v_fma_f64 v[14:15], -v[32:33], v[54:55], 1.0
	v_fmac_f64_e32 v[54:55], v[54:55], v[14:15]
	v_fma_f64 v[14:15], -v[32:33], v[54:55], 1.0
	v_fmac_f64_e32 v[54:55], v[54:55], v[14:15]
	v_div_scale_f64 v[14:15], vcc, 1.0, v[48:49], 1.0
	v_lshlrev_b64 v[38:39], 3, v[0:1]
	v_mul_f64 v[44:45], v[14:15], v[54:55]
	v_lshl_add_u64 v[50:51], s[6:7], 0, v[38:39]
	v_fma_f64 v[14:15], -v[32:33], v[44:45], v[14:15]
	global_load_dwordx2 v[40:41], v[50:51], off
	global_load_dwordx2 v[32:33], v[26:27], off
	v_div_fmas_f64 v[14:15], v[14:15], v[54:55], v[44:45]
	v_div_fixup_f64 v[14:15], v[14:15], v[48:49], 1.0
	v_add_u32_e32 v0, s4, v0
	v_mul_f64 v[30:31], v[30:31], v[14:15]
	v_lshlrev_b64 v[14:15], 3, v[0:1]
	v_lshl_add_u64 v[26:27], s[6:7], 0, v[14:15]
	global_load_dwordx2 v[26:27], v[26:27], off
	v_min_f64 v[30:31], v[30:31], s[0:1]
	s_waitcnt vmcnt(8)
	v_mul_f64 v[30:31], v[42:43], v[30:31]
	s_waitcnt vmcnt(7)
	v_mul_f64 v[42:43], v[28:29], v[10:11]
	v_div_scale_f64 v[44:45], s[2:3], v[42:43], v[42:43], 1.0
	v_rcp_f64_e32 v[48:49], v[44:45]
	global_store_dwordx2 v[36:37], v[30:31], off
	s_waitcnt vmcnt(7)
	v_mul_f64 v[36:37], v[24:25], v[20:21]
	v_add_u32_e32 v0, s4, v0
	v_fma_f64 v[24:25], -v[44:45], v[48:49], 1.0
	v_fmac_f64_e32 v[48:49], v[48:49], v[24:25]
	v_fma_f64 v[24:25], -v[44:45], v[48:49], 1.0
	v_fmac_f64_e32 v[48:49], v[48:49], v[24:25]
	v_div_scale_f64 v[24:25], vcc, 1.0, v[42:43], 1.0
	v_mul_f64 v[30:31], v[24:25], v[48:49]
	v_fma_f64 v[24:25], -v[44:45], v[30:31], v[24:25]
	global_load_dwordx2 v[8:9], v[8:9], off
	s_nop 0
	v_div_fmas_f64 v[44:45], v[24:25], v[48:49], v[30:31]
	v_div_fixup_f64 v[42:43], v[44:45], v[42:43], 1.0
	v_lshlrev_b64 v[24:25], 3, v[0:1]
	v_mul_f64 v[36:37], v[36:37], v[42:43]
	v_mul_f64 v[42:43], v[46:47], v[22:23]
	v_lshl_add_u64 v[30:31], s[6:7], 0, v[24:25]
	v_div_scale_f64 v[46:47], s[2:3], v[42:43], v[42:43], 1.0
	global_load_dwordx2 v[30:31], v[30:31], off
	v_rcp_f64_e32 v[48:49], v[46:47]
	v_min_f64 v[36:37], v[36:37], s[0:1]
	s_waitcnt vmcnt(7)
	v_mul_f64 v[36:37], v[52:53], v[36:37]
	global_store_dwordx2 v[34:35], v[36:37], off
	v_fma_f64 v[34:35], -v[46:47], v[48:49], 1.0
	v_fmac_f64_e32 v[48:49], v[48:49], v[34:35]
	v_fma_f64 v[34:35], -v[46:47], v[48:49], 1.0
	v_add_u32_e32 v0, s4, v0
	v_fmac_f64_e32 v[48:49], v[48:49], v[34:35]
	v_lshlrev_b64 v[34:35], 3, v[0:1]
	v_lshl_add_u64 v[52:53], s[6:7], 0, v[34:35]
	global_load_dwordx2 v[36:37], v[52:53], off
	global_load_dwordx2 v[44:45], v[6:7], off
	v_div_scale_f64 v[50:51], vcc, 1.0, v[42:43], 1.0
	global_load_dwordx2 v[4:5], v[4:5], off
	v_mul_f64 v[52:53], v[50:51], v[48:49]
	v_fma_f64 v[46:47], -v[46:47], v[52:53], v[50:51]
	s_nop 0
	v_div_fmas_f64 v[46:47], v[46:47], v[48:49], v[52:53]
	v_add_u32_e32 v0, s4, v0
	v_mul_f64 v[6:7], v[12:13], v[20:21]
	v_div_fixup_f64 v[42:43], v[46:47], v[42:43], 1.0
	v_lshlrev_b64 v[0:1], 3, v[0:1]
	v_mul_f64 v[6:7], v[6:7], v[42:43]
	v_lshl_add_u64 v[42:43], s[6:7], 0, v[0:1]
	global_load_dwordx2 v[42:43], v[42:43], off
	v_min_f64 v[6:7], v[6:7], s[0:1]
	v_lshl_add_u64 v[38:39], s[8:9], 0, v[38:39]
	v_mul_f64 v[12:13], v[12:13], v[28:29]
	v_mul_f64 v[12:13], v[12:13], v[10:11]
	;; [unrolled: 1-line block ×3, first 2 shown]
	v_div_scale_f64 v[12:13], s[2:3], v[2:3], v[2:3], 1.0
	v_lshl_add_u64 v[14:15], s[8:9], 0, v[14:15]
	v_lshl_add_u64 v[0:1], s[8:9], 0, v[0:1]
	s_waitcnt vmcnt(10)
	v_mul_f64 v[6:7], v[40:41], v[6:7]
	global_store_dwordx2 v[38:39], v[6:7], off
	v_mul_f64 v[6:7], v[18:19], v[22:23]
	v_div_scale_f64 v[40:41], s[2:3], v[6:7], v[6:7], 1.0
	v_rcp_f64_e32 v[38:39], v[40:41]
	s_waitcnt vmcnt(10)
	v_mul_f64 v[32:33], v[32:33], v[20:21]
	v_fma_f64 v[46:47], -v[40:41], v[38:39], 1.0
	v_fmac_f64_e32 v[38:39], v[38:39], v[46:47]
	v_fma_f64 v[46:47], -v[40:41], v[38:39], 1.0
	v_fmac_f64_e32 v[38:39], v[38:39], v[46:47]
	v_div_scale_f64 v[46:47], vcc, 1.0, v[6:7], 1.0
	v_mul_f64 v[48:49], v[46:47], v[38:39]
	v_fma_f64 v[40:41], -v[40:41], v[48:49], v[46:47]
	s_nop 1
	v_div_fmas_f64 v[38:39], v[40:41], v[38:39], v[48:49]
	v_div_fixup_f64 v[6:7], v[38:39], v[6:7], 1.0
	v_mul_f64 v[6:7], v[32:33], v[6:7]
	v_min_f64 v[6:7], v[6:7], s[0:1]
	s_waitcnt vmcnt(9)
	v_mul_f64 v[6:7], v[26:27], v[6:7]
	v_rcp_f64_e32 v[26:27], v[12:13]
	global_store_dwordx2 v[14:15], v[6:7], off
	v_mul_f64 v[6:7], v[18:19], v[20:21]
	v_fma_f64 v[14:15], -v[12:13], v[26:27], 1.0
	v_fmac_f64_e32 v[26:27], v[26:27], v[14:15]
	v_fma_f64 v[14:15], -v[12:13], v[26:27], 1.0
	v_fmac_f64_e32 v[26:27], v[26:27], v[14:15]
	v_div_scale_f64 v[14:15], vcc, 1.0, v[2:3], 1.0
	v_mul_f64 v[18:19], v[14:15], v[26:27]
	v_fma_f64 v[12:13], -v[12:13], v[18:19], v[14:15]
	s_nop 1
	v_div_fmas_f64 v[12:13], v[12:13], v[26:27], v[18:19]
	v_div_fixup_f64 v[2:3], v[12:13], v[2:3], 1.0
	v_mul_f64 v[2:3], v[6:7], v[2:3]
	v_mul_f64 v[6:7], v[16:17], v[22:23]
	v_div_scale_f64 v[12:13], s[2:3], v[6:7], v[6:7], 1.0
	v_rcp_f64_e32 v[14:15], v[12:13]
	v_min_f64 v[2:3], v[2:3], s[0:1]
	s_waitcnt vmcnt(7)
	v_mul_f64 v[2:3], v[30:31], v[2:3]
	v_lshl_add_u64 v[16:17], s[8:9], 0, v[24:25]
	global_store_dwordx2 v[16:17], v[2:3], off
	v_fma_f64 v[16:17], -v[12:13], v[14:15], 1.0
	v_fmac_f64_e32 v[14:15], v[14:15], v[16:17]
	v_fma_f64 v[16:17], -v[12:13], v[14:15], 1.0
	v_fmac_f64_e32 v[14:15], v[14:15], v[16:17]
	v_div_scale_f64 v[16:17], vcc, 1.0, v[6:7], 1.0
	v_mul_f64 v[18:19], v[16:17], v[14:15]
	v_fma_f64 v[12:13], -v[12:13], v[18:19], v[16:17]
	v_mul_f64 v[2:3], v[8:9], v[20:21]
	s_nop 0
	v_div_fmas_f64 v[12:13], v[12:13], v[14:15], v[18:19]
	v_div_fixup_f64 v[6:7], v[12:13], v[6:7], 1.0
	v_mul_f64 v[2:3], v[2:3], v[6:7]
	s_waitcnt vmcnt(5)
	v_mul_f64 v[6:7], v[8:9], v[44:45]
	v_div_scale_f64 v[8:9], s[2:3], v[6:7], v[6:7], 1.0
	v_rcp_f64_e32 v[12:13], v[8:9]
	v_min_f64 v[2:3], v[2:3], s[0:1]
	v_mul_f64 v[2:3], v[36:37], v[2:3]
	v_lshl_add_u64 v[14:15], s[8:9], 0, v[34:35]
	global_store_dwordx2 v[14:15], v[2:3], off
	s_waitcnt vmcnt(5)
	v_mul_f64 v[2:3], v[4:5], v[10:11]
	v_fma_f64 v[4:5], -v[8:9], v[12:13], 1.0
	v_fmac_f64_e32 v[12:13], v[12:13], v[4:5]
	v_fma_f64 v[4:5], -v[8:9], v[12:13], 1.0
	v_fmac_f64_e32 v[12:13], v[12:13], v[4:5]
	v_div_scale_f64 v[4:5], vcc, 1.0, v[6:7], 1.0
	v_mul_f64 v[10:11], v[4:5], v[12:13]
	v_fma_f64 v[4:5], -v[8:9], v[10:11], v[4:5]
	s_nop 1
	v_div_fmas_f64 v[4:5], v[4:5], v[12:13], v[10:11]
	v_div_fixup_f64 v[4:5], v[4:5], v[6:7], 1.0
	v_mul_f64 v[2:3], v[2:3], v[4:5]
	v_min_f64 v[2:3], v[2:3], s[0:1]
	s_waitcnt vmcnt(4)
	v_mul_f64 v[2:3], v[42:43], v[2:3]
	global_store_dwordx2 v[0:1], v[2:3], off
	s_endpgm
	.section	.rodata,"a",@progbits
	.p2align	6, 0x0
	.amdhsa_kernel _Z12ratt9_kernelIdEvPKT_S2_PS0_S2_S0_
		.amdhsa_group_segment_fixed_size 0
		.amdhsa_private_segment_fixed_size 0
		.amdhsa_kernarg_size 296
		.amdhsa_user_sgpr_count 2
		.amdhsa_user_sgpr_dispatch_ptr 0
		.amdhsa_user_sgpr_queue_ptr 0
		.amdhsa_user_sgpr_kernarg_segment_ptr 1
		.amdhsa_user_sgpr_dispatch_id 0
		.amdhsa_user_sgpr_kernarg_preload_length 0
		.amdhsa_user_sgpr_kernarg_preload_offset 0
		.amdhsa_user_sgpr_private_segment_size 0
		.amdhsa_uses_dynamic_stack 0
		.amdhsa_enable_private_segment 0
		.amdhsa_system_sgpr_workgroup_id_x 1
		.amdhsa_system_sgpr_workgroup_id_y 0
		.amdhsa_system_sgpr_workgroup_id_z 0
		.amdhsa_system_sgpr_workgroup_info 0
		.amdhsa_system_vgpr_workitem_id 0
		.amdhsa_next_free_vgpr 64
		.amdhsa_next_free_sgpr 18
		.amdhsa_accum_offset 64
		.amdhsa_reserve_vcc 1
		.amdhsa_float_round_mode_32 0
		.amdhsa_float_round_mode_16_64 0
		.amdhsa_float_denorm_mode_32 3
		.amdhsa_float_denorm_mode_16_64 3
		.amdhsa_dx10_clamp 1
		.amdhsa_ieee_mode 1
		.amdhsa_fp16_overflow 0
		.amdhsa_tg_split 0
		.amdhsa_exception_fp_ieee_invalid_op 0
		.amdhsa_exception_fp_denorm_src 0
		.amdhsa_exception_fp_ieee_div_zero 0
		.amdhsa_exception_fp_ieee_overflow 0
		.amdhsa_exception_fp_ieee_underflow 0
		.amdhsa_exception_fp_ieee_inexact 0
		.amdhsa_exception_int_div_zero 0
	.end_amdhsa_kernel
	.section	.text._Z12ratt9_kernelIdEvPKT_S2_PS0_S2_S0_,"axG",@progbits,_Z12ratt9_kernelIdEvPKT_S2_PS0_S2_S0_,comdat
.Lfunc_end37:
	.size	_Z12ratt9_kernelIdEvPKT_S2_PS0_S2_S0_, .Lfunc_end37-_Z12ratt9_kernelIdEvPKT_S2_PS0_S2_S0_
                                        ; -- End function
	.set _Z12ratt9_kernelIdEvPKT_S2_PS0_S2_S0_.num_vgpr, 64
	.set _Z12ratt9_kernelIdEvPKT_S2_PS0_S2_S0_.num_agpr, 0
	.set _Z12ratt9_kernelIdEvPKT_S2_PS0_S2_S0_.numbered_sgpr, 18
	.set _Z12ratt9_kernelIdEvPKT_S2_PS0_S2_S0_.num_named_barrier, 0
	.set _Z12ratt9_kernelIdEvPKT_S2_PS0_S2_S0_.private_seg_size, 0
	.set _Z12ratt9_kernelIdEvPKT_S2_PS0_S2_S0_.uses_vcc, 1
	.set _Z12ratt9_kernelIdEvPKT_S2_PS0_S2_S0_.uses_flat_scratch, 0
	.set _Z12ratt9_kernelIdEvPKT_S2_PS0_S2_S0_.has_dyn_sized_stack, 0
	.set _Z12ratt9_kernelIdEvPKT_S2_PS0_S2_S0_.has_recursion, 0
	.set _Z12ratt9_kernelIdEvPKT_S2_PS0_S2_S0_.has_indirect_call, 0
	.section	.AMDGPU.csdata,"",@progbits
; Kernel info:
; codeLenInByte = 6488
; TotalNumSgprs: 24
; NumVgprs: 64
; NumAgprs: 0
; TotalNumVgprs: 64
; ScratchSize: 0
; MemoryBound: 0
; FloatMode: 240
; IeeeMode: 1
; LDSByteSize: 0 bytes/workgroup (compile time only)
; SGPRBlocks: 2
; VGPRBlocks: 7
; NumSGPRsForWavesPerEU: 24
; NumVGPRsForWavesPerEU: 64
; AccumOffset: 64
; Occupancy: 8
; WaveLimiterHint : 0
; COMPUTE_PGM_RSRC2:SCRATCH_EN: 0
; COMPUTE_PGM_RSRC2:USER_SGPR: 2
; COMPUTE_PGM_RSRC2:TRAP_HANDLER: 0
; COMPUTE_PGM_RSRC2:TGID_X_EN: 1
; COMPUTE_PGM_RSRC2:TGID_Y_EN: 0
; COMPUTE_PGM_RSRC2:TGID_Z_EN: 0
; COMPUTE_PGM_RSRC2:TIDIG_COMP_CNT: 0
; COMPUTE_PGM_RSRC3_GFX90A:ACCUM_OFFSET: 15
; COMPUTE_PGM_RSRC3_GFX90A:TG_SPLIT: 0
	.section	.text._Z13ratt10_kernelIdEvPKT_PS0_S0_,"axG",@progbits,_Z13ratt10_kernelIdEvPKT_PS0_S0_,comdat
	.protected	_Z13ratt10_kernelIdEvPKT_PS0_S0_ ; -- Begin function _Z13ratt10_kernelIdEvPKT_PS0_S0_
	.globl	_Z13ratt10_kernelIdEvPKT_PS0_S0_
	.p2align	8
	.type	_Z13ratt10_kernelIdEvPKT_PS0_S0_,@function
_Z13ratt10_kernelIdEvPKT_PS0_S0_:       ; @_Z13ratt10_kernelIdEvPKT_PS0_S0_
; %bb.0:
	s_load_dword s3, s[0:1], 0x24
	s_load_dwordx4 s[4:7], s[0:1], 0x0
	s_load_dwordx2 s[10:11], s[0:1], 0x10
	v_mov_b32_e32 v1, 0
	s_load_dword s34, s[0:1], 0x18
	s_waitcnt lgkmcnt(0)
	s_and_b32 s33, s3, 0xffff
	s_mul_i32 s2, s2, s33
	v_add_u32_e32 v0, s2, v0
	v_lshlrev_b64 v[8:9], 3, v[0:1]
	v_lshl_add_u64 v[2:3], s[4:5], 0, v[8:9]
	global_load_dwordx2 v[2:3], v[2:3], off
	s_mov_b32 s0, 0x55555555
	s_mov_b32 s1, 0x3fe55555
	;; [unrolled: 1-line block ×7, first 2 shown]
	v_mov_b32_e32 v4, 0x6b47b09a
	v_mov_b32_e32 v5, 0x3fc38538
	s_mov_b32 s13, 0x3fc3ab76
	v_mov_b32_e32 v6, 0xd7f4df2e
	v_mov_b32_e32 v7, 0x3fc7474d
	;; [unrolled: 1-line block ×10, first 2 shown]
	s_movk_i32 s18, 0x204
	v_mov_b32_e32 v44, 0x7ff80000
	v_mov_b32_e32 v45, 0xfff00000
	s_mov_b32 s14, 0xcccccccd
	v_mov_b32_e32 v10, 0xb7549584
	v_mov_b32_e32 v11, 0x404523c4
	s_mov_b32 s15, 0xbfeccccc
	s_mov_b32 s16, 0x266ba494
	;; [unrolled: 1-line block ×17, first 2 shown]
	v_lshl_add_u64 v[8:9], s[6:7], 0, v[8:9]
	s_mul_i32 s33, s34, s33
	v_add_u32_e32 v0, s33, v0
	s_mov_b32 s37, 0xc0048f5c
	s_mov_b32 s36, 0x28f5c28f
	s_mov_b32 s35, 0xc0091eb8
	s_mov_b32 s34, 0x51eb851f
	s_mov_b32 s41, 0xc0133333
	s_mov_b32 s40, 0x33333333
	s_mov_b32 s39, 0xbfe47ae1
	s_mov_b32 s38, 0x47ae147b
	s_waitcnt vmcnt(0)
	v_mul_f64 v[20:21], s[10:11], v[2:3]
	v_frexp_mant_f64_e32 v[2:3], v[20:21]
	v_cmp_gt_f64_e64 s[0:1], s[0:1], v[2:3]
	v_div_scale_f64 v[22:23], s[10:11], v[20:21], v[20:21], 1.0
	s_nop 0
	v_cndmask_b32_e64 v29, 0, 1, s[0:1]
	v_frexp_exp_i32_f64_e32 v28, v[20:21]
	v_rcp_f64_e32 v[26:27], v[22:23]
	v_ldexp_f64 v[2:3], v[2:3], v29
	v_subbrev_co_u32_e64 v32, s[0:1], 0, v28, s[0:1]
	v_add_f64 v[30:31], v[2:3], 1.0
	v_cvt_f64_i32_e32 v[32:33], v32
	v_rcp_f64_e32 v[36:37], v[30:31]
	v_add_f64 v[34:35], v[30:31], -1.0
	v_mul_f64 v[38:39], v[32:33], s[2:3]
	v_add_f64 v[28:29], v[2:3], -1.0
	v_add_f64 v[34:35], v[2:3], -v[34:35]
	v_fma_f64 v[2:3], v[32:33], s[2:3], -v[38:39]
	v_fma_f64 v[40:41], -v[22:23], v[26:27], 1.0
	v_fmac_f64_e32 v[2:3], s[4:5], v[32:33]
	v_fmac_f64_e32 v[26:27], v[26:27], v[40:41]
	v_add_f64 v[32:33], v[38:39], v[2:3]
	v_fma_f64 v[40:41], -v[22:23], v[26:27], 1.0
	v_fma_f64 v[42:43], -v[30:31], v[36:37], 1.0
	v_div_scale_f64 v[24:25], vcc, 1.0, v[20:21], 1.0
	v_add_f64 v[38:39], v[32:33], -v[38:39]
	v_fmac_f64_e32 v[26:27], v[26:27], v[40:41]
	v_fmac_f64_e32 v[36:37], v[42:43], v[36:37]
	v_add_f64 v[38:39], v[2:3], -v[38:39]
	v_mul_f64 v[2:3], v[24:25], v[26:27]
	v_fma_f64 v[40:41], -v[30:31], v[36:37], 1.0
	v_fma_f64 v[22:23], -v[22:23], v[2:3], v[24:25]
	v_fmac_f64_e32 v[36:37], v[40:41], v[36:37]
	v_div_fmas_f64 v[2:3], v[22:23], v[26:27], v[2:3]
	v_mul_f64 v[22:23], v[28:29], v[36:37]
	v_mul_f64 v[24:25], v[30:31], v[22:23]
	v_fma_f64 v[26:27], v[22:23], v[30:31], -v[24:25]
	v_fmac_f64_e32 v[26:27], v[22:23], v[34:35]
	v_add_f64 v[30:31], v[24:25], v[26:27]
	v_add_f64 v[34:35], v[28:29], -v[30:31]
	v_add_f64 v[24:25], v[30:31], -v[24:25]
	;; [unrolled: 1-line block ×5, first 2 shown]
	v_add_f64 v[24:25], v[24:25], v[26:27]
	v_add_f64 v[24:25], v[34:35], v[24:25]
	v_mul_f64 v[24:25], v[36:37], v[24:25]
	v_add_f64 v[26:27], v[22:23], v[24:25]
	v_mul_f64 v[28:29], v[26:27], v[26:27]
	v_fmac_f64_e32 v[4:5], s[12:13], v[28:29]
	v_fmac_f64_e32 v[6:7], v[28:29], v[4:5]
	;; [unrolled: 1-line block ×4, first 2 shown]
	v_add_f64 v[22:23], v[26:27], -v[22:23]
	v_fmac_f64_e32 v[16:17], v[28:29], v[14:15]
	v_add_f64 v[22:23], v[24:25], -v[22:23]
	v_mul_f64 v[24:25], v[26:27], v[28:29]
	v_fmac_f64_e32 v[18:19], v[28:29], v[16:17]
	v_ldexp_f64 v[30:31], v[26:27], 1
	v_mul_f64 v[6:7], v[24:25], v[18:19]
	v_add_f64 v[12:13], v[30:31], v[6:7]
	v_add_f64 v[14:15], v[12:13], -v[30:31]
	v_ldexp_f64 v[4:5], v[22:23], 1
	v_add_f64 v[6:7], v[6:7], -v[14:15]
	v_add_f64 v[4:5], v[4:5], v[6:7]
	v_add_f64 v[6:7], v[12:13], v[4:5]
	v_add_f64 v[12:13], v[6:7], -v[12:13]
	v_add_f64 v[14:15], v[32:33], v[6:7]
	v_add_f64 v[4:5], v[4:5], -v[12:13]
	v_add_f64 v[12:13], v[14:15], -v[32:33]
	;; [unrolled: 1-line block ×5, first 2 shown]
	v_add_f64 v[12:13], v[38:39], v[4:5]
	v_add_f64 v[6:7], v[6:7], v[16:17]
	v_add_f64 v[18:19], v[12:13], -v[38:39]
	v_add_f64 v[6:7], v[12:13], v[6:7]
	v_add_f64 v[16:17], v[12:13], -v[18:19]
	;; [unrolled: 2-line block ×3, first 2 shown]
	v_add_f64 v[16:17], v[38:39], -v[16:17]
	v_add_f64 v[14:15], v[12:13], -v[14:15]
	v_add_f64 v[4:5], v[4:5], v[16:17]
	v_add_f64 v[6:7], v[6:7], -v[14:15]
	v_add_f64 v[4:5], v[4:5], v[6:7]
	v_add_f64 v[4:5], v[12:13], v[4:5]
	v_cmp_class_f64_e64 vcc, v[20:21], s18
	v_div_fixup_f64 v[2:3], v[2:3], v[20:21], 1.0
	s_mov_b32 s3, 0xbfe62e42
	v_cndmask_b32_e32 v4, v4, v20, vcc
	v_cndmask_b32_e32 v5, v5, v21, vcc
	v_cmp_ngt_f64_e32 vcc, 0, v[20:21]
	s_mov_b32 s0, 0xfca7ab0c
	s_mov_b32 s5, 0xbc7abc9e
	v_cndmask_b32_e32 v5, v44, v5, vcc
	v_cmp_nge_f64_e32 vcc, 0, v[20:21]
	s_mov_b32 s1, 0x3e928af3
	s_mov_b32 s10, 0x6a5dcb37
	v_cndmask_b32_e32 v4, 0, v4, vcc
	v_cmp_neq_f64_e32 vcc, 0, v[20:21]
	s_mov_b32 s11, 0x3e5ade15
	s_mov_b32 s12, 0x623fde64
	v_cndmask_b32_e32 v5, v45, v5, vcc
	v_fmac_f64_e32 v[10:11], s[14:15], v[4:5]
	v_fmac_f64_e32 v[10:11], s[16:17], v[2:3]
	v_mul_f64 v[6:7], v[10:11], s[8:9]
	v_rndne_f64_e32 v[12:13], v[6:7]
	v_fma_f64 v[14:15], s[2:3], v[12:13], v[10:11]
	v_fmac_f64_e32 v[14:15], s[4:5], v[12:13]
	v_mov_b64_e32 v[6:7], s[0:1]
	v_fma_f64 v[16:17], s[10:11], v[14:15], v[6:7]
	s_mov_b32 s13, 0x3ec71dee
	s_mov_b32 s14, 0x7c89e6b0
	v_fma_f64 v[16:17], v[14:15], v[16:17], s[12:13]
	s_mov_b32 s15, 0x3efa0199
	s_mov_b32 s16, 0x14761f6e
	;; [unrolled: 3-line block ×3, first 2 shown]
	v_fma_f64 v[16:17], v[14:15], v[16:17], s[16:17]
	s_mov_b32 s19, 0x3f56c16c
	v_fma_f64 v[16:17], v[14:15], v[16:17], s[18:19]
	v_fma_f64 v[16:17], v[14:15], v[16:17], s[20:21]
	v_fma_f64 v[16:17], v[14:15], v[16:17], s[22:23]
	v_fma_f64 v[16:17], v[14:15], v[16:17], s[24:25]
	v_fma_f64 v[16:17], v[14:15], v[16:17], s[26:27]
	v_fma_f64 v[16:17], v[14:15], v[16:17], 1.0
	v_fma_f64 v[14:15], v[14:15], v[16:17], 1.0
	v_cvt_i32_f64_e32 v12, v[12:13]
	v_ldexp_f64 v[14:15], v[14:15], v12
	v_mov_b32_e32 v12, 0x7ff00000
	v_cmp_nlt_f64_e32 vcc, s[28:29], v[10:11]
	v_cmp_ngt_f64_e64 s[0:1], s[30:31], v[10:11]
	s_nop 0
	v_cndmask_b32_e32 v13, v12, v15, vcc
	s_and_b64 vcc, s[0:1], vcc
	v_cndmask_b32_e64 v11, 0, v13, s[0:1]
	v_cndmask_b32_e32 v10, 0, v14, vcc
	s_mov_b32 s0, 0xf5c28f5c
	global_store_dwordx2 v[8:9], v[10:11], off
	v_mov_b32_e32 v8, 0x8e49da3f
	v_mov_b32_e32 v9, 0x404fe585
	s_mov_b32 s1, 0xc00b5c28
	v_fmac_f64_e32 v[8:9], s[0:1], v[4:5]
	s_mov_b32 s0, 0x6dc5d639
	s_mov_b32 s1, 0xc0e4b9ca
	v_fmac_f64_e32 v[8:9], s[0:1], v[2:3]
	v_mul_f64 v[10:11], v[8:9], s[8:9]
	v_rndne_f64_e32 v[10:11], v[10:11]
	v_fma_f64 v[14:15], s[2:3], v[10:11], v[8:9]
	v_fmac_f64_e32 v[14:15], s[4:5], v[10:11]
	v_fma_f64 v[16:17], s[10:11], v[14:15], v[6:7]
	v_fma_f64 v[16:17], v[14:15], v[16:17], s[12:13]
	;; [unrolled: 1-line block ×9, first 2 shown]
	v_fma_f64 v[16:17], v[14:15], v[16:17], 1.0
	v_fma_f64 v[14:15], v[14:15], v[16:17], 1.0
	v_cvt_i32_f64_e32 v10, v[10:11]
	v_ldexp_f64 v[10:11], v[14:15], v10
	v_cmp_nlt_f64_e32 vcc, s[28:29], v[8:9]
	v_cmp_ngt_f64_e64 s[0:1], s[30:31], v[8:9]
	s_nop 0
	v_cndmask_b32_e32 v11, v12, v11, vcc
	s_and_b64 vcc, s[0:1], vcc
	v_cndmask_b32_e64 v9, 0, v11, s[0:1]
	v_cndmask_b32_e32 v8, 0, v10, vcc
	v_lshl_add_u64 v[10:11], v[0:1], 3, s[6:7]
	s_mov_b32 s0, 0x1eb851ec
	global_store_dwordx2 v[10:11], v[8:9], off
	v_mov_b32_e32 v8, 0x28d78f9e
	v_mov_b32_e32 v9, 0x40505d90
	s_mov_b32 s1, 0xc00deb85
	v_fmac_f64_e32 v[8:9], s[0:1], v[4:5]
	s_mov_b32 s0, 0xdb445ed5
	s_mov_b32 s1, 0xc08e71d1
	v_fmac_f64_e32 v[8:9], s[0:1], v[2:3]
	v_mul_f64 v[10:11], v[8:9], s[8:9]
	v_rndne_f64_e32 v[10:11], v[10:11]
	v_fma_f64 v[14:15], s[2:3], v[10:11], v[8:9]
	v_fmac_f64_e32 v[14:15], s[4:5], v[10:11]
	v_fma_f64 v[16:17], s[10:11], v[14:15], v[6:7]
	v_fma_f64 v[16:17], v[14:15], v[16:17], s[12:13]
	;; [unrolled: 1-line block ×9, first 2 shown]
	v_fma_f64 v[16:17], v[14:15], v[16:17], 1.0
	v_fma_f64 v[14:15], v[14:15], v[16:17], 1.0
	v_cvt_i32_f64_e32 v10, v[10:11]
	v_ldexp_f64 v[10:11], v[14:15], v10
	v_cmp_nlt_f64_e32 vcc, s[28:29], v[8:9]
	v_cmp_ngt_f64_e64 s[0:1], s[30:31], v[8:9]
	v_add_u32_e32 v0, s33, v0
	v_cndmask_b32_e32 v11, v12, v11, vcc
	s_and_b64 vcc, s[0:1], vcc
	v_cndmask_b32_e64 v9, 0, v11, s[0:1]
	v_cndmask_b32_e32 v8, 0, v10, vcc
	v_lshl_add_u64 v[10:11], v[0:1], 3, s[6:7]
	global_store_dwordx2 v[10:11], v[8:9], off
	v_mov_b32_e32 v8, 0x6d24c689
	v_mov_b32_e32 v9, 0x404bc7f4
	s_mov_b32 s0, 0x85a4f00f
	v_fmac_f64_e32 v[8:9], s[36:37], v[4:5]
	s_mov_b32 s1, 0xc08668ab
	v_fmac_f64_e32 v[8:9], s[0:1], v[2:3]
	v_mul_f64 v[10:11], v[8:9], s[8:9]
	v_rndne_f64_e32 v[10:11], v[10:11]
	v_fma_f64 v[14:15], s[2:3], v[10:11], v[8:9]
	v_fmac_f64_e32 v[14:15], s[4:5], v[10:11]
	v_fma_f64 v[16:17], s[10:11], v[14:15], v[6:7]
	v_fma_f64 v[16:17], v[14:15], v[16:17], s[12:13]
	;; [unrolled: 1-line block ×9, first 2 shown]
	v_fma_f64 v[16:17], v[14:15], v[16:17], 1.0
	v_fma_f64 v[14:15], v[14:15], v[16:17], 1.0
	v_cvt_i32_f64_e32 v10, v[10:11]
	v_ldexp_f64 v[10:11], v[14:15], v10
	v_cmp_nlt_f64_e32 vcc, s[28:29], v[8:9]
	v_cmp_ngt_f64_e64 s[0:1], s[30:31], v[8:9]
	v_add_u32_e32 v0, s33, v0
	v_cndmask_b32_e32 v11, v12, v11, vcc
	s_and_b64 vcc, s[0:1], vcc
	v_cndmask_b32_e64 v9, 0, v11, s[0:1]
	v_cndmask_b32_e32 v8, 0, v10, vcc
	v_lshl_add_u64 v[10:11], v[0:1], 3, s[6:7]
	global_store_dwordx2 v[10:11], v[8:9], off
	v_mov_b32_e32 v8, 0xcc5e120
	v_mov_b32_e32 v9, 0x404faa9e
	s_mov_b32 s0, 0xe9ff0cbb
	v_fmac_f64_e32 v[8:9], s[34:35], v[4:5]
	s_mov_b32 s1, 0xc08357a6
	v_fmac_f64_e32 v[8:9], s[0:1], v[2:3]
	v_mul_f64 v[10:11], v[8:9], s[8:9]
	v_rndne_f64_e32 v[10:11], v[10:11]
	v_fma_f64 v[14:15], s[2:3], v[10:11], v[8:9]
	v_fmac_f64_e32 v[14:15], s[4:5], v[10:11]
	v_fma_f64 v[16:17], s[10:11], v[14:15], v[6:7]
	v_fma_f64 v[16:17], v[14:15], v[16:17], s[12:13]
	;; [unrolled: 1-line block ×9, first 2 shown]
	v_fma_f64 v[16:17], v[14:15], v[16:17], 1.0
	v_fma_f64 v[14:15], v[14:15], v[16:17], 1.0
	v_cvt_i32_f64_e32 v10, v[10:11]
	v_ldexp_f64 v[10:11], v[14:15], v10
	v_cmp_nlt_f64_e32 vcc, s[28:29], v[8:9]
	v_cmp_ngt_f64_e64 s[0:1], s[30:31], v[8:9]
	v_add_u32_e32 v0, s33, v0
	v_cndmask_b32_e32 v11, v12, v11, vcc
	s_and_b64 vcc, s[0:1], vcc
	v_cndmask_b32_e64 v9, 0, v11, s[0:1]
	v_cndmask_b32_e32 v8, 0, v10, vcc
	v_lshl_add_u64 v[10:11], v[0:1], 3, s[6:7]
	s_mov_b32 s0, 0xd70a3d71
	global_store_dwordx2 v[10:11], v[8:9], off
	v_mov_b32_e32 v8, 0xee5181d3
	v_mov_b32_e32 v9, 0x40533e63
	s_mov_b32 s1, 0xc01470a3
	v_fmac_f64_e32 v[8:9], s[0:1], v[4:5]
	s_mov_b32 s0, 0xff43419e
	s_mov_b32 s1, 0xc0abe4a4
	v_fmac_f64_e32 v[8:9], s[0:1], v[2:3]
	v_mul_f64 v[10:11], v[8:9], s[8:9]
	v_rndne_f64_e32 v[10:11], v[10:11]
	v_fma_f64 v[14:15], s[2:3], v[10:11], v[8:9]
	v_fmac_f64_e32 v[14:15], s[4:5], v[10:11]
	v_fma_f64 v[16:17], s[10:11], v[14:15], v[6:7]
	v_fma_f64 v[16:17], v[14:15], v[16:17], s[12:13]
	;; [unrolled: 1-line block ×9, first 2 shown]
	v_fma_f64 v[16:17], v[14:15], v[16:17], 1.0
	v_fma_f64 v[14:15], v[14:15], v[16:17], 1.0
	v_cvt_i32_f64_e32 v10, v[10:11]
	v_ldexp_f64 v[10:11], v[14:15], v10
	v_cmp_nlt_f64_e32 vcc, s[28:29], v[8:9]
	v_cmp_ngt_f64_e64 s[0:1], s[30:31], v[8:9]
	v_add_u32_e32 v0, s33, v0
	v_cndmask_b32_e32 v11, v12, v11, vcc
	s_and_b64 vcc, s[0:1], vcc
	v_cndmask_b32_e64 v9, 0, v11, s[0:1]
	v_cndmask_b32_e32 v8, 0, v10, vcc
	v_lshl_add_u64 v[10:11], v[0:1], 3, s[6:7]
	global_store_dwordx2 v[10:11], v[8:9], off
	v_mov_b32_e32 v8, 0xb60bc028
	v_mov_b32_e32 v9, 0x4051776c
	s_mov_b32 s0, 0xf3775b81
	v_fmac_f64_e32 v[8:9], s[40:41], v[4:5]
	s_mov_b32 s1, 0xc0a5dbc4
	v_fmac_f64_e32 v[8:9], s[0:1], v[2:3]
	v_mul_f64 v[10:11], v[8:9], s[8:9]
	v_rndne_f64_e32 v[10:11], v[10:11]
	v_fma_f64 v[14:15], s[2:3], v[10:11], v[8:9]
	v_fmac_f64_e32 v[14:15], s[4:5], v[10:11]
	v_fma_f64 v[16:17], s[10:11], v[14:15], v[6:7]
	v_fma_f64 v[16:17], v[14:15], v[16:17], s[12:13]
	v_fma_f64 v[16:17], v[14:15], v[16:17], s[14:15]
	v_fma_f64 v[16:17], v[14:15], v[16:17], s[16:17]
	v_fma_f64 v[16:17], v[14:15], v[16:17], s[18:19]
	v_fma_f64 v[16:17], v[14:15], v[16:17], s[20:21]
	v_fma_f64 v[16:17], v[14:15], v[16:17], s[22:23]
	v_fma_f64 v[16:17], v[14:15], v[16:17], s[24:25]
	v_fma_f64 v[16:17], v[14:15], v[16:17], s[26:27]
	v_fma_f64 v[16:17], v[14:15], v[16:17], 1.0
	v_fma_f64 v[14:15], v[14:15], v[16:17], 1.0
	v_cvt_i32_f64_e32 v10, v[10:11]
	v_ldexp_f64 v[10:11], v[14:15], v10
	v_cmp_nlt_f64_e32 vcc, s[28:29], v[8:9]
	v_cmp_ngt_f64_e64 s[0:1], s[30:31], v[8:9]
	v_add_u32_e32 v0, s33, v0
	v_cndmask_b32_e32 v11, v12, v11, vcc
	s_and_b64 vcc, s[0:1], vcc
	v_cndmask_b32_e64 v9, 0, v11, s[0:1]
	v_cndmask_b32_e32 v8, 0, v10, vcc
	v_lshl_add_u64 v[10:11], v[0:1], 3, s[6:7]
	s_mov_b32 s0, 0x70a3d70a
	global_store_dwordx2 v[10:11], v[8:9], off
	v_mov_b32_e32 v8, 0x5d2dd880
	v_mov_b32_e32 v9, 0x4053391c
	s_mov_b32 s1, 0xc0130a3d
	v_fmac_f64_e32 v[8:9], s[0:1], v[4:5]
	s_mov_b32 s0, 0x9bf9c63
	s_mov_b32 s1, 0xc0932f65
	v_fmac_f64_e32 v[8:9], s[0:1], v[2:3]
	v_mul_f64 v[10:11], v[8:9], s[8:9]
	v_rndne_f64_e32 v[10:11], v[10:11]
	v_fma_f64 v[14:15], s[2:3], v[10:11], v[8:9]
	v_fmac_f64_e32 v[14:15], s[4:5], v[10:11]
	v_fma_f64 v[16:17], s[10:11], v[14:15], v[6:7]
	v_fma_f64 v[16:17], v[14:15], v[16:17], s[12:13]
	v_fma_f64 v[16:17], v[14:15], v[16:17], s[14:15]
	v_fma_f64 v[16:17], v[14:15], v[16:17], s[16:17]
	v_fma_f64 v[16:17], v[14:15], v[16:17], s[18:19]
	v_fma_f64 v[16:17], v[14:15], v[16:17], s[20:21]
	v_fma_f64 v[16:17], v[14:15], v[16:17], s[22:23]
	v_fma_f64 v[16:17], v[14:15], v[16:17], s[24:25]
	v_fma_f64 v[16:17], v[14:15], v[16:17], s[26:27]
	v_fma_f64 v[16:17], v[14:15], v[16:17], 1.0
	v_fma_f64 v[14:15], v[14:15], v[16:17], 1.0
	v_cvt_i32_f64_e32 v10, v[10:11]
	v_ldexp_f64 v[10:11], v[14:15], v10
	v_cmp_nlt_f64_e32 vcc, s[28:29], v[8:9]
	v_cmp_ngt_f64_e64 s[0:1], s[30:31], v[8:9]
	v_add_u32_e32 v0, s33, v0
	v_cndmask_b32_e32 v11, v12, v11, vcc
	s_and_b64 vcc, s[0:1], vcc
	v_cndmask_b32_e64 v9, 0, v11, s[0:1]
	v_cndmask_b32_e32 v8, 0, v10, vcc
	v_lshl_add_u64 v[10:11], v[0:1], 3, s[6:7]
	s_mov_b32 s0, 0x56041893
	global_store_dwordx2 v[10:11], v[8:9], off
	v_mov_b32_e32 v8, 0xb0292817
	v_mov_b32_e32 v9, 0x405bd400
	s_mov_b32 s1, 0xc0232d0e
	v_fmac_f64_e32 v[8:9], s[0:1], v[4:5]
	s_mov_b32 s0, 0x5c28f5c3
	;; [unrolled: 34-line block ×3, first 2 shown]
	s_mov_b32 s1, 0xc0a87403
	v_fmac_f64_e32 v[8:9], s[0:1], v[2:3]
	v_mul_f64 v[10:11], v[8:9], s[8:9]
	v_rndne_f64_e32 v[10:11], v[10:11]
	v_fma_f64 v[14:15], s[2:3], v[10:11], v[8:9]
	v_fmac_f64_e32 v[14:15], s[4:5], v[10:11]
	v_fma_f64 v[16:17], s[10:11], v[14:15], v[6:7]
	v_fma_f64 v[16:17], v[14:15], v[16:17], s[12:13]
	;; [unrolled: 1-line block ×9, first 2 shown]
	v_fma_f64 v[16:17], v[14:15], v[16:17], 1.0
	v_fma_f64 v[14:15], v[14:15], v[16:17], 1.0
	v_cvt_i32_f64_e32 v10, v[10:11]
	v_ldexp_f64 v[10:11], v[14:15], v10
	v_cmp_nlt_f64_e32 vcc, s[28:29], v[8:9]
	v_cmp_ngt_f64_e64 s[0:1], s[30:31], v[8:9]
	v_add_u32_e32 v0, s33, v0
	v_cndmask_b32_e32 v11, v12, v11, vcc
	s_and_b64 vcc, s[0:1], vcc
	v_cndmask_b32_e64 v9, 0, v11, s[0:1]
	v_cndmask_b32_e32 v8, 0, v10, vcc
	v_lshl_add_u64 v[10:11], v[0:1], 3, s[6:7]
	global_store_dwordx2 v[10:11], v[8:9], off
	v_mov_b32_e32 v8, 0xa2fc18eb
	v_mov_b32_e32 v9, 0x4041b7a9
	s_mov_b32 s0, 0x93dd97f6
	v_fmac_f64_e32 v[8:9], s[38:39], v[4:5]
	s_mov_b32 s1, 0xc0d86c77
	v_fmac_f64_e32 v[8:9], s[0:1], v[2:3]
	v_mul_f64 v[10:11], v[8:9], s[8:9]
	v_rndne_f64_e32 v[10:11], v[10:11]
	v_fma_f64 v[14:15], s[2:3], v[10:11], v[8:9]
	v_fmac_f64_e32 v[14:15], s[4:5], v[10:11]
	v_fma_f64 v[16:17], s[10:11], v[14:15], v[6:7]
	v_fma_f64 v[16:17], v[14:15], v[16:17], s[12:13]
	v_fma_f64 v[16:17], v[14:15], v[16:17], s[14:15]
	v_fma_f64 v[16:17], v[14:15], v[16:17], s[16:17]
	v_fma_f64 v[16:17], v[14:15], v[16:17], s[18:19]
	v_fma_f64 v[16:17], v[14:15], v[16:17], s[20:21]
	v_fma_f64 v[16:17], v[14:15], v[16:17], s[22:23]
	v_fma_f64 v[16:17], v[14:15], v[16:17], s[24:25]
	v_fma_f64 v[16:17], v[14:15], v[16:17], s[26:27]
	v_fma_f64 v[16:17], v[14:15], v[16:17], 1.0
	v_fma_f64 v[14:15], v[14:15], v[16:17], 1.0
	v_cvt_i32_f64_e32 v10, v[10:11]
	v_ldexp_f64 v[10:11], v[14:15], v10
	v_cmp_nlt_f64_e32 vcc, s[28:29], v[8:9]
	v_cmp_ngt_f64_e64 s[0:1], s[30:31], v[8:9]
	v_add_u32_e32 v0, s33, v0
	v_cndmask_b32_e32 v11, v12, v11, vcc
	s_and_b64 vcc, s[0:1], vcc
	v_cndmask_b32_e64 v9, 0, v11, s[0:1]
	v_cndmask_b32_e32 v8, 0, v10, vcc
	v_lshl_add_u64 v[10:11], v[0:1], 3, s[6:7]
	global_store_dwordx2 v[10:11], v[8:9], off
	v_mov_b32_e32 v8, 0x54690de
	v_mov_b32_e32 v9, 0x404f8e4e
	s_mov_b32 s41, 0xc00b3333
	s_mov_b32 s0, 0xce703afb
	v_fmac_f64_e32 v[8:9], s[40:41], v[4:5]
	s_mov_b32 s1, 0xc0d197a0
	v_fmac_f64_e32 v[8:9], s[0:1], v[2:3]
	v_mul_f64 v[10:11], v[8:9], s[8:9]
	v_rndne_f64_e32 v[10:11], v[10:11]
	v_fma_f64 v[14:15], s[2:3], v[10:11], v[8:9]
	v_fmac_f64_e32 v[14:15], s[4:5], v[10:11]
	v_fma_f64 v[16:17], s[10:11], v[14:15], v[6:7]
	v_fma_f64 v[16:17], v[14:15], v[16:17], s[12:13]
	v_fma_f64 v[16:17], v[14:15], v[16:17], s[14:15]
	v_fma_f64 v[16:17], v[14:15], v[16:17], s[16:17]
	v_fma_f64 v[16:17], v[14:15], v[16:17], s[18:19]
	v_fma_f64 v[16:17], v[14:15], v[16:17], s[20:21]
	v_fma_f64 v[16:17], v[14:15], v[16:17], s[22:23]
	v_fma_f64 v[16:17], v[14:15], v[16:17], s[24:25]
	v_fma_f64 v[16:17], v[14:15], v[16:17], s[26:27]
	v_fma_f64 v[16:17], v[14:15], v[16:17], 1.0
	v_fma_f64 v[14:15], v[14:15], v[16:17], 1.0
	v_cvt_i32_f64_e32 v10, v[10:11]
	v_ldexp_f64 v[10:11], v[14:15], v10
	v_cmp_nlt_f64_e32 vcc, s[28:29], v[8:9]
	v_cmp_ngt_f64_e64 s[0:1], s[30:31], v[8:9]
	v_add_u32_e32 v0, s33, v0
	v_cndmask_b32_e32 v11, v12, v11, vcc
	s_and_b64 vcc, s[0:1], vcc
	v_cndmask_b32_e64 v9, 0, v11, s[0:1]
	v_cndmask_b32_e32 v8, 0, v10, vcc
	v_lshl_add_u64 v[10:11], v[0:1], 3, s[6:7]
	global_store_dwordx2 v[10:11], v[8:9], off
	v_mov_b32_e32 v8, 0x60e6caa5
	v_mov_b32_e32 v9, 0x4057ef6c
	s_mov_b32 s37, 0xc01e8f5c
	;; [unrolled: 33-line block ×3, first 2 shown]
	s_mov_b32 s36, 0xae147ae1
	s_mov_b32 s0, 0xa4e7ab75
	v_fmac_f64_e32 v[8:9], s[36:37], v[4:5]
	s_mov_b32 s1, 0xc09a1ab7
	v_fmac_f64_e32 v[8:9], s[0:1], v[2:3]
	v_mul_f64 v[10:11], v[8:9], s[8:9]
	v_rndne_f64_e32 v[10:11], v[10:11]
	v_fma_f64 v[14:15], s[2:3], v[10:11], v[8:9]
	v_fmac_f64_e32 v[14:15], s[4:5], v[10:11]
	v_fma_f64 v[16:17], s[10:11], v[14:15], v[6:7]
	v_fma_f64 v[16:17], v[14:15], v[16:17], s[12:13]
	;; [unrolled: 1-line block ×9, first 2 shown]
	v_fma_f64 v[16:17], v[14:15], v[16:17], 1.0
	v_fma_f64 v[14:15], v[14:15], v[16:17], 1.0
	v_cvt_i32_f64_e32 v10, v[10:11]
	v_ldexp_f64 v[10:11], v[14:15], v10
	v_cmp_nlt_f64_e32 vcc, s[28:29], v[8:9]
	v_cmp_ngt_f64_e64 s[0:1], s[30:31], v[8:9]
	v_add_u32_e32 v0, s33, v0
	v_cndmask_b32_e32 v11, v12, v11, vcc
	s_and_b64 vcc, s[0:1], vcc
	v_cndmask_b32_e64 v9, 0, v11, s[0:1]
	v_cndmask_b32_e32 v8, 0, v10, vcc
	v_lshl_add_u64 v[10:11], v[0:1], 3, s[6:7]
	global_store_dwordx2 v[10:11], v[8:9], off
	v_mov_b32_e32 v8, 0xb07d0aee
	v_mov_b32_e32 v9, 0x4060e00c
	s_mov_b32 s37, 0xc027e147
	s_mov_b32 s0, 0x81d7dbf5
	v_fmac_f64_e32 v[8:9], s[36:37], v[4:5]
	s_mov_b32 s1, 0xc0b33453
	v_fmac_f64_e32 v[8:9], s[0:1], v[2:3]
	v_mul_f64 v[10:11], v[8:9], s[8:9]
	v_rndne_f64_e32 v[10:11], v[10:11]
	v_fma_f64 v[14:15], s[2:3], v[10:11], v[8:9]
	v_fmac_f64_e32 v[14:15], s[4:5], v[10:11]
	v_fma_f64 v[16:17], s[10:11], v[14:15], v[6:7]
	v_fma_f64 v[16:17], v[14:15], v[16:17], s[12:13]
	;; [unrolled: 1-line block ×9, first 2 shown]
	v_fma_f64 v[16:17], v[14:15], v[16:17], 1.0
	v_fma_f64 v[14:15], v[14:15], v[16:17], 1.0
	v_cvt_i32_f64_e32 v10, v[10:11]
	v_ldexp_f64 v[10:11], v[14:15], v10
	v_cmp_nlt_f64_e32 vcc, s[28:29], v[8:9]
	v_cmp_ngt_f64_e64 s[0:1], s[30:31], v[8:9]
	v_add_u32_e32 v0, s33, v0
	v_cndmask_b32_e32 v11, v12, v11, vcc
	s_and_b64 vcc, s[0:1], vcc
	v_cndmask_b32_e64 v9, 0, v11, s[0:1]
	v_cndmask_b32_e32 v8, 0, v10, vcc
	v_lshl_add_u64 v[10:11], v[0:1], 3, s[6:7]
	s_mov_b32 s0, 0xc49ba5e3
	global_store_dwordx2 v[10:11], v[8:9], off
	v_mov_b32_e32 v8, 0x3c6ff2d7
	v_mov_b32_e32 v9, 0x4056dcc4
	s_mov_b32 s1, 0xc01d3020
	v_fmac_f64_e32 v[8:9], s[0:1], v[4:5]
	s_mov_b32 s0, 0x970f7b9e
	s_mov_b32 s1, 0xc0a27a3c
	v_fmac_f64_e32 v[8:9], s[0:1], v[2:3]
	v_mul_f64 v[10:11], v[8:9], s[8:9]
	v_rndne_f64_e32 v[10:11], v[10:11]
	v_fma_f64 v[14:15], s[2:3], v[10:11], v[8:9]
	v_fmac_f64_e32 v[14:15], s[4:5], v[10:11]
	v_fma_f64 v[16:17], s[10:11], v[14:15], v[6:7]
	v_fma_f64 v[16:17], v[14:15], v[16:17], s[12:13]
	;; [unrolled: 1-line block ×9, first 2 shown]
	v_fma_f64 v[16:17], v[14:15], v[16:17], 1.0
	v_fma_f64 v[14:15], v[14:15], v[16:17], 1.0
	v_cvt_i32_f64_e32 v10, v[10:11]
	v_ldexp_f64 v[10:11], v[14:15], v10
	v_cmp_nlt_f64_e32 vcc, s[28:29], v[8:9]
	v_cmp_ngt_f64_e64 s[0:1], s[30:31], v[8:9]
	v_add_u32_e32 v0, s33, v0
	v_cndmask_b32_e32 v11, v12, v11, vcc
	s_and_b64 vcc, s[0:1], vcc
	v_cndmask_b32_e64 v9, 0, v11, s[0:1]
	v_cndmask_b32_e32 v8, 0, v10, vcc
	v_lshl_add_u64 v[10:11], v[0:1], 3, s[6:7]
	global_store_dwordx2 v[10:11], v[8:9], off
	v_mov_b32_e32 v8, 0x80dc3372
	v_mov_b32_e32 v9, 0x405d44cf
	s_mov_b32 s35, 0xc0229eb8
	s_mov_b32 s0, 0xecbfb15b
	v_fmac_f64_e32 v[8:9], s[34:35], v[4:5]
	s_mov_b32 s1, 0xc0e88966
	v_fmac_f64_e32 v[8:9], s[0:1], v[2:3]
	v_mul_f64 v[10:11], v[8:9], s[8:9]
	v_rndne_f64_e32 v[10:11], v[10:11]
	v_fma_f64 v[14:15], s[2:3], v[10:11], v[8:9]
	v_fmac_f64_e32 v[14:15], s[4:5], v[10:11]
	v_fma_f64 v[16:17], s[10:11], v[14:15], v[6:7]
	v_fma_f64 v[16:17], v[14:15], v[16:17], s[12:13]
	v_fma_f64 v[16:17], v[14:15], v[16:17], s[14:15]
	v_fma_f64 v[16:17], v[14:15], v[16:17], s[16:17]
	v_fma_f64 v[16:17], v[14:15], v[16:17], s[18:19]
	v_fma_f64 v[16:17], v[14:15], v[16:17], s[20:21]
	v_fma_f64 v[16:17], v[14:15], v[16:17], s[22:23]
	v_fma_f64 v[16:17], v[14:15], v[16:17], s[24:25]
	v_fma_f64 v[16:17], v[14:15], v[16:17], s[26:27]
	v_fma_f64 v[16:17], v[14:15], v[16:17], 1.0
	v_fma_f64 v[14:15], v[14:15], v[16:17], 1.0
	v_cvt_i32_f64_e32 v10, v[10:11]
	v_ldexp_f64 v[10:11], v[14:15], v10
	v_cmp_nlt_f64_e32 vcc, s[28:29], v[8:9]
	v_cmp_ngt_f64_e64 s[0:1], s[30:31], v[8:9]
	v_add_u32_e32 v0, s33, v0
	v_cndmask_b32_e32 v11, v12, v11, vcc
	s_and_b64 vcc, s[0:1], vcc
	v_cndmask_b32_e64 v9, 0, v11, s[0:1]
	v_cndmask_b32_e32 v8, 0, v10, vcc
	v_lshl_add_u64 v[10:11], v[0:1], 3, s[6:7]
	global_store_dwordx2 v[10:11], v[8:9], off
	v_mov_b32_e32 v8, 0x6e8f29d4
	v_mov_b32_e32 v9, 0x40583904
	s_mov_b32 s39, 0xc01e7ae1
	s_mov_b32 s0, 0x2085b185
	v_fmac_f64_e32 v[8:9], s[38:39], v[4:5]
	s_mov_b32 s1, 0xc0ab66d7
	v_fmac_f64_e32 v[8:9], s[0:1], v[2:3]
	v_mul_f64 v[10:11], v[8:9], s[8:9]
	v_rndne_f64_e32 v[10:11], v[10:11]
	v_fma_f64 v[14:15], s[2:3], v[10:11], v[8:9]
	v_fmac_f64_e32 v[14:15], s[4:5], v[10:11]
	v_fma_f64 v[16:17], s[10:11], v[14:15], v[6:7]
	v_fma_f64 v[16:17], v[14:15], v[16:17], s[12:13]
	;; [unrolled: 1-line block ×9, first 2 shown]
	v_fma_f64 v[16:17], v[14:15], v[16:17], 1.0
	v_fma_f64 v[14:15], v[14:15], v[16:17], 1.0
	v_cvt_i32_f64_e32 v10, v[10:11]
	v_ldexp_f64 v[10:11], v[14:15], v10
	v_cmp_nlt_f64_e32 vcc, s[28:29], v[8:9]
	v_cmp_ngt_f64_e64 s[0:1], s[30:31], v[8:9]
	v_add_u32_e32 v0, s33, v0
	v_cndmask_b32_e32 v11, v12, v11, vcc
	s_and_b64 vcc, s[0:1], vcc
	v_cndmask_b32_e64 v9, 0, v11, s[0:1]
	v_cndmask_b32_e32 v8, 0, v10, vcc
	v_lshl_add_u64 v[10:11], v[0:1], 3, s[6:7]
	s_mov_b32 s0, 0x851eb852
	global_store_dwordx2 v[10:11], v[8:9], off
	v_mov_b32_e32 v8, 0x1e92923e
	v_mov_b32_e32 v9, 0x4057c606
	s_mov_b32 s1, 0xc01c51eb
	v_fmac_f64_e32 v[8:9], s[0:1], v[4:5]
	s_mov_b32 s0, 0xc044284e
	s_mov_b32 s1, 0xc0aa4801
	v_fmac_f64_e32 v[8:9], s[0:1], v[2:3]
	v_mul_f64 v[10:11], v[8:9], s[8:9]
	v_rndne_f64_e32 v[10:11], v[10:11]
	v_fma_f64 v[14:15], s[2:3], v[10:11], v[8:9]
	v_fmac_f64_e32 v[14:15], s[4:5], v[10:11]
	v_fma_f64 v[16:17], s[10:11], v[14:15], v[6:7]
	v_fma_f64 v[16:17], v[14:15], v[16:17], s[12:13]
	;; [unrolled: 1-line block ×9, first 2 shown]
	v_fma_f64 v[16:17], v[14:15], v[16:17], 1.0
	v_fma_f64 v[14:15], v[14:15], v[16:17], 1.0
	v_cvt_i32_f64_e32 v10, v[10:11]
	v_ldexp_f64 v[10:11], v[14:15], v10
	v_cmp_nlt_f64_e32 vcc, s[28:29], v[8:9]
	v_cmp_ngt_f64_e64 s[0:1], s[30:31], v[8:9]
	v_add_u32_e32 v0, s33, v0
	v_cndmask_b32_e32 v11, v12, v11, vcc
	s_and_b64 vcc, s[0:1], vcc
	v_cndmask_b32_e64 v9, 0, v11, s[0:1]
	v_cndmask_b32_e32 v8, 0, v10, vcc
	v_lshl_add_u64 v[10:11], v[0:1], 3, s[6:7]
	global_store_dwordx2 v[10:11], v[8:9], off
	v_mov_b32_e32 v8, 0xd0917d6b
	v_mov_b32_e32 v9, 0x40614e16
	s_mov_b32 s0, 0x5f45e0b5
	v_fmac_f64_e32 v[8:9], 0xc0280000, v[4:5]
	s_mov_b32 s1, 0xc0a77631
	v_fmac_f64_e32 v[8:9], s[0:1], v[2:3]
	v_mul_f64 v[10:11], v[8:9], s[8:9]
	v_rndne_f64_e32 v[10:11], v[10:11]
	v_fma_f64 v[14:15], s[2:3], v[10:11], v[8:9]
	v_fmac_f64_e32 v[14:15], s[4:5], v[10:11]
	v_fma_f64 v[16:17], s[10:11], v[14:15], v[6:7]
	v_fma_f64 v[16:17], v[14:15], v[16:17], s[12:13]
	;; [unrolled: 1-line block ×9, first 2 shown]
	v_fma_f64 v[16:17], v[14:15], v[16:17], 1.0
	v_fma_f64 v[14:15], v[14:15], v[16:17], 1.0
	v_cvt_i32_f64_e32 v10, v[10:11]
	v_ldexp_f64 v[10:11], v[14:15], v10
	v_cmp_nlt_f64_e32 vcc, s[28:29], v[8:9]
	v_cmp_ngt_f64_e64 s[0:1], s[30:31], v[8:9]
	v_add_u32_e32 v0, s33, v0
	v_cndmask_b32_e32 v11, v12, v11, vcc
	s_and_b64 vcc, s[0:1], vcc
	v_cndmask_b32_e64 v9, 0, v11, s[0:1]
	v_cndmask_b32_e32 v8, 0, v10, vcc
	v_lshl_add_u64 v[10:11], v[0:1], 3, s[6:7]
	s_mov_b32 s0, 0xa3d70a4
	global_store_dwordx2 v[10:11], v[8:9], off
	v_mov_b32_e32 v8, 0x441c8f83
	v_mov_b32_e32 v9, 0x40565546
	s_mov_b32 s1, 0xc01aa3d7
	v_fmac_f64_e32 v[8:9], s[0:1], v[4:5]
	s_mov_b32 s0, 0x88f861a6
	s_mov_b32 s1, 0xc0ab8508
	v_fmac_f64_e32 v[8:9], s[0:1], v[2:3]
	v_mul_f64 v[2:3], v[8:9], s[8:9]
	v_rndne_f64_e32 v[2:3], v[2:3]
	v_fma_f64 v[4:5], s[2:3], v[2:3], v[8:9]
	v_fmac_f64_e32 v[4:5], s[4:5], v[2:3]
	v_fmac_f64_e32 v[6:7], s[10:11], v[4:5]
	v_fma_f64 v[6:7], v[4:5], v[6:7], s[12:13]
	v_fma_f64 v[6:7], v[4:5], v[6:7], s[14:15]
	;; [unrolled: 1-line block ×8, first 2 shown]
	v_fma_f64 v[6:7], v[4:5], v[6:7], 1.0
	v_fma_f64 v[4:5], v[4:5], v[6:7], 1.0
	v_cvt_i32_f64_e32 v2, v[2:3]
	v_ldexp_f64 v[2:3], v[4:5], v2
	v_cmp_nlt_f64_e32 vcc, s[28:29], v[8:9]
	v_cmp_ngt_f64_e64 s[0:1], s[30:31], v[8:9]
	v_add_u32_e32 v0, s33, v0
	v_cndmask_b32_e32 v3, v12, v3, vcc
	s_and_b64 vcc, s[0:1], vcc
	v_cndmask_b32_e64 v3, 0, v3, s[0:1]
	v_cndmask_b32_e32 v2, 0, v2, vcc
	v_lshl_add_u64 v[0:1], v[0:1], 3, s[6:7]
	global_store_dwordx2 v[0:1], v[2:3], off
	s_endpgm
	.section	.rodata,"a",@progbits
	.p2align	6, 0x0
	.amdhsa_kernel _Z13ratt10_kernelIdEvPKT_PS0_S0_
		.amdhsa_group_segment_fixed_size 0
		.amdhsa_private_segment_fixed_size 0
		.amdhsa_kernarg_size 280
		.amdhsa_user_sgpr_count 2
		.amdhsa_user_sgpr_dispatch_ptr 0
		.amdhsa_user_sgpr_queue_ptr 0
		.amdhsa_user_sgpr_kernarg_segment_ptr 1
		.amdhsa_user_sgpr_dispatch_id 0
		.amdhsa_user_sgpr_kernarg_preload_length 0
		.amdhsa_user_sgpr_kernarg_preload_offset 0
		.amdhsa_user_sgpr_private_segment_size 0
		.amdhsa_uses_dynamic_stack 0
		.amdhsa_enable_private_segment 0
		.amdhsa_system_sgpr_workgroup_id_x 1
		.amdhsa_system_sgpr_workgroup_id_y 0
		.amdhsa_system_sgpr_workgroup_id_z 0
		.amdhsa_system_sgpr_workgroup_info 0
		.amdhsa_system_vgpr_workitem_id 0
		.amdhsa_next_free_vgpr 46
		.amdhsa_next_free_sgpr 42
		.amdhsa_accum_offset 48
		.amdhsa_reserve_vcc 1
		.amdhsa_float_round_mode_32 0
		.amdhsa_float_round_mode_16_64 0
		.amdhsa_float_denorm_mode_32 3
		.amdhsa_float_denorm_mode_16_64 3
		.amdhsa_dx10_clamp 1
		.amdhsa_ieee_mode 1
		.amdhsa_fp16_overflow 0
		.amdhsa_tg_split 0
		.amdhsa_exception_fp_ieee_invalid_op 0
		.amdhsa_exception_fp_denorm_src 0
		.amdhsa_exception_fp_ieee_div_zero 0
		.amdhsa_exception_fp_ieee_overflow 0
		.amdhsa_exception_fp_ieee_underflow 0
		.amdhsa_exception_fp_ieee_inexact 0
		.amdhsa_exception_int_div_zero 0
	.end_amdhsa_kernel
	.section	.text._Z13ratt10_kernelIdEvPKT_PS0_S0_,"axG",@progbits,_Z13ratt10_kernelIdEvPKT_PS0_S0_,comdat
.Lfunc_end38:
	.size	_Z13ratt10_kernelIdEvPKT_PS0_S0_, .Lfunc_end38-_Z13ratt10_kernelIdEvPKT_PS0_S0_
                                        ; -- End function
	.set _Z13ratt10_kernelIdEvPKT_PS0_S0_.num_vgpr, 46
	.set _Z13ratt10_kernelIdEvPKT_PS0_S0_.num_agpr, 0
	.set _Z13ratt10_kernelIdEvPKT_PS0_S0_.numbered_sgpr, 42
	.set _Z13ratt10_kernelIdEvPKT_PS0_S0_.num_named_barrier, 0
	.set _Z13ratt10_kernelIdEvPKT_PS0_S0_.private_seg_size, 0
	.set _Z13ratt10_kernelIdEvPKT_PS0_S0_.uses_vcc, 1
	.set _Z13ratt10_kernelIdEvPKT_PS0_S0_.uses_flat_scratch, 0
	.set _Z13ratt10_kernelIdEvPKT_PS0_S0_.has_dyn_sized_stack, 0
	.set _Z13ratt10_kernelIdEvPKT_PS0_S0_.has_recursion, 0
	.set _Z13ratt10_kernelIdEvPKT_PS0_S0_.has_indirect_call, 0
	.section	.AMDGPU.csdata,"",@progbits
; Kernel info:
; codeLenInByte = 5980
; TotalNumSgprs: 48
; NumVgprs: 46
; NumAgprs: 0
; TotalNumVgprs: 46
; ScratchSize: 0
; MemoryBound: 0
; FloatMode: 240
; IeeeMode: 1
; LDSByteSize: 0 bytes/workgroup (compile time only)
; SGPRBlocks: 5
; VGPRBlocks: 5
; NumSGPRsForWavesPerEU: 48
; NumVGPRsForWavesPerEU: 46
; AccumOffset: 48
; Occupancy: 8
; WaveLimiterHint : 0
; COMPUTE_PGM_RSRC2:SCRATCH_EN: 0
; COMPUTE_PGM_RSRC2:USER_SGPR: 2
; COMPUTE_PGM_RSRC2:TRAP_HANDLER: 0
; COMPUTE_PGM_RSRC2:TGID_X_EN: 1
; COMPUTE_PGM_RSRC2:TGID_Y_EN: 0
; COMPUTE_PGM_RSRC2:TGID_Z_EN: 0
; COMPUTE_PGM_RSRC2:TIDIG_COMP_CNT: 0
; COMPUTE_PGM_RSRC3_GFX90A:ACCUM_OFFSET: 11
; COMPUTE_PGM_RSRC3_GFX90A:TG_SPLIT: 0
	.section	.text._Z11ratx_kernelIdEvPKT_S2_PS0_S3_S2_S0_,"axG",@progbits,_Z11ratx_kernelIdEvPKT_S2_PS0_S3_S2_S0_,comdat
	.protected	_Z11ratx_kernelIdEvPKT_S2_PS0_S3_S2_S0_ ; -- Begin function _Z11ratx_kernelIdEvPKT_S2_PS0_S3_S2_S0_
	.globl	_Z11ratx_kernelIdEvPKT_S2_PS0_S3_S2_S0_
	.p2align	8
	.type	_Z11ratx_kernelIdEvPKT_S2_PS0_S3_S2_S0_,@function
_Z11ratx_kernelIdEvPKT_S2_PS0_S3_S2_S0_: ; @_Z11ratx_kernelIdEvPKT_S2_PS0_S3_S2_S0_
; %bb.0:
	s_load_dwordx8 s[4:11], s[0:1], 0x0
	s_load_dwordx4 s[12:15], s[0:1], 0x20
	s_load_dword s33, s[0:1], 0x30
	s_load_dword s3, s[0:1], 0x3c
	v_mov_b32_e32 v5, 0
	s_mov_b32 s16, 0x16291751
	s_mov_b32 s17, 0x3fcc71c0
	;; [unrolled: 1-line block ×3, first 2 shown]
	s_waitcnt lgkmcnt(0)
	s_and_b32 s0, s3, 0xffff
	s_mul_i32 s2, s2, s0
	v_add_u32_e32 v4, s2, v0
	s_mul_i32 s33, s33, s0
	v_lshlrev_b64 v[0:1], 3, v[4:5]
	v_add_u32_e32 v4, s33, v4
	v_lshl_add_u64 v[6:7], s[6:7], 0, v[0:1]
	v_lshlrev_b64 v[34:35], 3, v[4:5]
	global_load_dwordx2 v[6:7], v[6:7], off
	v_lshl_add_u64 v[10:11], s[6:7], 0, v[34:35]
	global_load_dwordx2 v[10:11], v[10:11], off
	v_add_u32_e32 v4, s33, v4
	v_lshl_add_u64 v[2:3], s[4:5], 0, v[0:1]
	v_lshl_add_u64 v[0:1], s[12:13], 0, v[0:1]
	global_load_dwordx2 v[0:1], v[0:1], off
	s_mov_b32 s2, 0
	global_load_dwordx2 v[2:3], v[2:3], off
	s_mov_b32 s3, 0x38100000
	s_mov_b32 s4, 0x55555555
	;; [unrolled: 1-line block ×62, first 2 shown]
	v_lshl_add_u64 v[34:35], s[12:13], 0, v[34:35]
	s_waitcnt vmcnt(3)
	v_add_f64 v[8:9], v[6:7], 0
	s_waitcnt vmcnt(2)
	v_add_f64 v[8:9], v[8:9], v[10:11]
	v_lshl_add_u64 v[10:11], v[4:5], 3, s[6:7]
	global_load_dwordx2 v[10:11], v[10:11], off
	v_add_u32_e32 v4, s33, v4
	v_lshlrev_b64 v[32:33], 3, v[4:5]
	v_add_u32_e32 v4, s33, v4
	s_waitcnt vmcnt(1)
	v_mul_f64 v[2:3], s[14:15], v[2:3]
	s_mov_b32 s14, 0xd7f4df2e
	s_mov_b32 s15, 0x3fc7474d
	s_waitcnt vmcnt(0)
	v_add_f64 v[8:9], v[8:9], v[10:11]
	v_lshl_add_u64 v[10:11], s[6:7], 0, v[32:33]
	global_load_dwordx2 v[10:11], v[10:11], off
	v_lshl_add_u64 v[32:33], s[12:13], 0, v[32:33]
	s_waitcnt vmcnt(0)
	v_add_f64 v[8:9], v[8:9], v[10:11]
	v_lshl_add_u64 v[10:11], v[4:5], 3, s[6:7]
	global_load_dwordx2 v[10:11], v[10:11], off
	v_add_u32_e32 v4, s33, v4
	v_lshlrev_b64 v[30:31], 3, v[4:5]
	v_add_u32_e32 v4, s33, v4
	v_lshlrev_b64 v[26:27], 3, v[4:5]
	;; [unrolled: 2-line block ×3, first 2 shown]
	v_add_u32_e32 v4, s33, v4
	s_waitcnt vmcnt(0)
	v_add_f64 v[8:9], v[8:9], v[10:11]
	v_lshl_add_u64 v[10:11], s[6:7], 0, v[30:31]
	global_load_dwordx2 v[12:13], v[10:11], off
	v_lshl_add_u64 v[10:11], s[6:7], 0, v[26:27]
	global_load_dwordx2 v[10:11], v[10:11], off
	v_lshl_add_u64 v[30:31], s[12:13], 0, v[30:31]
	v_lshl_add_u64 v[26:27], s[12:13], 0, v[26:27]
	s_waitcnt vmcnt(1)
	v_add_f64 v[8:9], v[8:9], v[12:13]
	s_waitcnt vmcnt(0)
	v_add_f64 v[8:9], v[8:9], v[10:11]
	v_lshl_add_u64 v[10:11], s[6:7], 0, v[24:25]
	global_load_dwordx2 v[10:11], v[10:11], off
	v_lshl_add_u64 v[24:25], s[12:13], 0, v[24:25]
	s_waitcnt vmcnt(0)
	v_add_f64 v[8:9], v[8:9], v[10:11]
	v_lshl_add_u64 v[10:11], v[4:5], 3, s[6:7]
	global_load_dwordx2 v[10:11], v[10:11], off
	v_add_u32_e32 v4, s33, v4
	v_lshlrev_b64 v[22:23], 3, v[4:5]
	v_add_u32_e32 v4, s33, v4
	s_waitcnt vmcnt(0)
	v_add_f64 v[8:9], v[8:9], v[10:11]
	v_lshl_add_u64 v[10:11], s[6:7], 0, v[22:23]
	global_load_dwordx2 v[14:15], v[10:11], off
	v_lshlrev_b64 v[10:11], 3, v[4:5]
	v_lshl_add_u64 v[16:17], s[6:7], 0, v[10:11]
	global_load_dwordx2 v[16:17], v[16:17], off
	v_add_u32_e32 v4, s33, v4
	v_lshl_add_u64 v[22:23], s[12:13], 0, v[22:23]
	v_lshl_add_u64 v[10:11], s[12:13], 0, v[10:11]
	global_load_dwordx2 v[10:11], v[10:11], off
	s_waitcnt vmcnt(2)
	v_add_f64 v[8:9], v[8:9], v[14:15]
	s_waitcnt vmcnt(1)
	v_add_f64 v[18:19], v[8:9], v[16:17]
	v_lshlrev_b64 v[8:9], 3, v[4:5]
	v_lshl_add_u64 v[20:21], s[6:7], 0, v[8:9]
	v_add_u32_e32 v4, s33, v4
	global_load_dwordx2 v[20:21], v[20:21], off
	v_lshl_add_u64 v[28:29], v[4:5], 3, s[6:7]
	global_load_dwordx2 v[28:29], v[28:29], off
	v_add_u32_e32 v4, s33, v4
	v_lshl_add_u64 v[8:9], s[12:13], 0, v[8:9]
	s_waitcnt vmcnt(1)
	v_add_f64 v[18:19], v[18:19], v[20:21]
	s_waitcnt vmcnt(0)
	v_add_f64 v[18:19], v[18:19], v[28:29]
	v_lshl_add_u64 v[28:29], v[4:5], 3, s[6:7]
	v_add_u32_e32 v4, s33, v4
	v_lshl_add_u64 v[36:37], v[4:5], 3, s[6:7]
	v_add_u32_e32 v4, s33, v4
	global_load_dwordx2 v[28:29], v[28:29], off
	s_nop 0
	global_load_dwordx2 v[38:39], v[36:37], off
	v_lshlrev_b64 v[36:37], 3, v[4:5]
	v_lshl_add_u64 v[40:41], s[6:7], 0, v[36:37]
	v_add_u32_e32 v4, s33, v4
	global_load_dwordx2 v[40:41], v[40:41], off
	v_lshl_add_u64 v[42:43], v[4:5], 3, s[6:7]
	global_load_dwordx2 v[42:43], v[42:43], off
	v_add_u32_e32 v4, s33, v4
	s_waitcnt vmcnt(3)
	v_add_f64 v[18:19], v[18:19], v[28:29]
	s_waitcnt vmcnt(2)
	v_add_f64 v[18:19], v[18:19], v[38:39]
	;; [unrolled: 2-line block ×4, first 2 shown]
	v_lshl_add_u64 v[42:43], v[4:5], 3, s[6:7]
	global_load_dwordx2 v[42:43], v[42:43], off
	v_add_u32_e32 v4, s33, v4
	s_waitcnt vmcnt(0)
	v_add_f64 v[18:19], v[18:19], v[42:43]
	v_lshl_add_u64 v[42:43], v[4:5], 3, s[6:7]
	global_load_dwordx2 v[42:43], v[42:43], off
	v_add_u32_e32 v4, s33, v4
	s_waitcnt vmcnt(0)
	v_add_f64 v[18:19], v[18:19], v[42:43]
	v_lshl_add_u64 v[42:43], v[4:5], 3, s[6:7]
	global_load_dwordx2 v[42:43], v[42:43], off
	v_add_u32_e32 v4, s33, v4
	s_waitcnt vmcnt(0)
	v_add_f64 v[18:19], v[18:19], v[42:43]
	v_lshl_add_u64 v[42:43], v[4:5], 3, s[6:7]
	global_load_dwordx2 v[42:43], v[42:43], off
	v_add_u32_e32 v4, s33, v4
	s_waitcnt vmcnt(0)
	v_add_f64 v[18:19], v[18:19], v[42:43]
	v_lshl_add_u64 v[42:43], v[4:5], 3, s[6:7]
	global_load_dwordx2 v[42:43], v[42:43], off
	s_mov_b32 s6, 0xbf559e2b
	s_mov_b32 s7, 0x3fc3ab76
	s_waitcnt vmcnt(0)
	v_add_f64 v[18:19], v[18:19], v[42:43]
	v_add_f64 v[6:7], v[18:19], v[6:7]
	v_fmac_f64_e32 v[6:7], 0x40140000, v[12:13]
	v_add_f64 v[6:7], v[14:15], v[6:7]
	v_fmac_f64_e32 v[6:7], 0.5, v[16:17]
	v_add_f64 v[14:15], v[20:21], v[6:7]
	v_fmac_f64_e32 v[14:15], 2.0, v[40:41]
	v_fma_f64 v[12:13], 2.0, v[28:29], v[14:15]
	v_fmac_f64_e32 v[14:15], 0x3ff80000, v[28:29]
	v_fmac_f64_e32 v[12:13], 2.0, v[38:39]
	v_fmac_f64_e32 v[14:15], 0x3ff80000, v[38:39]
	v_lshl_add_u64 v[38:39], s[8:9], 0, v[36:37]
	global_load_dwordx2 v[40:41], v[38:39], off
	v_lshl_add_u64 v[36:37], s[10:11], 0, v[36:37]
	s_waitcnt vmcnt(0)
	v_div_scale_f64 v[6:7], s[0:1], v[40:41], v[40:41], 1.0
	v_rcp_f64_e32 v[16:17], v[6:7]
	s_nop 0
	v_fma_f64 v[18:19], -v[6:7], v[16:17], 1.0
	v_fmac_f64_e32 v[16:17], v[16:17], v[18:19]
	v_fma_f64 v[18:19], -v[6:7], v[16:17], 1.0
	v_fmac_f64_e32 v[16:17], v[16:17], v[18:19]
	v_div_scale_f64 v[18:19], vcc, 1.0, v[40:41], 1.0
	v_mul_f64 v[20:21], v[18:19], v[16:17]
	v_fma_f64 v[6:7], -v[6:7], v[20:21], v[18:19]
	s_nop 1
	v_div_fmas_f64 v[6:7], v[6:7], v[16:17], v[20:21]
	v_div_fixup_f64 v[6:7], v[6:7], v[40:41], 1.0
	v_mul_f64 v[6:7], v[12:13], v[6:7]
	v_mul_f64 v[16:17], v[0:1], v[6:7]
	v_fma_f64 v[0:1], v[0:1], v[6:7], 1.0
	v_div_scale_f64 v[6:7], s[0:1], v[0:1], v[0:1], 1.0
	v_rcp_f64_e32 v[18:19], v[6:7]
	s_mov_b32 s0, 0x6b47b09a
	s_mov_b32 s1, 0x3fc38538
	v_fma_f64 v[20:21], -v[6:7], v[18:19], 1.0
	v_fmac_f64_e32 v[18:19], v[18:19], v[20:21]
	v_fma_f64 v[20:21], -v[6:7], v[18:19], 1.0
	v_fmac_f64_e32 v[18:19], v[18:19], v[20:21]
	v_div_scale_f64 v[20:21], vcc, 1.0, v[0:1], 1.0
	v_mul_f64 v[28:29], v[20:21], v[18:19]
	v_fma_f64 v[6:7], -v[6:7], v[28:29], v[20:21]
	s_nop 1
	v_div_fmas_f64 v[6:7], v[6:7], v[18:19], v[28:29]
	v_div_fixup_f64 v[0:1], v[6:7], v[0:1], 1.0
	v_max_f64 v[6:7], v[16:17], s[2:3]
	v_mul_f64 v[42:43], v[16:17], v[0:1]
	v_frexp_mant_f64_e32 v[0:1], v[6:7]
	v_cmp_gt_f64_e32 vcc, s[4:5], v[0:1]
	v_frexp_exp_i32_f64_e32 v16, v[6:7]
	s_nop 0
	v_cndmask_b32_e64 v17, 0, 1, vcc
	v_ldexp_f64 v[0:1], v[0:1], v17
	v_add_f64 v[18:19], v[0:1], 1.0
	v_add_f64 v[20:21], v[18:19], -1.0
	v_subbrev_co_u32_e32 v48, vcc, 0, v16, vcc
	v_add_f64 v[16:17], v[0:1], -1.0
	v_add_f64 v[0:1], v[0:1], -v[20:21]
	v_rcp_f64_e32 v[20:21], v[18:19]
	v_cmp_neq_f64_e32 vcc, s[36:37], v[6:7]
	v_fma_f64 v[28:29], -v[18:19], v[20:21], 1.0
	v_fmac_f64_e32 v[20:21], v[28:29], v[20:21]
	v_fma_f64 v[28:29], -v[18:19], v[20:21], 1.0
	v_fmac_f64_e32 v[20:21], v[28:29], v[20:21]
	v_mul_f64 v[28:29], v[16:17], v[20:21]
	v_mul_f64 v[44:45], v[18:19], v[28:29]
	v_fma_f64 v[18:19], v[28:29], v[18:19], -v[44:45]
	v_fmac_f64_e32 v[18:19], v[28:29], v[0:1]
	v_add_f64 v[0:1], v[44:45], v[18:19]
	v_add_f64 v[46:47], v[16:17], -v[0:1]
	v_add_f64 v[44:45], v[0:1], -v[44:45]
	;; [unrolled: 1-line block ×5, first 2 shown]
	v_add_f64 v[0:1], v[16:17], v[0:1]
	v_add_f64 v[0:1], v[46:47], v[0:1]
	v_mul_f64 v[0:1], v[20:21], v[0:1]
	v_add_f64 v[16:17], v[28:29], v[0:1]
	v_add_f64 v[18:19], v[16:17], -v[28:29]
	v_add_f64 v[18:19], v[0:1], -v[18:19]
	v_mul_f64 v[20:21], v[16:17], v[16:17]
	v_mov_b64_e32 v[0:1], s[0:1]
	v_fma_f64 v[28:29], s[6:7], v[20:21], v[0:1]
	v_fma_f64 v[28:29], v[20:21], v[28:29], s[14:15]
	;; [unrolled: 1-line block ×6, first 2 shown]
	v_ldexp_f64 v[44:45], v[16:17], 1
	v_mul_f64 v[16:17], v[16:17], v[20:21]
	v_mul_f64 v[16:17], v[16:17], v[28:29]
	v_add_f64 v[20:21], v[44:45], v[16:17]
	v_add_f64 v[28:29], v[20:21], -v[44:45]
	v_ldexp_f64 v[18:19], v[18:19], 1
	v_add_f64 v[16:17], v[16:17], -v[28:29]
	v_add_f64 v[16:17], v[18:19], v[16:17]
	v_add_f64 v[18:19], v[20:21], v[16:17]
	v_add_f64 v[20:21], v[18:19], -v[20:21]
	v_add_f64 v[16:17], v[16:17], -v[20:21]
	v_cvt_f64_i32_e32 v[20:21], v48
	v_mul_f64 v[28:29], v[20:21], s[24:25]
	v_fma_f64 v[44:45], v[20:21], s[24:25], -v[28:29]
	v_fmac_f64_e32 v[44:45], s[26:27], v[20:21]
	v_add_f64 v[20:21], v[28:29], v[44:45]
	v_add_f64 v[28:29], v[20:21], -v[28:29]
	v_add_f64 v[28:29], v[44:45], -v[28:29]
	v_mul_f64 v[44:45], v[18:19], s[28:29]
	v_fma_f64 v[46:47], v[18:19], s[28:29], -v[44:45]
	v_fmac_f64_e32 v[46:47], s[28:29], v[16:17]
	v_fmac_f64_e32 v[46:47], s[30:31], v[18:19]
	v_add_f64 v[16:17], v[44:45], v[46:47]
	v_add_f64 v[18:19], v[16:17], -v[44:45]
	v_add_f64 v[44:45], v[20:21], v[16:17]
	v_add_f64 v[18:19], v[46:47], -v[18:19]
	v_add_f64 v[46:47], v[44:45], -v[20:21]
	;; [unrolled: 1-line block ×5, first 2 shown]
	v_add_f64 v[16:17], v[16:17], v[20:21]
	v_add_f64 v[20:21], v[28:29], v[18:19]
	v_add_f64 v[46:47], v[20:21], -v[28:29]
	v_add_f64 v[48:49], v[20:21], -v[46:47]
	v_add_f64 v[16:17], v[20:21], v[16:17]
	v_add_f64 v[28:29], v[28:29], -v[48:49]
	v_add_f64 v[18:19], v[18:19], -v[46:47]
	v_add_f64 v[20:21], v[44:45], v[16:17]
	v_add_f64 v[18:19], v[18:19], v[28:29]
	v_add_f64 v[28:29], v[20:21], -v[44:45]
	v_add_f64 v[16:17], v[16:17], -v[28:29]
	v_add_f64 v[16:17], v[18:19], v[16:17]
	s_mov_b32 s0, 0x2b931057
	v_add_f64 v[16:17], v[20:21], v[16:17]
	v_mov_b32_e32 v46, 0x7ff00000
	s_mov_b32 s1, 0xbf85c988
	v_cndmask_b32_e32 v45, v46, v17, vcc
	v_cndmask_b32_e32 v44, 0, v16, vcc
	v_mul_f64 v[16:17], v[2:3], s[0:1]
	v_mul_f64 v[6:7], v[16:17], s[62:63]
	v_rndne_f64_e32 v[18:19], v[6:7]
	s_mov_b32 s0, 0xfca7ab0c
	v_fma_f64 v[20:21], s[58:59], v[18:19], v[16:17]
	s_mov_b32 s1, 0x3e928af3
	v_fmac_f64_e32 v[20:21], s[60:61], v[18:19]
	v_mov_b64_e32 v[6:7], s[0:1]
	v_fma_f64 v[28:29], s[34:35], v[20:21], v[6:7]
	v_fma_f64 v[28:29], v[20:21], v[28:29], s[38:39]
	;; [unrolled: 1-line block ×9, first 2 shown]
	v_fma_f64 v[28:29], v[20:21], v[28:29], 1.0
	v_fma_f64 v[20:21], v[20:21], v[28:29], 1.0
	v_cvt_i32_f64_e32 v18, v[18:19]
	v_ldexp_f64 v[18:19], v[20:21], v18
	v_cmp_nlt_f64_e32 vcc, s[54:55], v[16:17]
	v_cmp_ngt_f64_e64 s[0:1], s[56:57], v[16:17]
	s_nop 0
	v_cndmask_b32_e32 v19, v46, v19, vcc
	s_and_b64 vcc, s[0:1], vcc
	v_cndmask_b32_e64 v29, 0, v19, s[0:1]
	s_mov_b32 s0, 0x92f3c105
	s_mov_b32 s1, 0xbf42a91c
	v_mul_f64 v[16:17], v[2:3], s[0:1]
	v_cndmask_b32_e32 v28, 0, v18, vcc
	v_mul_f64 v[18:19], v[16:17], s[62:63]
	v_rndne_f64_e32 v[18:19], v[18:19]
	v_fma_f64 v[20:21], s[58:59], v[18:19], v[16:17]
	v_fmac_f64_e32 v[20:21], s[60:61], v[18:19]
	v_fma_f64 v[48:49], s[34:35], v[20:21], v[6:7]
	v_fma_f64 v[48:49], v[20:21], v[48:49], s[38:39]
	;; [unrolled: 1-line block ×9, first 2 shown]
	v_fma_f64 v[48:49], v[20:21], v[48:49], 1.0
	v_fma_f64 v[20:21], v[20:21], v[48:49], 1.0
	v_cvt_i32_f64_e32 v18, v[18:19]
	s_mov_b32 s0, 0xdbf487fd
	v_ldexp_f64 v[18:19], v[20:21], v18
	s_mov_b32 s1, 0x3fe781d7
	v_mul_f64 v[18:19], v[18:19], s[0:1]
	v_cmp_nlt_f64_e32 vcc, s[54:55], v[16:17]
	v_cmp_ngt_f64_e64 s[0:1], s[56:57], v[16:17]
	s_nop 0
	v_cndmask_b32_e32 v19, v46, v19, vcc
	s_and_b64 vcc, s[0:1], vcc
	v_cndmask_b32_e64 v17, 0, v19, s[0:1]
	s_mov_b32 s0, 0x4816f007
	v_cndmask_b32_e32 v16, 0, v18, vcc
	s_mov_b32 s1, 0x3fd0fc50
	v_fmac_f64_e32 v[16:17], s[0:1], v[28:29]
	v_div_scale_f64 v[18:19], s[0:1], v[2:3], v[2:3], 1.0
	v_rcp_f64_e32 v[20:21], v[18:19]
	s_mov_b32 s0, 0
	s_mov_b32 s1, 0xc0b43e00
	v_fma_f64 v[48:49], -v[18:19], v[20:21], 1.0
	v_fmac_f64_e32 v[20:21], v[20:21], v[48:49]
	v_fma_f64 v[48:49], -v[18:19], v[20:21], 1.0
	v_fmac_f64_e32 v[20:21], v[20:21], v[48:49]
	v_div_scale_f64 v[48:49], vcc, 1.0, v[2:3], 1.0
	v_mul_f64 v[50:51], v[48:49], v[20:21]
	v_fma_f64 v[18:19], -v[18:19], v[50:51], v[48:49]
	s_nop 1
	v_div_fmas_f64 v[18:19], v[18:19], v[20:21], v[50:51]
	v_div_fixup_f64 v[20:21], v[18:19], v[2:3], 1.0
	v_mul_f64 v[18:19], v[20:21], s[0:1]
	v_mul_f64 v[48:49], v[18:19], s[62:63]
	v_rndne_f64_e32 v[48:49], v[48:49]
	v_fma_f64 v[50:51], s[58:59], v[48:49], v[18:19]
	v_fmac_f64_e32 v[50:51], s[60:61], v[48:49]
	v_fma_f64 v[52:53], s[34:35], v[50:51], v[6:7]
	v_fma_f64 v[52:53], v[50:51], v[52:53], s[38:39]
	;; [unrolled: 1-line block ×9, first 2 shown]
	v_fma_f64 v[52:53], v[50:51], v[52:53], 1.0
	v_fma_f64 v[50:51], v[50:51], v[52:53], 1.0
	v_cvt_i32_f64_e32 v47, v[48:49]
	v_ldexp_f64 v[48:49], v[50:51], v47
	v_cmp_nlt_f64_e32 vcc, s[54:55], v[18:19]
	v_cmp_ngt_f64_e64 s[0:1], s[56:57], v[18:19]
	s_nop 0
	v_cndmask_b32_e32 v47, v46, v49, vcc
	s_and_b64 vcc, s[0:1], vcc
	v_cndmask_b32_e32 v18, 0, v48, vcc
	v_cndmask_b32_e64 v19, 0, v47, s[0:1]
	v_add_f64 v[16:17], v[18:19], v[16:17]
	v_max_f64 v[16:17], v[16:17], s[2:3]
	v_frexp_mant_f64_e32 v[18:19], v[16:17]
	v_cmp_gt_f64_e32 vcc, s[4:5], v[18:19]
	v_frexp_exp_i32_f64_e32 v47, v[16:17]
	s_mov_b32 s0, 0x9999999a
	v_cndmask_b32_e64 v48, 0, 1, vcc
	v_ldexp_f64 v[18:19], v[18:19], v48
	v_add_f64 v[50:51], v[18:19], 1.0
	v_add_f64 v[52:53], v[50:51], -1.0
	v_add_f64 v[48:49], v[18:19], -1.0
	v_add_f64 v[18:19], v[18:19], -v[52:53]
	v_rcp_f64_e32 v[52:53], v[50:51]
	v_subbrev_co_u32_e32 v47, vcc, 0, v47, vcc
	v_cmp_neq_f64_e32 vcc, s[36:37], v[16:17]
	v_fma_f64 v[54:55], -v[50:51], v[52:53], 1.0
	v_fmac_f64_e32 v[52:53], v[54:55], v[52:53]
	v_fma_f64 v[54:55], -v[50:51], v[52:53], 1.0
	v_fmac_f64_e32 v[52:53], v[54:55], v[52:53]
	v_mul_f64 v[54:55], v[48:49], v[52:53]
	v_mul_f64 v[56:57], v[50:51], v[54:55]
	v_fma_f64 v[50:51], v[54:55], v[50:51], -v[56:57]
	v_fmac_f64_e32 v[50:51], v[54:55], v[18:19]
	v_add_f64 v[18:19], v[56:57], v[50:51]
	v_add_f64 v[58:59], v[48:49], -v[18:19]
	v_add_f64 v[56:57], v[18:19], -v[56:57]
	;; [unrolled: 1-line block ×5, first 2 shown]
	v_add_f64 v[18:19], v[48:49], v[18:19]
	v_add_f64 v[18:19], v[58:59], v[18:19]
	v_mul_f64 v[18:19], v[52:53], v[18:19]
	v_add_f64 v[48:49], v[54:55], v[18:19]
	v_add_f64 v[50:51], v[48:49], -v[54:55]
	v_add_f64 v[18:19], v[18:19], -v[50:51]
	v_mul_f64 v[50:51], v[48:49], v[48:49]
	v_fma_f64 v[52:53], s[6:7], v[50:51], v[0:1]
	v_fma_f64 v[52:53], v[50:51], v[52:53], s[14:15]
	;; [unrolled: 1-line block ×6, first 2 shown]
	v_ldexp_f64 v[54:55], v[48:49], 1
	v_mul_f64 v[48:49], v[48:49], v[50:51]
	v_mul_f64 v[48:49], v[48:49], v[52:53]
	v_add_f64 v[50:51], v[54:55], v[48:49]
	v_add_f64 v[52:53], v[50:51], -v[54:55]
	v_ldexp_f64 v[18:19], v[18:19], 1
	v_add_f64 v[48:49], v[48:49], -v[52:53]
	v_add_f64 v[18:19], v[18:19], v[48:49]
	v_add_f64 v[48:49], v[50:51], v[18:19]
	v_add_f64 v[50:51], v[48:49], -v[50:51]
	v_add_f64 v[18:19], v[18:19], -v[50:51]
	v_cvt_f64_i32_e32 v[50:51], v47
	v_mul_f64 v[52:53], v[50:51], s[24:25]
	v_fma_f64 v[54:55], v[50:51], s[24:25], -v[52:53]
	v_fmac_f64_e32 v[54:55], s[26:27], v[50:51]
	v_add_f64 v[50:51], v[52:53], v[54:55]
	v_add_f64 v[52:53], v[50:51], -v[52:53]
	v_add_f64 v[52:53], v[54:55], -v[52:53]
	v_mul_f64 v[54:55], v[48:49], s[28:29]
	v_fma_f64 v[56:57], v[48:49], s[28:29], -v[54:55]
	v_fmac_f64_e32 v[56:57], s[28:29], v[18:19]
	v_fmac_f64_e32 v[56:57], s[30:31], v[48:49]
	v_add_f64 v[18:19], v[54:55], v[56:57]
	v_add_f64 v[48:49], v[18:19], -v[54:55]
	v_add_f64 v[54:55], v[50:51], v[18:19]
	v_add_f64 v[48:49], v[56:57], -v[48:49]
	v_add_f64 v[56:57], v[54:55], -v[50:51]
	;; [unrolled: 1-line block ×5, first 2 shown]
	v_add_f64 v[18:19], v[18:19], v[50:51]
	v_add_f64 v[50:51], v[52:53], v[48:49]
	v_add_f64 v[56:57], v[50:51], -v[52:53]
	v_add_f64 v[58:59], v[50:51], -v[56:57]
	v_add_f64 v[18:19], v[50:51], v[18:19]
	v_add_f64 v[52:53], v[52:53], -v[58:59]
	v_add_f64 v[48:49], v[48:49], -v[56:57]
	v_add_f64 v[50:51], v[54:55], v[18:19]
	v_add_f64 v[48:49], v[48:49], v[52:53]
	v_add_f64 v[52:53], v[50:51], -v[54:55]
	v_add_f64 v[18:19], v[18:19], -v[52:53]
	v_add_f64 v[18:19], v[48:49], v[18:19]
	v_add_f64 v[18:19], v[50:51], v[18:19]
	s_mov_b32 s1, s21
	v_cndmask_b32_e32 v49, v46, v19, vcc
	v_cndmask_b32_e32 v48, 0, v18, vcc
	v_mov_b32_e32 v16, 0
	v_mov_b64_e32 v[18:19], s[0:1]
	v_mov_b32_e32 v17, 0x3fe80000
	v_fma_f64 v[52:53], s[66:67], v[48:49], v[18:19]
	v_fma_f64 v[50:51], s[64:65], v[48:49], v[16:17]
	v_add_f64 v[44:45], v[44:45], -v[52:53]
	v_fmac_f64_e32 v[50:51], s[68:69], v[44:45]
	v_div_scale_f64 v[52:53], s[0:1], v[50:51], v[50:51], 1.0
	v_rcp_f64_e32 v[54:55], v[52:53]
	s_nop 0
	v_fma_f64 v[56:57], -v[52:53], v[54:55], 1.0
	v_fmac_f64_e32 v[54:55], v[54:55], v[56:57]
	v_fma_f64 v[56:57], -v[52:53], v[54:55], 1.0
	v_fmac_f64_e32 v[54:55], v[54:55], v[56:57]
	v_div_scale_f64 v[56:57], vcc, 1.0, v[50:51], 1.0
	v_mul_f64 v[58:59], v[56:57], v[54:55]
	v_fma_f64 v[52:53], -v[52:53], v[58:59], v[56:57]
	s_nop 1
	v_div_fmas_f64 v[52:53], v[52:53], v[54:55], v[58:59]
	v_div_fixup_f64 v[50:51], v[52:53], v[50:51], 1.0
	v_mul_f64 v[44:45], v[44:45], v[50:51]
	v_fma_f64 v[44:45], v[44:45], v[44:45], 1.0
	v_div_scale_f64 v[50:51], s[0:1], v[44:45], v[44:45], 1.0
	v_rcp_f64_e32 v[52:53], v[50:51]
	s_nop 0
	v_fma_f64 v[54:55], -v[50:51], v[52:53], 1.0
	v_fmac_f64_e32 v[52:53], v[52:53], v[54:55]
	v_fma_f64 v[54:55], -v[50:51], v[52:53], 1.0
	v_fmac_f64_e32 v[52:53], v[52:53], v[54:55]
	v_div_scale_f64 v[54:55], vcc, 1.0, v[44:45], 1.0
	v_mul_f64 v[56:57], v[54:55], v[52:53]
	v_fma_f64 v[50:51], -v[50:51], v[56:57], v[54:55]
	s_nop 1
	v_div_fmas_f64 v[50:51], v[50:51], v[52:53], v[56:57]
	v_div_fixup_f64 v[44:45], v[50:51], v[44:45], 1.0
	v_mul_f64 v[44:45], v[48:49], v[44:45]
	v_mul_f64 v[48:49], v[44:45], s[70:71]
	v_rndne_f64_e32 v[48:49], v[48:49]
	v_fma_f64 v[50:51], s[72:73], v[48:49], v[44:45]
	v_fmac_f64_e32 v[50:51], s[74:75], v[48:49]
	v_mul_f64 v[52:53], v[50:51], s[76:77]
	v_fmac_f64_e32 v[52:53], s[78:79], v[50:51]
	v_fma_f64 v[50:51], s[34:35], v[52:53], v[6:7]
	v_fma_f64 v[50:51], v[52:53], v[50:51], s[38:39]
	;; [unrolled: 1-line block ×9, first 2 shown]
	v_fma_f64 v[50:51], v[52:53], v[50:51], 1.0
	v_fma_f64 v[50:51], v[52:53], v[50:51], 1.0
	v_cvt_i32_f64_e32 v47, v[48:49]
	v_ldexp_f64 v[48:49], v[50:51], v47
	v_cmp_nlt_f64_e32 vcc, s[54:55], v[44:45]
	v_cmp_ngt_f64_e64 s[0:1], s[56:57], v[44:45]
	s_nop 0
	v_cndmask_b32_e32 v47, v46, v49, vcc
	s_and_b64 vcc, s[0:1], vcc
	v_cndmask_b32_e32 v44, 0, v48, vcc
	v_cndmask_b32_e64 v45, 0, v47, s[0:1]
	v_mul_f64 v[42:43], v[42:43], v[44:45]
	v_mul_f64 v[40:41], v[40:41], v[42:43]
	global_store_dwordx2 v[38:39], v[40:41], off
	global_load_dwordx2 v[38:39], v[36:37], off
	s_waitcnt vmcnt(0)
	v_mul_f64 v[38:39], v[38:39], v[42:43]
	global_load_dwordx2 v[42:43], v[34:35], off
	v_mad_u64_u32 v[34:35], s[0:1], s33, 9, v[4:5]
	v_mov_b32_e32 v35, v5
	global_store_dwordx2 v[36:37], v[38:39], off
	v_lshlrev_b64 v[36:37], 3, v[34:35]
	v_lshl_add_u64 v[38:39], s[8:9], 0, v[36:37]
	global_load_dwordx2 v[40:41], v[38:39], off
	v_lshl_add_u64 v[36:37], s[10:11], 0, v[36:37]
	s_waitcnt vmcnt(0)
	v_div_scale_f64 v[44:45], s[0:1], v[40:41], v[40:41], 1.0
	v_rcp_f64_e32 v[48:49], v[44:45]
	s_nop 0
	v_fma_f64 v[50:51], -v[44:45], v[48:49], 1.0
	v_fmac_f64_e32 v[48:49], v[48:49], v[50:51]
	v_fma_f64 v[50:51], -v[44:45], v[48:49], 1.0
	v_fmac_f64_e32 v[48:49], v[48:49], v[50:51]
	v_div_scale_f64 v[50:51], vcc, 1.0, v[40:41], 1.0
	v_mul_f64 v[52:53], v[50:51], v[48:49]
	v_fma_f64 v[44:45], -v[44:45], v[52:53], v[50:51]
	s_nop 1
	v_div_fmas_f64 v[44:45], v[44:45], v[48:49], v[52:53]
	v_div_fixup_f64 v[44:45], v[44:45], v[40:41], 1.0
	v_mul_f64 v[44:45], v[12:13], v[44:45]
	v_mul_f64 v[48:49], v[42:43], v[44:45]
	v_fma_f64 v[42:43], v[42:43], v[44:45], 1.0
	v_div_scale_f64 v[44:45], s[0:1], v[42:43], v[42:43], 1.0
	v_rcp_f64_e32 v[50:51], v[44:45]
	s_mov_b32 s0, 0x8725af6e
	s_mov_b32 s1, 0xbf74cab8
	v_fma_f64 v[52:53], -v[44:45], v[50:51], 1.0
	v_fmac_f64_e32 v[50:51], v[50:51], v[52:53]
	v_fma_f64 v[52:53], -v[44:45], v[50:51], 1.0
	v_fmac_f64_e32 v[50:51], v[50:51], v[52:53]
	v_div_scale_f64 v[52:53], vcc, 1.0, v[42:43], 1.0
	v_mul_f64 v[54:55], v[52:53], v[50:51]
	v_fma_f64 v[44:45], -v[44:45], v[54:55], v[52:53]
	s_nop 1
	v_div_fmas_f64 v[44:45], v[44:45], v[50:51], v[54:55]
	v_div_fixup_f64 v[42:43], v[44:45], v[42:43], 1.0
	v_max_f64 v[44:45], v[48:49], s[2:3]
	v_mul_f64 v[42:43], v[48:49], v[42:43]
	v_frexp_mant_f64_e32 v[48:49], v[44:45]
	v_cmp_gt_f64_e32 vcc, s[4:5], v[48:49]
	v_frexp_exp_i32_f64_e32 v4, v[44:45]
	s_nop 0
	v_cndmask_b32_e64 v35, 0, 1, vcc
	v_ldexp_f64 v[48:49], v[48:49], v35
	v_add_f64 v[52:53], v[48:49], 1.0
	v_add_f64 v[54:55], v[52:53], -1.0
	v_add_f64 v[50:51], v[48:49], -1.0
	v_add_f64 v[48:49], v[48:49], -v[54:55]
	v_rcp_f64_e32 v[54:55], v[52:53]
	v_subbrev_co_u32_e32 v4, vcc, 0, v4, vcc
	v_cmp_neq_f64_e32 vcc, s[36:37], v[44:45]
	v_fma_f64 v[56:57], -v[52:53], v[54:55], 1.0
	v_fmac_f64_e32 v[54:55], v[56:57], v[54:55]
	v_fma_f64 v[56:57], -v[52:53], v[54:55], 1.0
	v_fmac_f64_e32 v[54:55], v[56:57], v[54:55]
	v_mul_f64 v[56:57], v[50:51], v[54:55]
	v_mul_f64 v[58:59], v[52:53], v[56:57]
	v_fma_f64 v[52:53], v[56:57], v[52:53], -v[58:59]
	v_fmac_f64_e32 v[52:53], v[56:57], v[48:49]
	v_add_f64 v[48:49], v[58:59], v[52:53]
	v_add_f64 v[60:61], v[50:51], -v[48:49]
	v_add_f64 v[58:59], v[48:49], -v[58:59]
	;; [unrolled: 1-line block ×5, first 2 shown]
	v_add_f64 v[48:49], v[50:51], v[48:49]
	v_add_f64 v[48:49], v[60:61], v[48:49]
	v_mul_f64 v[48:49], v[54:55], v[48:49]
	v_add_f64 v[50:51], v[56:57], v[48:49]
	v_add_f64 v[52:53], v[50:51], -v[56:57]
	v_add_f64 v[48:49], v[48:49], -v[52:53]
	v_mul_f64 v[52:53], v[50:51], v[50:51]
	v_fma_f64 v[54:55], s[6:7], v[52:53], v[0:1]
	v_fma_f64 v[54:55], v[52:53], v[54:55], s[14:15]
	;; [unrolled: 1-line block ×6, first 2 shown]
	v_ldexp_f64 v[56:57], v[50:51], 1
	v_mul_f64 v[50:51], v[50:51], v[52:53]
	v_mul_f64 v[50:51], v[50:51], v[54:55]
	v_add_f64 v[52:53], v[56:57], v[50:51]
	v_add_f64 v[54:55], v[52:53], -v[56:57]
	v_ldexp_f64 v[48:49], v[48:49], 1
	v_add_f64 v[50:51], v[50:51], -v[54:55]
	v_add_f64 v[48:49], v[48:49], v[50:51]
	v_add_f64 v[50:51], v[52:53], v[48:49]
	v_add_f64 v[52:53], v[50:51], -v[52:53]
	v_add_f64 v[48:49], v[48:49], -v[52:53]
	v_cvt_f64_i32_e32 v[52:53], v4
	v_mul_f64 v[54:55], v[52:53], s[24:25]
	v_fma_f64 v[56:57], v[52:53], s[24:25], -v[54:55]
	v_fmac_f64_e32 v[56:57], s[26:27], v[52:53]
	v_add_f64 v[52:53], v[54:55], v[56:57]
	v_add_f64 v[54:55], v[52:53], -v[54:55]
	v_add_f64 v[54:55], v[56:57], -v[54:55]
	v_mul_f64 v[56:57], v[50:51], s[28:29]
	v_fma_f64 v[58:59], v[50:51], s[28:29], -v[56:57]
	v_fmac_f64_e32 v[58:59], s[28:29], v[48:49]
	v_fmac_f64_e32 v[58:59], s[30:31], v[50:51]
	v_add_f64 v[48:49], v[56:57], v[58:59]
	v_add_f64 v[50:51], v[48:49], -v[56:57]
	v_add_f64 v[56:57], v[52:53], v[48:49]
	v_add_f64 v[50:51], v[58:59], -v[50:51]
	v_add_f64 v[58:59], v[56:57], -v[52:53]
	;; [unrolled: 1-line block ×5, first 2 shown]
	v_add_f64 v[48:49], v[48:49], v[52:53]
	v_add_f64 v[52:53], v[54:55], v[50:51]
	v_add_f64 v[58:59], v[52:53], -v[54:55]
	v_add_f64 v[60:61], v[52:53], -v[58:59]
	v_add_f64 v[48:49], v[52:53], v[48:49]
	v_add_f64 v[54:55], v[54:55], -v[60:61]
	v_add_f64 v[50:51], v[50:51], -v[58:59]
	v_add_f64 v[52:53], v[56:57], v[48:49]
	v_add_f64 v[50:51], v[50:51], v[54:55]
	v_add_f64 v[54:55], v[52:53], -v[56:57]
	v_add_f64 v[48:49], v[48:49], -v[54:55]
	v_add_f64 v[48:49], v[50:51], v[48:49]
	v_add_f64 v[48:49], v[52:53], v[48:49]
	v_cndmask_b32_e32 v45, v46, v49, vcc
	v_cndmask_b32_e32 v44, 0, v48, vcc
	v_mul_f64 v[48:49], v[2:3], s[0:1]
	v_mul_f64 v[50:51], v[48:49], s[62:63]
	v_rndne_f64_e32 v[50:51], v[50:51]
	v_fma_f64 v[52:53], s[58:59], v[50:51], v[48:49]
	v_fmac_f64_e32 v[52:53], s[60:61], v[50:51]
	v_fma_f64 v[54:55], s[34:35], v[52:53], v[6:7]
	v_fma_f64 v[54:55], v[52:53], v[54:55], s[38:39]
	v_fma_f64 v[54:55], v[52:53], v[54:55], s[40:41]
	v_fma_f64 v[54:55], v[52:53], v[54:55], s[42:43]
	v_fma_f64 v[54:55], v[52:53], v[54:55], s[44:45]
	v_fma_f64 v[54:55], v[52:53], v[54:55], s[46:47]
	v_fma_f64 v[54:55], v[52:53], v[54:55], s[48:49]
	v_fma_f64 v[54:55], v[52:53], v[54:55], s[50:51]
	v_fma_f64 v[54:55], v[52:53], v[54:55], s[52:53]
	v_fma_f64 v[54:55], v[52:53], v[54:55], 1.0
	v_fma_f64 v[52:53], v[52:53], v[54:55], 1.0
	v_cvt_i32_f64_e32 v4, v[50:51]
	s_mov_b32 s0, 0xb020c49c
	v_ldexp_f64 v[50:51], v[52:53], v4
	s_mov_b32 s1, 0x3fb16872
	v_mul_f64 v[50:51], v[50:51], s[0:1]
	v_cmp_nlt_f64_e32 vcc, s[54:55], v[48:49]
	v_cmp_ngt_f64_e64 s[0:1], s[56:57], v[48:49]
	s_nop 0
	v_cndmask_b32_e32 v4, v46, v51, vcc
	s_and_b64 vcc, s[0:1], vcc
	v_cndmask_b32_e64 v49, 0, v4, s[0:1]
	s_mov_b32 s0, 0xe6bb82fe
	s_mov_b32 s1, 0xbf454725
	v_cndmask_b32_e32 v48, 0, v50, vcc
	v_mul_f64 v[50:51], v[2:3], s[0:1]
	v_mul_f64 v[52:53], v[50:51], s[62:63]
	v_rndne_f64_e32 v[52:53], v[52:53]
	v_fma_f64 v[54:55], s[58:59], v[52:53], v[50:51]
	v_fmac_f64_e32 v[54:55], s[60:61], v[52:53]
	v_fma_f64 v[56:57], s[34:35], v[54:55], v[6:7]
	v_fma_f64 v[56:57], v[54:55], v[56:57], s[38:39]
	;; [unrolled: 1-line block ×9, first 2 shown]
	v_fma_f64 v[56:57], v[54:55], v[56:57], 1.0
	v_fma_f64 v[54:55], v[54:55], v[56:57], 1.0
	v_cvt_i32_f64_e32 v4, v[52:53]
	s_mov_b32 s0, 0xa9fbe76d
	v_ldexp_f64 v[52:53], v[54:55], v4
	s_mov_b32 s1, 0x3fedd2f1
	v_mul_f64 v[52:53], v[52:53], s[0:1]
	v_cmp_nlt_f64_e32 vcc, s[54:55], v[50:51]
	v_cmp_ngt_f64_e64 s[0:1], s[56:57], v[50:51]
	s_nop 0
	v_cndmask_b32_e32 v4, v46, v53, vcc
	s_and_b64 vcc, s[0:1], vcc
	v_cndmask_b32_e64 v51, 0, v4, s[0:1]
	s_mov_b32 s0, 0
	v_cndmask_b32_e32 v50, 0, v52, vcc
	s_mov_b32 s1, 0xc0c41e00
	v_add_f64 v[48:49], v[48:49], v[50:51]
	v_mul_f64 v[50:51], v[20:21], s[0:1]
	v_mul_f64 v[52:53], v[50:51], s[62:63]
	v_rndne_f64_e32 v[52:53], v[52:53]
	v_fma_f64 v[54:55], s[58:59], v[52:53], v[50:51]
	v_fmac_f64_e32 v[54:55], s[60:61], v[52:53]
	v_fma_f64 v[56:57], s[34:35], v[54:55], v[6:7]
	v_fma_f64 v[56:57], v[54:55], v[56:57], s[38:39]
	;; [unrolled: 1-line block ×9, first 2 shown]
	v_fma_f64 v[56:57], v[54:55], v[56:57], 1.0
	v_fma_f64 v[54:55], v[54:55], v[56:57], 1.0
	v_cvt_i32_f64_e32 v4, v[52:53]
	v_ldexp_f64 v[52:53], v[54:55], v4
	v_cmp_nlt_f64_e32 vcc, s[54:55], v[50:51]
	v_cmp_ngt_f64_e64 s[0:1], s[56:57], v[50:51]
	s_nop 0
	v_cndmask_b32_e32 v4, v46, v53, vcc
	s_and_b64 vcc, s[0:1], vcc
	v_cndmask_b32_e32 v50, 0, v52, vcc
	v_cndmask_b32_e64 v51, 0, v4, s[0:1]
	v_add_f64 v[48:49], v[50:51], v[48:49]
	v_max_f64 v[48:49], v[48:49], s[2:3]
	v_frexp_mant_f64_e32 v[50:51], v[48:49]
	v_cmp_gt_f64_e32 vcc, s[4:5], v[50:51]
	v_frexp_exp_i32_f64_e32 v4, v[48:49]
	s_nop 0
	v_cndmask_b32_e64 v35, 0, 1, vcc
	v_ldexp_f64 v[50:51], v[50:51], v35
	v_add_f64 v[54:55], v[50:51], 1.0
	v_add_f64 v[56:57], v[54:55], -1.0
	v_add_f64 v[52:53], v[50:51], -1.0
	v_add_f64 v[50:51], v[50:51], -v[56:57]
	v_rcp_f64_e32 v[56:57], v[54:55]
	v_subbrev_co_u32_e32 v4, vcc, 0, v4, vcc
	v_cmp_neq_f64_e32 vcc, s[36:37], v[48:49]
	v_fma_f64 v[58:59], -v[54:55], v[56:57], 1.0
	v_fmac_f64_e32 v[56:57], v[58:59], v[56:57]
	v_fma_f64 v[58:59], -v[54:55], v[56:57], 1.0
	v_fmac_f64_e32 v[56:57], v[58:59], v[56:57]
	v_mul_f64 v[58:59], v[52:53], v[56:57]
	v_mul_f64 v[60:61], v[54:55], v[58:59]
	v_fma_f64 v[54:55], v[58:59], v[54:55], -v[60:61]
	v_fmac_f64_e32 v[54:55], v[58:59], v[50:51]
	v_add_f64 v[50:51], v[60:61], v[54:55]
	v_add_f64 v[62:63], v[52:53], -v[50:51]
	v_add_f64 v[60:61], v[50:51], -v[60:61]
	v_add_f64 v[52:53], v[52:53], -v[62:63]
	v_add_f64 v[50:51], v[52:53], -v[50:51]
	v_add_f64 v[52:53], v[60:61], -v[54:55]
	v_add_f64 v[50:51], v[52:53], v[50:51]
	v_add_f64 v[50:51], v[62:63], v[50:51]
	v_mul_f64 v[50:51], v[56:57], v[50:51]
	v_add_f64 v[52:53], v[58:59], v[50:51]
	v_add_f64 v[54:55], v[52:53], -v[58:59]
	v_add_f64 v[50:51], v[50:51], -v[54:55]
	v_mul_f64 v[54:55], v[52:53], v[52:53]
	v_fma_f64 v[56:57], s[6:7], v[54:55], v[0:1]
	v_fma_f64 v[56:57], v[54:55], v[56:57], s[14:15]
	;; [unrolled: 1-line block ×6, first 2 shown]
	v_ldexp_f64 v[58:59], v[52:53], 1
	v_mul_f64 v[52:53], v[52:53], v[54:55]
	v_mul_f64 v[52:53], v[52:53], v[56:57]
	v_add_f64 v[54:55], v[58:59], v[52:53]
	v_add_f64 v[56:57], v[54:55], -v[58:59]
	v_ldexp_f64 v[50:51], v[50:51], 1
	v_add_f64 v[52:53], v[52:53], -v[56:57]
	v_add_f64 v[50:51], v[50:51], v[52:53]
	v_add_f64 v[52:53], v[54:55], v[50:51]
	v_add_f64 v[54:55], v[52:53], -v[54:55]
	v_add_f64 v[50:51], v[50:51], -v[54:55]
	v_cvt_f64_i32_e32 v[54:55], v4
	v_mul_f64 v[56:57], v[54:55], s[24:25]
	v_fma_f64 v[58:59], v[54:55], s[24:25], -v[56:57]
	v_fmac_f64_e32 v[58:59], s[26:27], v[54:55]
	v_add_f64 v[54:55], v[56:57], v[58:59]
	v_add_f64 v[56:57], v[54:55], -v[56:57]
	v_add_f64 v[56:57], v[58:59], -v[56:57]
	v_mul_f64 v[58:59], v[52:53], s[28:29]
	v_fma_f64 v[60:61], v[52:53], s[28:29], -v[58:59]
	v_fmac_f64_e32 v[60:61], s[28:29], v[50:51]
	v_fmac_f64_e32 v[60:61], s[30:31], v[52:53]
	v_add_f64 v[50:51], v[58:59], v[60:61]
	v_add_f64 v[52:53], v[50:51], -v[58:59]
	v_add_f64 v[58:59], v[54:55], v[50:51]
	v_add_f64 v[52:53], v[60:61], -v[52:53]
	v_add_f64 v[60:61], v[58:59], -v[54:55]
	;; [unrolled: 1-line block ×5, first 2 shown]
	v_add_f64 v[50:51], v[50:51], v[54:55]
	v_add_f64 v[54:55], v[56:57], v[52:53]
	v_add_f64 v[60:61], v[54:55], -v[56:57]
	v_add_f64 v[62:63], v[54:55], -v[60:61]
	v_add_f64 v[50:51], v[54:55], v[50:51]
	v_add_f64 v[56:57], v[56:57], -v[62:63]
	v_add_f64 v[52:53], v[52:53], -v[60:61]
	v_add_f64 v[54:55], v[58:59], v[50:51]
	v_add_f64 v[52:53], v[52:53], v[56:57]
	v_add_f64 v[56:57], v[54:55], -v[58:59]
	v_add_f64 v[50:51], v[50:51], -v[56:57]
	v_add_f64 v[50:51], v[52:53], v[50:51]
	v_add_f64 v[50:51], v[54:55], v[50:51]
	v_cndmask_b32_e32 v49, v46, v51, vcc
	v_cndmask_b32_e32 v48, 0, v50, vcc
	v_fma_f64 v[52:53], s[66:67], v[48:49], v[18:19]
	v_fma_f64 v[50:51], s[64:65], v[48:49], v[16:17]
	v_add_f64 v[44:45], v[44:45], -v[52:53]
	v_fmac_f64_e32 v[50:51], s[68:69], v[44:45]
	v_div_scale_f64 v[52:53], s[0:1], v[50:51], v[50:51], 1.0
	v_rcp_f64_e32 v[54:55], v[52:53]
	s_nop 0
	v_fma_f64 v[56:57], -v[52:53], v[54:55], 1.0
	v_fmac_f64_e32 v[54:55], v[54:55], v[56:57]
	v_fma_f64 v[56:57], -v[52:53], v[54:55], 1.0
	v_fmac_f64_e32 v[54:55], v[54:55], v[56:57]
	v_div_scale_f64 v[56:57], vcc, 1.0, v[50:51], 1.0
	v_mul_f64 v[58:59], v[56:57], v[54:55]
	v_fma_f64 v[52:53], -v[52:53], v[58:59], v[56:57]
	s_nop 1
	v_div_fmas_f64 v[52:53], v[52:53], v[54:55], v[58:59]
	v_div_fixup_f64 v[50:51], v[52:53], v[50:51], 1.0
	v_mul_f64 v[44:45], v[44:45], v[50:51]
	v_fma_f64 v[44:45], v[44:45], v[44:45], 1.0
	v_div_scale_f64 v[50:51], s[0:1], v[44:45], v[44:45], 1.0
	v_rcp_f64_e32 v[52:53], v[50:51]
	s_nop 0
	v_fma_f64 v[54:55], -v[50:51], v[52:53], 1.0
	v_fmac_f64_e32 v[52:53], v[52:53], v[54:55]
	v_fma_f64 v[54:55], -v[50:51], v[52:53], 1.0
	v_fmac_f64_e32 v[52:53], v[52:53], v[54:55]
	v_div_scale_f64 v[54:55], vcc, 1.0, v[44:45], 1.0
	v_mul_f64 v[56:57], v[54:55], v[52:53]
	v_fma_f64 v[50:51], -v[50:51], v[56:57], v[54:55]
	s_nop 1
	v_div_fmas_f64 v[50:51], v[50:51], v[52:53], v[56:57]
	v_div_fixup_f64 v[44:45], v[50:51], v[44:45], 1.0
	v_mul_f64 v[44:45], v[48:49], v[44:45]
	v_mul_f64 v[48:49], v[44:45], s[70:71]
	v_rndne_f64_e32 v[48:49], v[48:49]
	v_fma_f64 v[50:51], s[72:73], v[48:49], v[44:45]
	v_fmac_f64_e32 v[50:51], s[74:75], v[48:49]
	v_mul_f64 v[52:53], v[50:51], s[76:77]
	v_fmac_f64_e32 v[52:53], s[78:79], v[50:51]
	v_fma_f64 v[50:51], s[34:35], v[52:53], v[6:7]
	v_fma_f64 v[50:51], v[52:53], v[50:51], s[38:39]
	;; [unrolled: 1-line block ×9, first 2 shown]
	v_fma_f64 v[50:51], v[52:53], v[50:51], 1.0
	v_fma_f64 v[50:51], v[52:53], v[50:51], 1.0
	v_cvt_i32_f64_e32 v4, v[48:49]
	v_ldexp_f64 v[48:49], v[50:51], v4
	v_cmp_nlt_f64_e32 vcc, s[54:55], v[44:45]
	v_cmp_ngt_f64_e64 s[0:1], s[56:57], v[44:45]
	s_nop 0
	v_cndmask_b32_e32 v4, v46, v49, vcc
	s_and_b64 vcc, s[0:1], vcc
	v_cndmask_b32_e32 v44, 0, v48, vcc
	v_cndmask_b32_e64 v45, 0, v4, s[0:1]
	v_mul_f64 v[42:43], v[42:43], v[44:45]
	v_mul_f64 v[40:41], v[40:41], v[42:43]
	global_store_dwordx2 v[38:39], v[40:41], off
	global_load_dwordx2 v[38:39], v[36:37], off
	s_mul_i32 s0, s33, 0xffffffe4
	v_add_u32_e32 v4, s0, v34
	v_lshl_add_u64 v[34:35], v[4:5], 3, s[12:13]
	s_waitcnt vmcnt(0)
	v_mul_f64 v[38:39], v[38:39], v[42:43]
	global_load_dwordx2 v[42:43], v[34:35], off
	v_mad_u64_u32 v[34:35], s[0:1], s33, 36, v[4:5]
	v_mov_b32_e32 v35, v5
	global_store_dwordx2 v[36:37], v[38:39], off
	v_lshlrev_b64 v[36:37], 3, v[34:35]
	v_lshl_add_u64 v[38:39], s[8:9], 0, v[36:37]
	global_load_dwordx2 v[40:41], v[38:39], off
	v_lshl_add_u64 v[36:37], s[10:11], 0, v[36:37]
	s_waitcnt vmcnt(0)
	v_div_scale_f64 v[44:45], s[0:1], v[40:41], v[40:41], 1.0
	v_rcp_f64_e32 v[48:49], v[44:45]
	s_nop 0
	v_fma_f64 v[50:51], -v[44:45], v[48:49], 1.0
	v_fmac_f64_e32 v[48:49], v[48:49], v[50:51]
	v_fma_f64 v[50:51], -v[44:45], v[48:49], 1.0
	v_fmac_f64_e32 v[48:49], v[48:49], v[50:51]
	v_div_scale_f64 v[50:51], vcc, 1.0, v[40:41], 1.0
	v_mul_f64 v[52:53], v[50:51], v[48:49]
	v_fma_f64 v[44:45], -v[44:45], v[52:53], v[50:51]
	s_nop 1
	v_div_fmas_f64 v[44:45], v[44:45], v[48:49], v[52:53]
	v_div_fixup_f64 v[44:45], v[44:45], v[40:41], 1.0
	v_mul_f64 v[44:45], v[12:13], v[44:45]
	v_mul_f64 v[48:49], v[42:43], v[44:45]
	v_fma_f64 v[42:43], v[42:43], v[44:45], 1.0
	v_div_scale_f64 v[44:45], s[0:1], v[42:43], v[42:43], 1.0
	v_rcp_f64_e32 v[50:51], v[44:45]
	s_mov_b32 s0, 0xe0acd3b
	s_mov_b32 s1, 0xbf71485f
	v_fma_f64 v[52:53], -v[44:45], v[50:51], 1.0
	v_fmac_f64_e32 v[50:51], v[50:51], v[52:53]
	v_fma_f64 v[52:53], -v[44:45], v[50:51], 1.0
	v_fmac_f64_e32 v[50:51], v[50:51], v[52:53]
	v_div_scale_f64 v[52:53], vcc, 1.0, v[42:43], 1.0
	v_mul_f64 v[54:55], v[52:53], v[50:51]
	v_fma_f64 v[44:45], -v[44:45], v[54:55], v[52:53]
	s_nop 1
	v_div_fmas_f64 v[44:45], v[44:45], v[50:51], v[54:55]
	v_div_fixup_f64 v[42:43], v[44:45], v[42:43], 1.0
	v_max_f64 v[44:45], v[48:49], s[2:3]
	v_mul_f64 v[42:43], v[48:49], v[42:43]
	v_frexp_mant_f64_e32 v[48:49], v[44:45]
	v_cmp_gt_f64_e32 vcc, s[4:5], v[48:49]
	v_frexp_exp_i32_f64_e32 v4, v[44:45]
	s_nop 0
	v_cndmask_b32_e64 v35, 0, 1, vcc
	v_ldexp_f64 v[48:49], v[48:49], v35
	v_add_f64 v[52:53], v[48:49], 1.0
	v_add_f64 v[54:55], v[52:53], -1.0
	v_add_f64 v[50:51], v[48:49], -1.0
	v_add_f64 v[48:49], v[48:49], -v[54:55]
	v_rcp_f64_e32 v[54:55], v[52:53]
	v_subbrev_co_u32_e32 v4, vcc, 0, v4, vcc
	v_cmp_neq_f64_e32 vcc, s[36:37], v[44:45]
	v_fma_f64 v[56:57], -v[52:53], v[54:55], 1.0
	v_fmac_f64_e32 v[54:55], v[56:57], v[54:55]
	v_fma_f64 v[56:57], -v[52:53], v[54:55], 1.0
	v_fmac_f64_e32 v[54:55], v[56:57], v[54:55]
	v_mul_f64 v[56:57], v[50:51], v[54:55]
	v_mul_f64 v[58:59], v[52:53], v[56:57]
	v_fma_f64 v[52:53], v[56:57], v[52:53], -v[58:59]
	v_fmac_f64_e32 v[52:53], v[56:57], v[48:49]
	v_add_f64 v[48:49], v[58:59], v[52:53]
	v_add_f64 v[60:61], v[50:51], -v[48:49]
	v_add_f64 v[58:59], v[48:49], -v[58:59]
	;; [unrolled: 1-line block ×5, first 2 shown]
	v_add_f64 v[48:49], v[50:51], v[48:49]
	v_add_f64 v[48:49], v[60:61], v[48:49]
	v_mul_f64 v[48:49], v[54:55], v[48:49]
	v_add_f64 v[50:51], v[56:57], v[48:49]
	v_add_f64 v[52:53], v[50:51], -v[56:57]
	v_add_f64 v[48:49], v[48:49], -v[52:53]
	v_mul_f64 v[52:53], v[50:51], v[50:51]
	v_fma_f64 v[54:55], s[6:7], v[52:53], v[0:1]
	v_fma_f64 v[54:55], v[52:53], v[54:55], s[14:15]
	;; [unrolled: 1-line block ×6, first 2 shown]
	v_ldexp_f64 v[56:57], v[50:51], 1
	v_mul_f64 v[50:51], v[50:51], v[52:53]
	v_mul_f64 v[50:51], v[50:51], v[54:55]
	v_add_f64 v[52:53], v[56:57], v[50:51]
	v_add_f64 v[54:55], v[52:53], -v[56:57]
	v_ldexp_f64 v[48:49], v[48:49], 1
	v_add_f64 v[50:51], v[50:51], -v[54:55]
	v_add_f64 v[48:49], v[48:49], v[50:51]
	v_add_f64 v[50:51], v[52:53], v[48:49]
	v_add_f64 v[52:53], v[50:51], -v[52:53]
	v_add_f64 v[48:49], v[48:49], -v[52:53]
	v_cvt_f64_i32_e32 v[52:53], v4
	v_mul_f64 v[54:55], v[52:53], s[24:25]
	v_fma_f64 v[56:57], v[52:53], s[24:25], -v[54:55]
	v_fmac_f64_e32 v[56:57], s[26:27], v[52:53]
	v_add_f64 v[52:53], v[54:55], v[56:57]
	v_add_f64 v[54:55], v[52:53], -v[54:55]
	v_add_f64 v[54:55], v[56:57], -v[54:55]
	v_mul_f64 v[56:57], v[50:51], s[28:29]
	v_fma_f64 v[58:59], v[50:51], s[28:29], -v[56:57]
	v_fmac_f64_e32 v[58:59], s[28:29], v[48:49]
	v_fmac_f64_e32 v[58:59], s[30:31], v[50:51]
	v_add_f64 v[48:49], v[56:57], v[58:59]
	v_add_f64 v[50:51], v[48:49], -v[56:57]
	v_add_f64 v[56:57], v[52:53], v[48:49]
	v_add_f64 v[50:51], v[58:59], -v[50:51]
	v_add_f64 v[58:59], v[56:57], -v[52:53]
	;; [unrolled: 1-line block ×5, first 2 shown]
	v_add_f64 v[48:49], v[48:49], v[52:53]
	v_add_f64 v[52:53], v[54:55], v[50:51]
	v_add_f64 v[58:59], v[52:53], -v[54:55]
	v_add_f64 v[60:61], v[52:53], -v[58:59]
	v_add_f64 v[48:49], v[52:53], v[48:49]
	v_add_f64 v[54:55], v[54:55], -v[60:61]
	v_add_f64 v[50:51], v[50:51], -v[58:59]
	v_add_f64 v[52:53], v[56:57], v[48:49]
	v_add_f64 v[50:51], v[50:51], v[54:55]
	v_add_f64 v[54:55], v[52:53], -v[56:57]
	v_add_f64 v[48:49], v[48:49], -v[54:55]
	v_add_f64 v[48:49], v[50:51], v[48:49]
	v_add_f64 v[48:49], v[52:53], v[48:49]
	v_cndmask_b32_e32 v45, v46, v49, vcc
	v_cndmask_b32_e32 v44, 0, v48, vcc
	v_mul_f64 v[48:49], v[2:3], s[0:1]
	v_mul_f64 v[50:51], v[48:49], s[62:63]
	v_rndne_f64_e32 v[50:51], v[50:51]
	v_fma_f64 v[52:53], s[58:59], v[50:51], v[48:49]
	v_fmac_f64_e32 v[52:53], s[60:61], v[50:51]
	v_fma_f64 v[54:55], s[34:35], v[52:53], v[6:7]
	v_fma_f64 v[54:55], v[52:53], v[54:55], s[38:39]
	;; [unrolled: 1-line block ×9, first 2 shown]
	v_fma_f64 v[54:55], v[52:53], v[54:55], 1.0
	v_fma_f64 v[52:53], v[52:53], v[54:55], 1.0
	v_cvt_i32_f64_e32 v4, v[50:51]
	s_mov_b32 s0, 0x2fec56d6
	v_ldexp_f64 v[50:51], v[52:53], v4
	s_mov_b32 s1, 0x3fdb27bb
	v_mul_f64 v[50:51], v[50:51], s[0:1]
	v_cmp_nlt_f64_e32 vcc, s[54:55], v[48:49]
	v_cmp_ngt_f64_e64 s[0:1], s[56:57], v[48:49]
	s_nop 0
	v_cndmask_b32_e32 v4, v46, v51, vcc
	s_and_b64 vcc, s[0:1], vcc
	v_cndmask_b32_e64 v49, 0, v4, s[0:1]
	s_mov_b32 s0, 0x91aa75c6
	s_mov_b32 s1, 0xbf43d5d9
	v_cndmask_b32_e32 v48, 0, v50, vcc
	v_mul_f64 v[50:51], v[2:3], s[0:1]
	v_mul_f64 v[52:53], v[50:51], s[62:63]
	v_rndne_f64_e32 v[52:53], v[52:53]
	v_fma_f64 v[54:55], s[58:59], v[52:53], v[50:51]
	v_fmac_f64_e32 v[54:55], s[60:61], v[52:53]
	v_fma_f64 v[56:57], s[34:35], v[54:55], v[6:7]
	v_fma_f64 v[56:57], v[54:55], v[56:57], s[38:39]
	;; [unrolled: 1-line block ×9, first 2 shown]
	v_fma_f64 v[56:57], v[54:55], v[56:57], 1.0
	v_fma_f64 v[54:55], v[54:55], v[56:57], 1.0
	v_cvt_i32_f64_e32 v4, v[52:53]
	s_mov_b32 s0, 0x6809d495
	v_ldexp_f64 v[52:53], v[54:55], v4
	s_mov_b32 s1, 0x3fe26c22
	v_mul_f64 v[52:53], v[52:53], s[0:1]
	v_cmp_nlt_f64_e32 vcc, s[54:55], v[50:51]
	v_cmp_ngt_f64_e64 s[0:1], s[56:57], v[50:51]
	s_nop 0
	v_cndmask_b32_e32 v4, v46, v53, vcc
	s_and_b64 vcc, s[0:1], vcc
	v_cndmask_b32_e64 v51, 0, v4, s[0:1]
	s_mov_b32 s0, 0
	v_cndmask_b32_e32 v50, 0, v52, vcc
	s_mov_b32 s1, 0xc0b3cd00
	v_add_f64 v[48:49], v[48:49], v[50:51]
	v_mul_f64 v[50:51], v[20:21], s[0:1]
	v_mul_f64 v[52:53], v[50:51], s[62:63]
	v_rndne_f64_e32 v[52:53], v[52:53]
	v_fma_f64 v[54:55], s[58:59], v[52:53], v[50:51]
	v_fmac_f64_e32 v[54:55], s[60:61], v[52:53]
	v_fma_f64 v[56:57], s[34:35], v[54:55], v[6:7]
	v_fma_f64 v[56:57], v[54:55], v[56:57], s[38:39]
	;; [unrolled: 1-line block ×9, first 2 shown]
	v_fma_f64 v[56:57], v[54:55], v[56:57], 1.0
	v_fma_f64 v[54:55], v[54:55], v[56:57], 1.0
	v_cvt_i32_f64_e32 v4, v[52:53]
	v_ldexp_f64 v[52:53], v[54:55], v4
	v_cmp_nlt_f64_e32 vcc, s[54:55], v[50:51]
	v_cmp_ngt_f64_e64 s[0:1], s[56:57], v[50:51]
	s_nop 0
	v_cndmask_b32_e32 v4, v46, v53, vcc
	s_and_b64 vcc, s[0:1], vcc
	v_cndmask_b32_e32 v50, 0, v52, vcc
	v_cndmask_b32_e64 v51, 0, v4, s[0:1]
	v_add_f64 v[48:49], v[50:51], v[48:49]
	v_max_f64 v[48:49], v[48:49], s[2:3]
	v_frexp_mant_f64_e32 v[50:51], v[48:49]
	v_cmp_gt_f64_e32 vcc, s[4:5], v[50:51]
	v_frexp_exp_i32_f64_e32 v4, v[48:49]
	s_nop 0
	v_cndmask_b32_e64 v35, 0, 1, vcc
	v_ldexp_f64 v[50:51], v[50:51], v35
	v_add_f64 v[54:55], v[50:51], 1.0
	v_add_f64 v[56:57], v[54:55], -1.0
	v_add_f64 v[52:53], v[50:51], -1.0
	v_add_f64 v[50:51], v[50:51], -v[56:57]
	v_rcp_f64_e32 v[56:57], v[54:55]
	v_subbrev_co_u32_e32 v4, vcc, 0, v4, vcc
	v_cmp_neq_f64_e32 vcc, s[36:37], v[48:49]
	v_fma_f64 v[58:59], -v[54:55], v[56:57], 1.0
	v_fmac_f64_e32 v[56:57], v[58:59], v[56:57]
	v_fma_f64 v[58:59], -v[54:55], v[56:57], 1.0
	v_fmac_f64_e32 v[56:57], v[58:59], v[56:57]
	v_mul_f64 v[58:59], v[52:53], v[56:57]
	v_mul_f64 v[60:61], v[54:55], v[58:59]
	v_fma_f64 v[54:55], v[58:59], v[54:55], -v[60:61]
	v_fmac_f64_e32 v[54:55], v[58:59], v[50:51]
	v_add_f64 v[50:51], v[60:61], v[54:55]
	v_add_f64 v[62:63], v[52:53], -v[50:51]
	v_add_f64 v[60:61], v[50:51], -v[60:61]
	;; [unrolled: 1-line block ×5, first 2 shown]
	v_add_f64 v[50:51], v[52:53], v[50:51]
	v_add_f64 v[50:51], v[62:63], v[50:51]
	v_mul_f64 v[50:51], v[56:57], v[50:51]
	v_add_f64 v[52:53], v[58:59], v[50:51]
	v_add_f64 v[54:55], v[52:53], -v[58:59]
	v_add_f64 v[50:51], v[50:51], -v[54:55]
	v_mul_f64 v[54:55], v[52:53], v[52:53]
	v_fma_f64 v[56:57], s[6:7], v[54:55], v[0:1]
	v_fma_f64 v[56:57], v[54:55], v[56:57], s[14:15]
	;; [unrolled: 1-line block ×6, first 2 shown]
	v_ldexp_f64 v[58:59], v[52:53], 1
	v_mul_f64 v[52:53], v[52:53], v[54:55]
	v_mul_f64 v[52:53], v[52:53], v[56:57]
	v_add_f64 v[54:55], v[58:59], v[52:53]
	v_add_f64 v[56:57], v[54:55], -v[58:59]
	v_ldexp_f64 v[50:51], v[50:51], 1
	v_add_f64 v[52:53], v[52:53], -v[56:57]
	v_add_f64 v[50:51], v[50:51], v[52:53]
	v_add_f64 v[52:53], v[54:55], v[50:51]
	v_add_f64 v[54:55], v[52:53], -v[54:55]
	v_add_f64 v[50:51], v[50:51], -v[54:55]
	v_cvt_f64_i32_e32 v[54:55], v4
	v_mul_f64 v[56:57], v[54:55], s[24:25]
	v_fma_f64 v[58:59], v[54:55], s[24:25], -v[56:57]
	v_fmac_f64_e32 v[58:59], s[26:27], v[54:55]
	v_add_f64 v[54:55], v[56:57], v[58:59]
	v_add_f64 v[56:57], v[54:55], -v[56:57]
	v_add_f64 v[56:57], v[58:59], -v[56:57]
	v_mul_f64 v[58:59], v[52:53], s[28:29]
	v_fma_f64 v[60:61], v[52:53], s[28:29], -v[58:59]
	v_fmac_f64_e32 v[60:61], s[28:29], v[50:51]
	v_fmac_f64_e32 v[60:61], s[30:31], v[52:53]
	v_add_f64 v[50:51], v[58:59], v[60:61]
	v_add_f64 v[52:53], v[50:51], -v[58:59]
	v_add_f64 v[58:59], v[54:55], v[50:51]
	v_add_f64 v[52:53], v[60:61], -v[52:53]
	v_add_f64 v[60:61], v[58:59], -v[54:55]
	;; [unrolled: 1-line block ×5, first 2 shown]
	v_add_f64 v[50:51], v[50:51], v[54:55]
	v_add_f64 v[54:55], v[56:57], v[52:53]
	v_add_f64 v[60:61], v[54:55], -v[56:57]
	v_add_f64 v[62:63], v[54:55], -v[60:61]
	v_add_f64 v[50:51], v[54:55], v[50:51]
	v_add_f64 v[56:57], v[56:57], -v[62:63]
	v_add_f64 v[52:53], v[52:53], -v[60:61]
	v_add_f64 v[54:55], v[58:59], v[50:51]
	v_add_f64 v[52:53], v[52:53], v[56:57]
	v_add_f64 v[56:57], v[54:55], -v[58:59]
	v_add_f64 v[50:51], v[50:51], -v[56:57]
	v_add_f64 v[50:51], v[52:53], v[50:51]
	v_add_f64 v[50:51], v[54:55], v[50:51]
	v_cndmask_b32_e32 v49, v46, v51, vcc
	v_cndmask_b32_e32 v48, 0, v50, vcc
	v_fma_f64 v[52:53], s[66:67], v[48:49], v[18:19]
	v_fma_f64 v[50:51], s[64:65], v[48:49], v[16:17]
	v_add_f64 v[44:45], v[44:45], -v[52:53]
	v_fmac_f64_e32 v[50:51], s[68:69], v[44:45]
	v_div_scale_f64 v[52:53], s[0:1], v[50:51], v[50:51], 1.0
	v_rcp_f64_e32 v[54:55], v[52:53]
	s_nop 0
	v_fma_f64 v[56:57], -v[52:53], v[54:55], 1.0
	v_fmac_f64_e32 v[54:55], v[54:55], v[56:57]
	v_fma_f64 v[56:57], -v[52:53], v[54:55], 1.0
	v_fmac_f64_e32 v[54:55], v[54:55], v[56:57]
	v_div_scale_f64 v[56:57], vcc, 1.0, v[50:51], 1.0
	v_mul_f64 v[58:59], v[56:57], v[54:55]
	v_fma_f64 v[52:53], -v[52:53], v[58:59], v[56:57]
	s_nop 1
	v_div_fmas_f64 v[52:53], v[52:53], v[54:55], v[58:59]
	v_div_fixup_f64 v[50:51], v[52:53], v[50:51], 1.0
	v_mul_f64 v[44:45], v[44:45], v[50:51]
	v_fma_f64 v[44:45], v[44:45], v[44:45], 1.0
	v_div_scale_f64 v[50:51], s[0:1], v[44:45], v[44:45], 1.0
	v_rcp_f64_e32 v[52:53], v[50:51]
	s_nop 0
	v_fma_f64 v[54:55], -v[50:51], v[52:53], 1.0
	v_fmac_f64_e32 v[52:53], v[52:53], v[54:55]
	v_fma_f64 v[54:55], -v[50:51], v[52:53], 1.0
	v_fmac_f64_e32 v[52:53], v[52:53], v[54:55]
	v_div_scale_f64 v[54:55], vcc, 1.0, v[44:45], 1.0
	v_mul_f64 v[56:57], v[54:55], v[52:53]
	v_fma_f64 v[50:51], -v[50:51], v[56:57], v[54:55]
	s_nop 1
	v_div_fmas_f64 v[50:51], v[50:51], v[52:53], v[56:57]
	v_div_fixup_f64 v[44:45], v[50:51], v[44:45], 1.0
	v_mul_f64 v[44:45], v[48:49], v[44:45]
	v_mul_f64 v[48:49], v[44:45], s[70:71]
	v_rndne_f64_e32 v[48:49], v[48:49]
	v_fma_f64 v[50:51], s[72:73], v[48:49], v[44:45]
	v_fmac_f64_e32 v[50:51], s[74:75], v[48:49]
	v_mul_f64 v[52:53], v[50:51], s[76:77]
	v_fmac_f64_e32 v[52:53], s[78:79], v[50:51]
	v_fma_f64 v[50:51], s[34:35], v[52:53], v[6:7]
	v_fma_f64 v[50:51], v[52:53], v[50:51], s[38:39]
	;; [unrolled: 1-line block ×9, first 2 shown]
	v_fma_f64 v[50:51], v[52:53], v[50:51], 1.0
	v_fma_f64 v[50:51], v[52:53], v[50:51], 1.0
	v_cvt_i32_f64_e32 v4, v[48:49]
	v_ldexp_f64 v[48:49], v[50:51], v4
	v_cmp_nlt_f64_e32 vcc, s[54:55], v[44:45]
	v_cmp_ngt_f64_e64 s[0:1], s[56:57], v[44:45]
	s_nop 0
	v_cndmask_b32_e32 v4, v46, v49, vcc
	s_and_b64 vcc, s[0:1], vcc
	v_cndmask_b32_e32 v44, 0, v48, vcc
	v_cndmask_b32_e64 v45, 0, v4, s[0:1]
	v_mul_f64 v[42:43], v[42:43], v[44:45]
	v_mul_f64 v[40:41], v[40:41], v[42:43]
	global_store_dwordx2 v[38:39], v[40:41], off
	global_load_dwordx2 v[38:39], v[36:37], off
	v_lshl_add_u32 v4, s33, 1, v34
	s_waitcnt vmcnt(0)
	v_mul_f64 v[38:39], v[38:39], v[42:43]
	global_store_dwordx2 v[36:37], v[38:39], off
	global_load_dwordx2 v[38:39], v[32:33], off
	v_lshlrev_b64 v[32:33], 3, v[4:5]
	v_lshl_add_u64 v[34:35], s[8:9], 0, v[32:33]
	global_load_dwordx2 v[36:37], v[34:35], off
	v_lshl_add_u64 v[32:33], s[10:11], 0, v[32:33]
	s_waitcnt vmcnt(0)
	v_div_scale_f64 v[40:41], s[0:1], v[36:37], v[36:37], 1.0
	v_rcp_f64_e32 v[42:43], v[40:41]
	s_nop 0
	v_fma_f64 v[44:45], -v[40:41], v[42:43], 1.0
	v_fmac_f64_e32 v[42:43], v[42:43], v[44:45]
	v_fma_f64 v[44:45], -v[40:41], v[42:43], 1.0
	v_fmac_f64_e32 v[42:43], v[42:43], v[44:45]
	v_div_scale_f64 v[44:45], vcc, 1.0, v[36:37], 1.0
	v_mul_f64 v[48:49], v[44:45], v[42:43]
	v_fma_f64 v[40:41], -v[40:41], v[48:49], v[44:45]
	s_nop 1
	v_div_fmas_f64 v[40:41], v[40:41], v[42:43], v[48:49]
	v_div_fixup_f64 v[40:41], v[40:41], v[36:37], 1.0
	v_mul_f64 v[40:41], v[12:13], v[40:41]
	v_mul_f64 v[42:43], v[38:39], v[40:41]
	v_fma_f64 v[38:39], v[38:39], v[40:41], 1.0
	v_div_scale_f64 v[40:41], s[0:1], v[38:39], v[38:39], 1.0
	v_rcp_f64_e32 v[44:45], v[40:41]
	s_mov_b32 s0, 0x79dc1a73
	s_mov_b32 s1, 0xbf6e3a91
	v_fma_f64 v[48:49], -v[40:41], v[44:45], 1.0
	v_fmac_f64_e32 v[44:45], v[44:45], v[48:49]
	v_fma_f64 v[48:49], -v[40:41], v[44:45], 1.0
	v_fmac_f64_e32 v[44:45], v[44:45], v[48:49]
	v_div_scale_f64 v[48:49], vcc, 1.0, v[38:39], 1.0
	v_mul_f64 v[50:51], v[48:49], v[44:45]
	v_fma_f64 v[40:41], -v[40:41], v[50:51], v[48:49]
	s_nop 1
	v_div_fmas_f64 v[40:41], v[40:41], v[44:45], v[50:51]
	v_div_fixup_f64 v[38:39], v[40:41], v[38:39], 1.0
	v_max_f64 v[40:41], v[42:43], s[2:3]
	v_mul_f64 v[38:39], v[42:43], v[38:39]
	v_frexp_mant_f64_e32 v[42:43], v[40:41]
	v_cmp_gt_f64_e32 vcc, s[4:5], v[42:43]
	v_frexp_exp_i32_f64_e32 v44, v[40:41]
	s_nop 0
	v_cndmask_b32_e64 v45, 0, 1, vcc
	v_ldexp_f64 v[42:43], v[42:43], v45
	v_add_f64 v[48:49], v[42:43], 1.0
	v_add_f64 v[50:51], v[48:49], -1.0
	v_subbrev_co_u32_e32 v47, vcc, 0, v44, vcc
	v_add_f64 v[44:45], v[42:43], -1.0
	v_add_f64 v[42:43], v[42:43], -v[50:51]
	v_rcp_f64_e32 v[50:51], v[48:49]
	v_cmp_neq_f64_e32 vcc, s[36:37], v[40:41]
	v_fma_f64 v[52:53], -v[48:49], v[50:51], 1.0
	v_fmac_f64_e32 v[50:51], v[52:53], v[50:51]
	v_fma_f64 v[52:53], -v[48:49], v[50:51], 1.0
	v_fmac_f64_e32 v[50:51], v[52:53], v[50:51]
	v_mul_f64 v[52:53], v[44:45], v[50:51]
	v_mul_f64 v[54:55], v[48:49], v[52:53]
	v_fma_f64 v[48:49], v[52:53], v[48:49], -v[54:55]
	v_fmac_f64_e32 v[48:49], v[52:53], v[42:43]
	v_add_f64 v[42:43], v[54:55], v[48:49]
	v_add_f64 v[56:57], v[44:45], -v[42:43]
	v_add_f64 v[54:55], v[42:43], -v[54:55]
	;; [unrolled: 1-line block ×5, first 2 shown]
	v_add_f64 v[42:43], v[44:45], v[42:43]
	v_add_f64 v[42:43], v[56:57], v[42:43]
	v_mul_f64 v[42:43], v[50:51], v[42:43]
	v_add_f64 v[44:45], v[52:53], v[42:43]
	v_add_f64 v[48:49], v[44:45], -v[52:53]
	v_add_f64 v[42:43], v[42:43], -v[48:49]
	v_mul_f64 v[48:49], v[44:45], v[44:45]
	v_fma_f64 v[50:51], s[6:7], v[48:49], v[0:1]
	v_fma_f64 v[50:51], v[48:49], v[50:51], s[14:15]
	;; [unrolled: 1-line block ×6, first 2 shown]
	v_ldexp_f64 v[52:53], v[44:45], 1
	v_mul_f64 v[44:45], v[44:45], v[48:49]
	v_mul_f64 v[44:45], v[44:45], v[50:51]
	v_add_f64 v[48:49], v[52:53], v[44:45]
	v_add_f64 v[50:51], v[48:49], -v[52:53]
	v_ldexp_f64 v[42:43], v[42:43], 1
	v_add_f64 v[44:45], v[44:45], -v[50:51]
	v_add_f64 v[42:43], v[42:43], v[44:45]
	v_add_f64 v[44:45], v[48:49], v[42:43]
	v_add_f64 v[48:49], v[44:45], -v[48:49]
	v_add_f64 v[42:43], v[42:43], -v[48:49]
	v_cvt_f64_i32_e32 v[48:49], v47
	v_mul_f64 v[50:51], v[48:49], s[24:25]
	v_fma_f64 v[52:53], v[48:49], s[24:25], -v[50:51]
	v_fmac_f64_e32 v[52:53], s[26:27], v[48:49]
	v_add_f64 v[48:49], v[50:51], v[52:53]
	v_add_f64 v[50:51], v[48:49], -v[50:51]
	v_add_f64 v[50:51], v[52:53], -v[50:51]
	v_mul_f64 v[52:53], v[44:45], s[28:29]
	v_fma_f64 v[54:55], v[44:45], s[28:29], -v[52:53]
	v_fmac_f64_e32 v[54:55], s[28:29], v[42:43]
	v_fmac_f64_e32 v[54:55], s[30:31], v[44:45]
	v_add_f64 v[42:43], v[52:53], v[54:55]
	v_add_f64 v[44:45], v[42:43], -v[52:53]
	v_add_f64 v[52:53], v[48:49], v[42:43]
	v_add_f64 v[44:45], v[54:55], -v[44:45]
	v_add_f64 v[54:55], v[52:53], -v[48:49]
	;; [unrolled: 1-line block ×5, first 2 shown]
	v_add_f64 v[42:43], v[42:43], v[48:49]
	v_add_f64 v[48:49], v[50:51], v[44:45]
	v_add_f64 v[54:55], v[48:49], -v[50:51]
	v_add_f64 v[56:57], v[48:49], -v[54:55]
	v_add_f64 v[42:43], v[48:49], v[42:43]
	v_add_f64 v[50:51], v[50:51], -v[56:57]
	v_add_f64 v[44:45], v[44:45], -v[54:55]
	v_add_f64 v[48:49], v[52:53], v[42:43]
	v_add_f64 v[44:45], v[44:45], v[50:51]
	v_add_f64 v[50:51], v[48:49], -v[52:53]
	v_add_f64 v[42:43], v[42:43], -v[50:51]
	v_add_f64 v[42:43], v[44:45], v[42:43]
	v_add_f64 v[42:43], v[48:49], v[42:43]
	v_cndmask_b32_e32 v41, v46, v43, vcc
	v_cndmask_b32_e32 v40, 0, v42, vcc
	v_mul_f64 v[42:43], v[2:3], s[0:1]
	v_mul_f64 v[44:45], v[42:43], s[62:63]
	v_rndne_f64_e32 v[44:45], v[44:45]
	v_fma_f64 v[48:49], s[58:59], v[44:45], v[42:43]
	v_fmac_f64_e32 v[48:49], s[60:61], v[44:45]
	v_fma_f64 v[50:51], s[34:35], v[48:49], v[6:7]
	v_fma_f64 v[50:51], v[48:49], v[50:51], s[38:39]
	;; [unrolled: 1-line block ×9, first 2 shown]
	v_fma_f64 v[50:51], v[48:49], v[50:51], 1.0
	v_fma_f64 v[48:49], v[48:49], v[50:51], 1.0
	v_cvt_i32_f64_e32 v44, v[44:45]
	s_mov_b32 s0, 0x19ce075f
	v_ldexp_f64 v[44:45], v[48:49], v44
	s_mov_b32 s1, 0x3fcbda51
	v_mul_f64 v[44:45], v[44:45], s[0:1]
	v_cmp_nlt_f64_e32 vcc, s[54:55], v[42:43]
	v_cmp_ngt_f64_e64 s[0:1], s[56:57], v[42:43]
	s_nop 0
	v_cndmask_b32_e32 v45, v46, v45, vcc
	s_and_b64 vcc, s[0:1], vcc
	v_cndmask_b32_e64 v43, 0, v45, s[0:1]
	s_mov_b32 s0, 0xcb978e43
	s_mov_b32 s1, 0xbf37c9bb
	v_cndmask_b32_e32 v42, 0, v44, vcc
	v_mul_f64 v[44:45], v[2:3], s[0:1]
	v_mul_f64 v[48:49], v[44:45], s[62:63]
	v_rndne_f64_e32 v[48:49], v[48:49]
	v_fma_f64 v[50:51], s[58:59], v[48:49], v[44:45]
	v_fmac_f64_e32 v[50:51], s[60:61], v[48:49]
	v_fma_f64 v[52:53], s[34:35], v[50:51], v[6:7]
	v_fma_f64 v[52:53], v[50:51], v[52:53], s[38:39]
	;; [unrolled: 1-line block ×9, first 2 shown]
	v_fma_f64 v[52:53], v[50:51], v[52:53], 1.0
	v_fma_f64 v[50:51], v[50:51], v[52:53], 1.0
	v_cvt_i32_f64_e32 v47, v[48:49]
	s_mov_b32 s0, 0xb98c7e28
	v_ldexp_f64 v[48:49], v[50:51], v47
	s_mov_b32 s1, 0x3fe9096b
	v_mul_f64 v[48:49], v[48:49], s[0:1]
	v_cmp_nlt_f64_e32 vcc, s[54:55], v[44:45]
	v_cmp_ngt_f64_e64 s[0:1], s[56:57], v[44:45]
	s_nop 0
	v_cndmask_b32_e32 v47, v46, v49, vcc
	s_and_b64 vcc, s[0:1], vcc
	v_cndmask_b32_e64 v45, 0, v47, s[0:1]
	s_mov_b32 s0, 0
	v_cndmask_b32_e32 v44, 0, v48, vcc
	s_mov_b32 s1, 0xc0b9aa00
	v_add_f64 v[42:43], v[42:43], v[44:45]
	v_mul_f64 v[44:45], v[20:21], s[0:1]
	v_mul_f64 v[48:49], v[44:45], s[62:63]
	v_rndne_f64_e32 v[48:49], v[48:49]
	v_fma_f64 v[50:51], s[58:59], v[48:49], v[44:45]
	v_fmac_f64_e32 v[50:51], s[60:61], v[48:49]
	v_fma_f64 v[52:53], s[34:35], v[50:51], v[6:7]
	v_fma_f64 v[52:53], v[50:51], v[52:53], s[38:39]
	;; [unrolled: 1-line block ×9, first 2 shown]
	v_fma_f64 v[52:53], v[50:51], v[52:53], 1.0
	v_fma_f64 v[50:51], v[50:51], v[52:53], 1.0
	v_cvt_i32_f64_e32 v47, v[48:49]
	v_ldexp_f64 v[48:49], v[50:51], v47
	v_cmp_nlt_f64_e32 vcc, s[54:55], v[44:45]
	v_cmp_ngt_f64_e64 s[0:1], s[56:57], v[44:45]
	s_nop 0
	v_cndmask_b32_e32 v47, v46, v49, vcc
	s_and_b64 vcc, s[0:1], vcc
	v_cndmask_b32_e32 v44, 0, v48, vcc
	v_cndmask_b32_e64 v45, 0, v47, s[0:1]
	v_add_f64 v[42:43], v[44:45], v[42:43]
	v_max_f64 v[42:43], v[42:43], s[2:3]
	v_frexp_mant_f64_e32 v[44:45], v[42:43]
	v_cmp_gt_f64_e32 vcc, s[4:5], v[44:45]
	v_frexp_exp_i32_f64_e32 v47, v[42:43]
	s_nop 0
	v_cndmask_b32_e64 v48, 0, 1, vcc
	v_ldexp_f64 v[44:45], v[44:45], v48
	v_add_f64 v[50:51], v[44:45], 1.0
	v_add_f64 v[52:53], v[50:51], -1.0
	v_add_f64 v[48:49], v[44:45], -1.0
	v_add_f64 v[44:45], v[44:45], -v[52:53]
	v_rcp_f64_e32 v[52:53], v[50:51]
	v_subbrev_co_u32_e32 v47, vcc, 0, v47, vcc
	v_cmp_neq_f64_e32 vcc, s[36:37], v[42:43]
	v_fma_f64 v[54:55], -v[50:51], v[52:53], 1.0
	v_fmac_f64_e32 v[52:53], v[54:55], v[52:53]
	v_fma_f64 v[54:55], -v[50:51], v[52:53], 1.0
	v_fmac_f64_e32 v[52:53], v[54:55], v[52:53]
	v_mul_f64 v[54:55], v[48:49], v[52:53]
	v_mul_f64 v[56:57], v[50:51], v[54:55]
	v_fma_f64 v[50:51], v[54:55], v[50:51], -v[56:57]
	v_fmac_f64_e32 v[50:51], v[54:55], v[44:45]
	v_add_f64 v[44:45], v[56:57], v[50:51]
	v_add_f64 v[58:59], v[48:49], -v[44:45]
	v_add_f64 v[56:57], v[44:45], -v[56:57]
	;; [unrolled: 1-line block ×5, first 2 shown]
	v_add_f64 v[44:45], v[48:49], v[44:45]
	v_add_f64 v[44:45], v[58:59], v[44:45]
	v_mul_f64 v[44:45], v[52:53], v[44:45]
	v_add_f64 v[48:49], v[54:55], v[44:45]
	v_add_f64 v[50:51], v[48:49], -v[54:55]
	v_add_f64 v[44:45], v[44:45], -v[50:51]
	v_mul_f64 v[50:51], v[48:49], v[48:49]
	v_fma_f64 v[52:53], s[6:7], v[50:51], v[0:1]
	v_fma_f64 v[52:53], v[50:51], v[52:53], s[14:15]
	;; [unrolled: 1-line block ×6, first 2 shown]
	v_ldexp_f64 v[54:55], v[48:49], 1
	v_mul_f64 v[48:49], v[48:49], v[50:51]
	v_mul_f64 v[48:49], v[48:49], v[52:53]
	v_add_f64 v[50:51], v[54:55], v[48:49]
	v_add_f64 v[52:53], v[50:51], -v[54:55]
	v_ldexp_f64 v[44:45], v[44:45], 1
	v_add_f64 v[48:49], v[48:49], -v[52:53]
	v_add_f64 v[44:45], v[44:45], v[48:49]
	v_add_f64 v[48:49], v[50:51], v[44:45]
	v_add_f64 v[50:51], v[48:49], -v[50:51]
	v_add_f64 v[44:45], v[44:45], -v[50:51]
	v_cvt_f64_i32_e32 v[50:51], v47
	v_mul_f64 v[52:53], v[50:51], s[24:25]
	v_fma_f64 v[54:55], v[50:51], s[24:25], -v[52:53]
	v_fmac_f64_e32 v[54:55], s[26:27], v[50:51]
	v_add_f64 v[50:51], v[52:53], v[54:55]
	v_add_f64 v[52:53], v[50:51], -v[52:53]
	v_add_f64 v[52:53], v[54:55], -v[52:53]
	v_mul_f64 v[54:55], v[48:49], s[28:29]
	v_fma_f64 v[56:57], v[48:49], s[28:29], -v[54:55]
	v_fmac_f64_e32 v[56:57], s[28:29], v[44:45]
	v_fmac_f64_e32 v[56:57], s[30:31], v[48:49]
	v_add_f64 v[44:45], v[54:55], v[56:57]
	v_add_f64 v[48:49], v[44:45], -v[54:55]
	v_add_f64 v[54:55], v[50:51], v[44:45]
	v_add_f64 v[48:49], v[56:57], -v[48:49]
	v_add_f64 v[56:57], v[54:55], -v[50:51]
	;; [unrolled: 1-line block ×5, first 2 shown]
	v_add_f64 v[44:45], v[44:45], v[50:51]
	v_add_f64 v[50:51], v[52:53], v[48:49]
	v_add_f64 v[56:57], v[50:51], -v[52:53]
	v_add_f64 v[58:59], v[50:51], -v[56:57]
	v_add_f64 v[44:45], v[50:51], v[44:45]
	v_add_f64 v[52:53], v[52:53], -v[58:59]
	v_add_f64 v[48:49], v[48:49], -v[56:57]
	v_add_f64 v[50:51], v[54:55], v[44:45]
	v_add_f64 v[48:49], v[48:49], v[52:53]
	v_add_f64 v[52:53], v[50:51], -v[54:55]
	v_add_f64 v[44:45], v[44:45], -v[52:53]
	v_add_f64 v[44:45], v[48:49], v[44:45]
	v_add_f64 v[44:45], v[50:51], v[44:45]
	v_cndmask_b32_e32 v43, v46, v45, vcc
	v_cndmask_b32_e32 v42, 0, v44, vcc
	v_fma_f64 v[48:49], s[66:67], v[42:43], v[18:19]
	v_fma_f64 v[44:45], s[64:65], v[42:43], v[16:17]
	v_add_f64 v[40:41], v[40:41], -v[48:49]
	v_fmac_f64_e32 v[44:45], s[68:69], v[40:41]
	v_div_scale_f64 v[48:49], s[0:1], v[44:45], v[44:45], 1.0
	v_rcp_f64_e32 v[50:51], v[48:49]
	s_nop 0
	v_fma_f64 v[52:53], -v[48:49], v[50:51], 1.0
	v_fmac_f64_e32 v[50:51], v[50:51], v[52:53]
	v_fma_f64 v[52:53], -v[48:49], v[50:51], 1.0
	v_fmac_f64_e32 v[50:51], v[50:51], v[52:53]
	v_div_scale_f64 v[52:53], vcc, 1.0, v[44:45], 1.0
	v_mul_f64 v[54:55], v[52:53], v[50:51]
	v_fma_f64 v[48:49], -v[48:49], v[54:55], v[52:53]
	s_nop 1
	v_div_fmas_f64 v[48:49], v[48:49], v[50:51], v[54:55]
	v_div_fixup_f64 v[44:45], v[48:49], v[44:45], 1.0
	v_mul_f64 v[40:41], v[40:41], v[44:45]
	v_fma_f64 v[40:41], v[40:41], v[40:41], 1.0
	v_div_scale_f64 v[44:45], s[0:1], v[40:41], v[40:41], 1.0
	v_rcp_f64_e32 v[48:49], v[44:45]
	s_nop 0
	v_fma_f64 v[50:51], -v[44:45], v[48:49], 1.0
	v_fmac_f64_e32 v[48:49], v[48:49], v[50:51]
	v_fma_f64 v[50:51], -v[44:45], v[48:49], 1.0
	v_fmac_f64_e32 v[48:49], v[48:49], v[50:51]
	v_div_scale_f64 v[50:51], vcc, 1.0, v[40:41], 1.0
	v_mul_f64 v[52:53], v[50:51], v[48:49]
	v_fma_f64 v[44:45], -v[44:45], v[52:53], v[50:51]
	s_nop 1
	v_div_fmas_f64 v[44:45], v[44:45], v[48:49], v[52:53]
	v_div_fixup_f64 v[40:41], v[44:45], v[40:41], 1.0
	v_mul_f64 v[40:41], v[42:43], v[40:41]
	v_mul_f64 v[42:43], v[40:41], s[70:71]
	v_rndne_f64_e32 v[42:43], v[42:43]
	v_fma_f64 v[44:45], s[72:73], v[42:43], v[40:41]
	v_fmac_f64_e32 v[44:45], s[74:75], v[42:43]
	v_mul_f64 v[48:49], v[44:45], s[76:77]
	v_fmac_f64_e32 v[48:49], s[78:79], v[44:45]
	v_fma_f64 v[44:45], s[34:35], v[48:49], v[6:7]
	v_fma_f64 v[44:45], v[48:49], v[44:45], s[38:39]
	v_fma_f64 v[44:45], v[48:49], v[44:45], s[40:41]
	v_fma_f64 v[44:45], v[48:49], v[44:45], s[42:43]
	v_fma_f64 v[44:45], v[48:49], v[44:45], s[44:45]
	v_fma_f64 v[44:45], v[48:49], v[44:45], s[46:47]
	v_fma_f64 v[44:45], v[48:49], v[44:45], s[48:49]
	v_fma_f64 v[44:45], v[48:49], v[44:45], s[50:51]
	v_fma_f64 v[44:45], v[48:49], v[44:45], s[52:53]
	v_fma_f64 v[44:45], v[48:49], v[44:45], 1.0
	v_fma_f64 v[44:45], v[48:49], v[44:45], 1.0
	v_cvt_i32_f64_e32 v42, v[42:43]
	v_ldexp_f64 v[42:43], v[44:45], v42
	v_cmp_nlt_f64_e32 vcc, s[54:55], v[40:41]
	v_cmp_ngt_f64_e64 s[0:1], s[56:57], v[40:41]
	s_nop 0
	v_cndmask_b32_e32 v43, v46, v43, vcc
	s_and_b64 vcc, s[0:1], vcc
	v_cndmask_b32_e32 v40, 0, v42, vcc
	v_cndmask_b32_e64 v41, 0, v43, s[0:1]
	v_mul_f64 v[38:39], v[38:39], v[40:41]
	v_mul_f64 v[36:37], v[36:37], v[38:39]
	global_store_dwordx2 v[34:35], v[36:37], off
	global_load_dwordx2 v[34:35], v[32:33], off
	s_mul_i32 s0, s33, 0xffffffdc
	v_add_u32_e32 v4, s0, v4
	s_waitcnt vmcnt(0)
	v_mul_f64 v[34:35], v[34:35], v[38:39]
	global_store_dwordx2 v[32:33], v[34:35], off
	v_lshl_add_u64 v[32:33], v[4:5], 3, s[12:13]
	global_load_dwordx2 v[40:41], v[32:33], off
	v_mad_u64_u32 v[32:33], s[0:1], s33, 43, v[4:5]
	v_mov_b32_e32 v33, v5
	v_lshlrev_b64 v[34:35], 3, v[32:33]
	v_lshl_add_u64 v[36:37], s[8:9], 0, v[34:35]
	global_load_dwordx2 v[38:39], v[36:37], off
	v_lshl_add_u64 v[34:35], s[10:11], 0, v[34:35]
	s_waitcnt vmcnt(0)
	v_div_scale_f64 v[42:43], s[0:1], v[38:39], v[38:39], 1.0
	v_rcp_f64_e32 v[44:45], v[42:43]
	s_nop 0
	v_fma_f64 v[48:49], -v[42:43], v[44:45], 1.0
	v_fmac_f64_e32 v[44:45], v[44:45], v[48:49]
	v_fma_f64 v[48:49], -v[42:43], v[44:45], 1.0
	v_fmac_f64_e32 v[44:45], v[44:45], v[48:49]
	v_div_scale_f64 v[48:49], vcc, 1.0, v[38:39], 1.0
	v_mul_f64 v[50:51], v[48:49], v[44:45]
	v_fma_f64 v[42:43], -v[42:43], v[50:51], v[48:49]
	s_nop 1
	v_div_fmas_f64 v[42:43], v[42:43], v[44:45], v[50:51]
	v_div_fixup_f64 v[42:43], v[42:43], v[38:39], 1.0
	v_mul_f64 v[42:43], v[12:13], v[42:43]
	v_mul_f64 v[44:45], v[40:41], v[42:43]
	v_fma_f64 v[40:41], v[40:41], v[42:43], 1.0
	v_div_scale_f64 v[42:43], s[0:1], v[40:41], v[40:41], 1.0
	v_rcp_f64_e32 v[48:49], v[42:43]
	s_mov_b32 s0, 0x1a41a41a
	s_mov_b32 s1, 0xbf8a41a4
	v_fma_f64 v[50:51], -v[42:43], v[48:49], 1.0
	v_fmac_f64_e32 v[48:49], v[48:49], v[50:51]
	v_fma_f64 v[50:51], -v[42:43], v[48:49], 1.0
	v_fmac_f64_e32 v[48:49], v[48:49], v[50:51]
	v_div_scale_f64 v[50:51], vcc, 1.0, v[40:41], 1.0
	v_mul_f64 v[52:53], v[50:51], v[48:49]
	v_fma_f64 v[42:43], -v[42:43], v[52:53], v[50:51]
	s_nop 1
	v_div_fmas_f64 v[42:43], v[42:43], v[48:49], v[52:53]
	v_div_fixup_f64 v[40:41], v[42:43], v[40:41], 1.0
	v_max_f64 v[42:43], v[44:45], s[2:3]
	v_mul_f64 v[40:41], v[44:45], v[40:41]
	v_frexp_mant_f64_e32 v[44:45], v[42:43]
	v_cmp_gt_f64_e32 vcc, s[4:5], v[44:45]
	v_frexp_exp_i32_f64_e32 v4, v[42:43]
	s_nop 0
	v_cndmask_b32_e64 v33, 0, 1, vcc
	v_ldexp_f64 v[44:45], v[44:45], v33
	v_add_f64 v[50:51], v[44:45], 1.0
	v_add_f64 v[52:53], v[50:51], -1.0
	v_add_f64 v[48:49], v[44:45], -1.0
	v_add_f64 v[44:45], v[44:45], -v[52:53]
	v_rcp_f64_e32 v[52:53], v[50:51]
	v_subbrev_co_u32_e32 v4, vcc, 0, v4, vcc
	v_cmp_neq_f64_e32 vcc, s[36:37], v[42:43]
	v_fma_f64 v[54:55], -v[50:51], v[52:53], 1.0
	v_fmac_f64_e32 v[52:53], v[54:55], v[52:53]
	v_fma_f64 v[54:55], -v[50:51], v[52:53], 1.0
	v_fmac_f64_e32 v[52:53], v[54:55], v[52:53]
	v_mul_f64 v[54:55], v[48:49], v[52:53]
	v_mul_f64 v[56:57], v[50:51], v[54:55]
	v_fma_f64 v[50:51], v[54:55], v[50:51], -v[56:57]
	v_fmac_f64_e32 v[50:51], v[54:55], v[44:45]
	v_add_f64 v[44:45], v[56:57], v[50:51]
	v_add_f64 v[58:59], v[48:49], -v[44:45]
	v_add_f64 v[56:57], v[44:45], -v[56:57]
	;; [unrolled: 1-line block ×5, first 2 shown]
	v_add_f64 v[44:45], v[48:49], v[44:45]
	v_add_f64 v[44:45], v[58:59], v[44:45]
	v_mul_f64 v[44:45], v[52:53], v[44:45]
	v_add_f64 v[48:49], v[54:55], v[44:45]
	v_add_f64 v[50:51], v[48:49], -v[54:55]
	v_add_f64 v[44:45], v[44:45], -v[50:51]
	v_mul_f64 v[50:51], v[48:49], v[48:49]
	v_fma_f64 v[52:53], s[6:7], v[50:51], v[0:1]
	v_fma_f64 v[52:53], v[50:51], v[52:53], s[14:15]
	;; [unrolled: 1-line block ×6, first 2 shown]
	v_ldexp_f64 v[54:55], v[48:49], 1
	v_mul_f64 v[48:49], v[48:49], v[50:51]
	v_mul_f64 v[48:49], v[48:49], v[52:53]
	v_add_f64 v[50:51], v[54:55], v[48:49]
	v_add_f64 v[52:53], v[50:51], -v[54:55]
	v_ldexp_f64 v[44:45], v[44:45], 1
	v_add_f64 v[48:49], v[48:49], -v[52:53]
	v_add_f64 v[44:45], v[44:45], v[48:49]
	v_add_f64 v[48:49], v[50:51], v[44:45]
	v_add_f64 v[50:51], v[48:49], -v[50:51]
	v_add_f64 v[44:45], v[44:45], -v[50:51]
	v_cvt_f64_i32_e32 v[50:51], v4
	v_mul_f64 v[52:53], v[50:51], s[24:25]
	v_fma_f64 v[54:55], v[50:51], s[24:25], -v[52:53]
	v_fmac_f64_e32 v[54:55], s[26:27], v[50:51]
	v_add_f64 v[50:51], v[52:53], v[54:55]
	v_add_f64 v[52:53], v[50:51], -v[52:53]
	v_add_f64 v[52:53], v[54:55], -v[52:53]
	v_mul_f64 v[54:55], v[48:49], s[28:29]
	v_fma_f64 v[56:57], v[48:49], s[28:29], -v[54:55]
	v_fmac_f64_e32 v[56:57], s[28:29], v[44:45]
	v_fmac_f64_e32 v[56:57], s[30:31], v[48:49]
	v_add_f64 v[44:45], v[54:55], v[56:57]
	v_add_f64 v[48:49], v[44:45], -v[54:55]
	v_add_f64 v[54:55], v[50:51], v[44:45]
	v_add_f64 v[48:49], v[56:57], -v[48:49]
	v_add_f64 v[56:57], v[54:55], -v[50:51]
	;; [unrolled: 1-line block ×5, first 2 shown]
	v_add_f64 v[44:45], v[44:45], v[50:51]
	v_add_f64 v[50:51], v[52:53], v[48:49]
	v_add_f64 v[56:57], v[50:51], -v[52:53]
	v_add_f64 v[58:59], v[50:51], -v[56:57]
	v_add_f64 v[44:45], v[50:51], v[44:45]
	v_add_f64 v[52:53], v[52:53], -v[58:59]
	v_add_f64 v[48:49], v[48:49], -v[56:57]
	v_add_f64 v[50:51], v[54:55], v[44:45]
	v_add_f64 v[48:49], v[48:49], v[52:53]
	v_add_f64 v[52:53], v[50:51], -v[54:55]
	v_add_f64 v[44:45], v[44:45], -v[52:53]
	v_add_f64 v[44:45], v[48:49], v[44:45]
	v_add_f64 v[44:45], v[50:51], v[44:45]
	v_cndmask_b32_e32 v43, v46, v45, vcc
	v_cndmask_b32_e32 v42, 0, v44, vcc
	v_mul_f64 v[44:45], v[2:3], s[0:1]
	v_mul_f64 v[48:49], v[44:45], s[62:63]
	v_rndne_f64_e32 v[48:49], v[48:49]
	v_fma_f64 v[50:51], s[58:59], v[48:49], v[44:45]
	v_fmac_f64_e32 v[50:51], s[60:61], v[48:49]
	v_fma_f64 v[52:53], s[34:35], v[50:51], v[6:7]
	v_fma_f64 v[52:53], v[50:51], v[52:53], s[38:39]
	;; [unrolled: 1-line block ×9, first 2 shown]
	v_fma_f64 v[52:53], v[50:51], v[52:53], 1.0
	v_fma_f64 v[50:51], v[50:51], v[52:53], 1.0
	v_cvt_i32_f64_e32 v4, v[48:49]
	s_mov_b32 s0, 0x47ae147b
	v_ldexp_f64 v[48:49], v[50:51], v4
	s_mov_b32 s1, 0x3fd47ae1
	v_mul_f64 v[48:49], v[48:49], s[0:1]
	v_cmp_nlt_f64_e32 vcc, s[54:55], v[44:45]
	v_cmp_ngt_f64_e64 s[0:1], s[56:57], v[44:45]
	s_nop 0
	v_cndmask_b32_e32 v4, v46, v49, vcc
	s_and_b64 vcc, s[0:1], vcc
	v_cndmask_b32_e64 v45, 0, v4, s[0:1]
	s_mov_b32 s0, 0xe80106cd
	s_mov_b32 s1, 0xbf406cd0
	v_cndmask_b32_e32 v44, 0, v48, vcc
	v_mul_f64 v[48:49], v[2:3], s[0:1]
	v_mul_f64 v[50:51], v[48:49], s[62:63]
	v_rndne_f64_e32 v[50:51], v[50:51]
	v_fma_f64 v[52:53], s[58:59], v[50:51], v[48:49]
	v_fmac_f64_e32 v[52:53], s[60:61], v[50:51]
	v_fma_f64 v[54:55], s[34:35], v[52:53], v[6:7]
	v_fma_f64 v[54:55], v[52:53], v[54:55], s[38:39]
	;; [unrolled: 1-line block ×9, first 2 shown]
	v_fma_f64 v[54:55], v[52:53], v[54:55], 1.0
	v_fma_f64 v[52:53], v[52:53], v[54:55], 1.0
	v_cvt_i32_f64_e32 v4, v[50:51]
	s_mov_b32 s0, 0x5c28f5c3
	v_ldexp_f64 v[50:51], v[52:53], v4
	s_mov_b32 s1, 0x3fe5c28f
	v_mul_f64 v[50:51], v[50:51], s[0:1]
	v_cmp_nlt_f64_e32 vcc, s[54:55], v[48:49]
	v_cmp_ngt_f64_e64 s[0:1], s[56:57], v[48:49]
	s_nop 0
	v_cndmask_b32_e32 v4, v46, v51, vcc
	s_and_b64 vcc, s[0:1], vcc
	v_cndmask_b32_e64 v49, 0, v4, s[0:1]
	s_mov_b32 s0, 0
	v_cndmask_b32_e32 v48, 0, v50, vcc
	s_mov_b32 s1, 0xc0b5d600
	v_add_f64 v[44:45], v[44:45], v[48:49]
	v_mul_f64 v[48:49], v[20:21], s[0:1]
	v_mul_f64 v[50:51], v[48:49], s[62:63]
	v_rndne_f64_e32 v[50:51], v[50:51]
	v_fma_f64 v[52:53], s[58:59], v[50:51], v[48:49]
	v_fmac_f64_e32 v[52:53], s[60:61], v[50:51]
	v_fma_f64 v[54:55], s[34:35], v[52:53], v[6:7]
	v_fma_f64 v[54:55], v[52:53], v[54:55], s[38:39]
	;; [unrolled: 1-line block ×9, first 2 shown]
	v_fma_f64 v[54:55], v[52:53], v[54:55], 1.0
	v_fma_f64 v[52:53], v[52:53], v[54:55], 1.0
	v_cvt_i32_f64_e32 v4, v[50:51]
	v_ldexp_f64 v[50:51], v[52:53], v4
	v_cmp_nlt_f64_e32 vcc, s[54:55], v[48:49]
	v_cmp_ngt_f64_e64 s[0:1], s[56:57], v[48:49]
	s_nop 0
	v_cndmask_b32_e32 v4, v46, v51, vcc
	s_and_b64 vcc, s[0:1], vcc
	v_cndmask_b32_e32 v48, 0, v50, vcc
	v_cndmask_b32_e64 v49, 0, v4, s[0:1]
	v_add_f64 v[44:45], v[48:49], v[44:45]
	v_max_f64 v[44:45], v[44:45], s[2:3]
	v_frexp_mant_f64_e32 v[48:49], v[44:45]
	v_cmp_gt_f64_e32 vcc, s[4:5], v[48:49]
	v_frexp_exp_i32_f64_e32 v4, v[44:45]
	s_nop 0
	v_cndmask_b32_e64 v33, 0, 1, vcc
	v_ldexp_f64 v[48:49], v[48:49], v33
	v_add_f64 v[52:53], v[48:49], 1.0
	v_add_f64 v[54:55], v[52:53], -1.0
	v_add_f64 v[50:51], v[48:49], -1.0
	v_add_f64 v[48:49], v[48:49], -v[54:55]
	v_rcp_f64_e32 v[54:55], v[52:53]
	v_subbrev_co_u32_e32 v4, vcc, 0, v4, vcc
	v_cmp_neq_f64_e32 vcc, s[36:37], v[44:45]
	v_fma_f64 v[56:57], -v[52:53], v[54:55], 1.0
	v_fmac_f64_e32 v[54:55], v[56:57], v[54:55]
	v_fma_f64 v[56:57], -v[52:53], v[54:55], 1.0
	v_fmac_f64_e32 v[54:55], v[56:57], v[54:55]
	v_mul_f64 v[56:57], v[50:51], v[54:55]
	v_mul_f64 v[58:59], v[52:53], v[56:57]
	v_fma_f64 v[52:53], v[56:57], v[52:53], -v[58:59]
	v_fmac_f64_e32 v[52:53], v[56:57], v[48:49]
	v_add_f64 v[48:49], v[58:59], v[52:53]
	v_add_f64 v[60:61], v[50:51], -v[48:49]
	v_add_f64 v[58:59], v[48:49], -v[58:59]
	;; [unrolled: 1-line block ×5, first 2 shown]
	v_add_f64 v[48:49], v[50:51], v[48:49]
	v_add_f64 v[48:49], v[60:61], v[48:49]
	v_mul_f64 v[48:49], v[54:55], v[48:49]
	v_add_f64 v[50:51], v[56:57], v[48:49]
	v_add_f64 v[52:53], v[50:51], -v[56:57]
	v_add_f64 v[48:49], v[48:49], -v[52:53]
	v_mul_f64 v[52:53], v[50:51], v[50:51]
	v_fma_f64 v[54:55], s[6:7], v[52:53], v[0:1]
	v_fma_f64 v[54:55], v[52:53], v[54:55], s[14:15]
	;; [unrolled: 1-line block ×6, first 2 shown]
	v_ldexp_f64 v[56:57], v[50:51], 1
	v_mul_f64 v[50:51], v[50:51], v[52:53]
	v_mul_f64 v[50:51], v[50:51], v[54:55]
	v_add_f64 v[52:53], v[56:57], v[50:51]
	v_add_f64 v[54:55], v[52:53], -v[56:57]
	v_ldexp_f64 v[48:49], v[48:49], 1
	v_add_f64 v[50:51], v[50:51], -v[54:55]
	v_add_f64 v[48:49], v[48:49], v[50:51]
	v_add_f64 v[50:51], v[52:53], v[48:49]
	v_add_f64 v[52:53], v[50:51], -v[52:53]
	v_add_f64 v[48:49], v[48:49], -v[52:53]
	v_cvt_f64_i32_e32 v[52:53], v4
	v_mul_f64 v[54:55], v[52:53], s[24:25]
	v_fma_f64 v[56:57], v[52:53], s[24:25], -v[54:55]
	v_fmac_f64_e32 v[56:57], s[26:27], v[52:53]
	v_add_f64 v[52:53], v[54:55], v[56:57]
	v_add_f64 v[54:55], v[52:53], -v[54:55]
	v_add_f64 v[54:55], v[56:57], -v[54:55]
	v_mul_f64 v[56:57], v[50:51], s[28:29]
	v_fma_f64 v[58:59], v[50:51], s[28:29], -v[56:57]
	v_fmac_f64_e32 v[58:59], s[28:29], v[48:49]
	v_fmac_f64_e32 v[58:59], s[30:31], v[50:51]
	v_add_f64 v[48:49], v[56:57], v[58:59]
	v_add_f64 v[50:51], v[48:49], -v[56:57]
	v_add_f64 v[56:57], v[52:53], v[48:49]
	v_add_f64 v[50:51], v[58:59], -v[50:51]
	v_add_f64 v[58:59], v[56:57], -v[52:53]
	;; [unrolled: 1-line block ×5, first 2 shown]
	v_add_f64 v[48:49], v[48:49], v[52:53]
	v_add_f64 v[52:53], v[54:55], v[50:51]
	v_add_f64 v[58:59], v[52:53], -v[54:55]
	v_add_f64 v[60:61], v[52:53], -v[58:59]
	v_add_f64 v[48:49], v[52:53], v[48:49]
	v_add_f64 v[54:55], v[54:55], -v[60:61]
	v_add_f64 v[50:51], v[50:51], -v[58:59]
	v_add_f64 v[52:53], v[56:57], v[48:49]
	v_add_f64 v[50:51], v[50:51], v[54:55]
	v_add_f64 v[54:55], v[52:53], -v[56:57]
	v_add_f64 v[48:49], v[48:49], -v[54:55]
	v_add_f64 v[48:49], v[50:51], v[48:49]
	v_add_f64 v[48:49], v[52:53], v[48:49]
	v_cndmask_b32_e32 v45, v46, v49, vcc
	v_cndmask_b32_e32 v44, 0, v48, vcc
	v_fma_f64 v[50:51], s[66:67], v[44:45], v[18:19]
	v_fma_f64 v[48:49], s[64:65], v[44:45], v[16:17]
	v_add_f64 v[42:43], v[42:43], -v[50:51]
	v_fmac_f64_e32 v[48:49], s[68:69], v[42:43]
	v_div_scale_f64 v[50:51], s[0:1], v[48:49], v[48:49], 1.0
	v_rcp_f64_e32 v[52:53], v[50:51]
	s_nop 0
	v_fma_f64 v[54:55], -v[50:51], v[52:53], 1.0
	v_fmac_f64_e32 v[52:53], v[52:53], v[54:55]
	v_fma_f64 v[54:55], -v[50:51], v[52:53], 1.0
	v_fmac_f64_e32 v[52:53], v[52:53], v[54:55]
	v_div_scale_f64 v[54:55], vcc, 1.0, v[48:49], 1.0
	v_mul_f64 v[56:57], v[54:55], v[52:53]
	v_fma_f64 v[50:51], -v[50:51], v[56:57], v[54:55]
	s_nop 1
	v_div_fmas_f64 v[50:51], v[50:51], v[52:53], v[56:57]
	v_div_fixup_f64 v[48:49], v[50:51], v[48:49], 1.0
	v_mul_f64 v[42:43], v[42:43], v[48:49]
	v_fma_f64 v[42:43], v[42:43], v[42:43], 1.0
	v_div_scale_f64 v[48:49], s[0:1], v[42:43], v[42:43], 1.0
	v_rcp_f64_e32 v[50:51], v[48:49]
	s_nop 0
	v_fma_f64 v[52:53], -v[48:49], v[50:51], 1.0
	v_fmac_f64_e32 v[50:51], v[50:51], v[52:53]
	v_fma_f64 v[52:53], -v[48:49], v[50:51], 1.0
	v_fmac_f64_e32 v[50:51], v[50:51], v[52:53]
	v_div_scale_f64 v[52:53], vcc, 1.0, v[42:43], 1.0
	v_mul_f64 v[54:55], v[52:53], v[50:51]
	v_fma_f64 v[48:49], -v[48:49], v[54:55], v[52:53]
	s_nop 1
	v_div_fmas_f64 v[48:49], v[48:49], v[50:51], v[54:55]
	v_div_fixup_f64 v[42:43], v[48:49], v[42:43], 1.0
	v_mul_f64 v[42:43], v[44:45], v[42:43]
	v_mul_f64 v[44:45], v[42:43], s[70:71]
	v_rndne_f64_e32 v[44:45], v[44:45]
	v_fma_f64 v[48:49], s[72:73], v[44:45], v[42:43]
	v_fmac_f64_e32 v[48:49], s[74:75], v[44:45]
	v_mul_f64 v[50:51], v[48:49], s[76:77]
	v_fmac_f64_e32 v[50:51], s[78:79], v[48:49]
	v_fma_f64 v[48:49], s[34:35], v[50:51], v[6:7]
	v_fma_f64 v[48:49], v[50:51], v[48:49], s[38:39]
	;; [unrolled: 1-line block ×9, first 2 shown]
	v_fma_f64 v[48:49], v[50:51], v[48:49], 1.0
	v_fma_f64 v[48:49], v[50:51], v[48:49], 1.0
	v_cvt_i32_f64_e32 v4, v[44:45]
	v_ldexp_f64 v[44:45], v[48:49], v4
	v_cmp_nlt_f64_e32 vcc, s[54:55], v[42:43]
	v_cmp_ngt_f64_e64 s[0:1], s[56:57], v[42:43]
	s_nop 0
	v_cndmask_b32_e32 v4, v46, v45, vcc
	s_and_b64 vcc, s[0:1], vcc
	v_cndmask_b32_e32 v42, 0, v44, vcc
	v_cndmask_b32_e64 v43, 0, v4, s[0:1]
	v_mul_f64 v[40:41], v[40:41], v[42:43]
	v_mul_f64 v[38:39], v[38:39], v[40:41]
	global_store_dwordx2 v[36:37], v[38:39], off
	global_load_dwordx2 v[36:37], v[34:35], off
	v_lshl_add_u32 v4, s33, 3, v32
	s_waitcnt vmcnt(0)
	v_mul_f64 v[36:37], v[36:37], v[40:41]
	global_store_dwordx2 v[34:35], v[36:37], off
	global_load_dwordx2 v[36:37], v[30:31], off
	v_lshlrev_b64 v[30:31], 3, v[4:5]
	v_lshl_add_u64 v[32:33], s[8:9], 0, v[30:31]
	global_load_dwordx2 v[34:35], v[32:33], off
	v_lshl_add_u64 v[30:31], s[10:11], 0, v[30:31]
	s_waitcnt vmcnt(0)
	v_div_scale_f64 v[38:39], s[0:1], v[34:35], v[34:35], 1.0
	v_rcp_f64_e32 v[40:41], v[38:39]
	s_nop 0
	v_fma_f64 v[42:43], -v[38:39], v[40:41], 1.0
	v_fmac_f64_e32 v[40:41], v[40:41], v[42:43]
	v_fma_f64 v[42:43], -v[38:39], v[40:41], 1.0
	v_fmac_f64_e32 v[40:41], v[40:41], v[42:43]
	v_div_scale_f64 v[42:43], vcc, 1.0, v[34:35], 1.0
	v_mul_f64 v[44:45], v[42:43], v[40:41]
	v_fma_f64 v[38:39], -v[38:39], v[44:45], v[42:43]
	s_nop 1
	v_div_fmas_f64 v[38:39], v[38:39], v[40:41], v[44:45]
	v_div_fixup_f64 v[38:39], v[38:39], v[34:35], 1.0
	v_mul_f64 v[38:39], v[12:13], v[38:39]
	v_mul_f64 v[40:41], v[36:37], v[38:39]
	v_fma_f64 v[36:37], v[36:37], v[38:39], 1.0
	v_div_scale_f64 v[38:39], s[0:1], v[36:37], v[36:37], 1.0
	v_rcp_f64_e32 v[42:43], v[38:39]
	s_mov_b32 s0, 0xdca01dca
	s_mov_b32 s1, 0xbf6dca01
	v_fma_f64 v[44:45], -v[38:39], v[42:43], 1.0
	v_fmac_f64_e32 v[42:43], v[42:43], v[44:45]
	v_fma_f64 v[44:45], -v[38:39], v[42:43], 1.0
	v_fmac_f64_e32 v[42:43], v[42:43], v[44:45]
	v_div_scale_f64 v[44:45], vcc, 1.0, v[36:37], 1.0
	v_mul_f64 v[48:49], v[44:45], v[42:43]
	v_fma_f64 v[38:39], -v[38:39], v[48:49], v[44:45]
	s_nop 1
	v_div_fmas_f64 v[38:39], v[38:39], v[42:43], v[48:49]
	v_div_fixup_f64 v[36:37], v[38:39], v[36:37], 1.0
	v_max_f64 v[38:39], v[40:41], s[2:3]
	v_mul_f64 v[36:37], v[40:41], v[36:37]
	v_frexp_mant_f64_e32 v[40:41], v[38:39]
	v_cmp_gt_f64_e32 vcc, s[4:5], v[40:41]
	v_frexp_exp_i32_f64_e32 v42, v[38:39]
	s_nop 0
	v_cndmask_b32_e64 v43, 0, 1, vcc
	v_ldexp_f64 v[40:41], v[40:41], v43
	v_add_f64 v[44:45], v[40:41], 1.0
	v_add_f64 v[48:49], v[44:45], -1.0
	v_subbrev_co_u32_e32 v47, vcc, 0, v42, vcc
	v_add_f64 v[42:43], v[40:41], -1.0
	v_add_f64 v[40:41], v[40:41], -v[48:49]
	v_rcp_f64_e32 v[48:49], v[44:45]
	v_cmp_neq_f64_e32 vcc, s[36:37], v[38:39]
	v_fma_f64 v[50:51], -v[44:45], v[48:49], 1.0
	v_fmac_f64_e32 v[48:49], v[50:51], v[48:49]
	v_fma_f64 v[50:51], -v[44:45], v[48:49], 1.0
	v_fmac_f64_e32 v[48:49], v[50:51], v[48:49]
	v_mul_f64 v[50:51], v[42:43], v[48:49]
	v_mul_f64 v[52:53], v[44:45], v[50:51]
	v_fma_f64 v[44:45], v[50:51], v[44:45], -v[52:53]
	v_fmac_f64_e32 v[44:45], v[50:51], v[40:41]
	v_add_f64 v[40:41], v[52:53], v[44:45]
	v_add_f64 v[54:55], v[42:43], -v[40:41]
	v_add_f64 v[52:53], v[40:41], -v[52:53]
	;; [unrolled: 1-line block ×5, first 2 shown]
	v_add_f64 v[40:41], v[42:43], v[40:41]
	v_add_f64 v[40:41], v[54:55], v[40:41]
	v_mul_f64 v[40:41], v[48:49], v[40:41]
	v_add_f64 v[42:43], v[50:51], v[40:41]
	v_add_f64 v[44:45], v[42:43], -v[50:51]
	v_add_f64 v[40:41], v[40:41], -v[44:45]
	v_mul_f64 v[44:45], v[42:43], v[42:43]
	v_fma_f64 v[48:49], s[6:7], v[44:45], v[0:1]
	v_fma_f64 v[48:49], v[44:45], v[48:49], s[14:15]
	;; [unrolled: 1-line block ×6, first 2 shown]
	v_ldexp_f64 v[50:51], v[42:43], 1
	v_mul_f64 v[42:43], v[42:43], v[44:45]
	v_mul_f64 v[42:43], v[42:43], v[48:49]
	v_add_f64 v[44:45], v[50:51], v[42:43]
	v_add_f64 v[48:49], v[44:45], -v[50:51]
	v_ldexp_f64 v[40:41], v[40:41], 1
	v_add_f64 v[42:43], v[42:43], -v[48:49]
	v_add_f64 v[40:41], v[40:41], v[42:43]
	v_add_f64 v[42:43], v[44:45], v[40:41]
	v_add_f64 v[44:45], v[42:43], -v[44:45]
	v_add_f64 v[40:41], v[40:41], -v[44:45]
	v_cvt_f64_i32_e32 v[44:45], v47
	v_mul_f64 v[48:49], v[44:45], s[24:25]
	v_fma_f64 v[50:51], v[44:45], s[24:25], -v[48:49]
	v_fmac_f64_e32 v[50:51], s[26:27], v[44:45]
	v_add_f64 v[44:45], v[48:49], v[50:51]
	v_add_f64 v[48:49], v[44:45], -v[48:49]
	v_add_f64 v[48:49], v[50:51], -v[48:49]
	v_mul_f64 v[50:51], v[42:43], s[28:29]
	v_fma_f64 v[52:53], v[42:43], s[28:29], -v[50:51]
	v_fmac_f64_e32 v[52:53], s[28:29], v[40:41]
	v_fmac_f64_e32 v[52:53], s[30:31], v[42:43]
	v_add_f64 v[40:41], v[50:51], v[52:53]
	v_add_f64 v[42:43], v[40:41], -v[50:51]
	v_add_f64 v[50:51], v[44:45], v[40:41]
	v_add_f64 v[42:43], v[52:53], -v[42:43]
	v_add_f64 v[52:53], v[50:51], -v[44:45]
	;; [unrolled: 1-line block ×5, first 2 shown]
	v_add_f64 v[40:41], v[40:41], v[44:45]
	v_add_f64 v[44:45], v[48:49], v[42:43]
	v_add_f64 v[52:53], v[44:45], -v[48:49]
	v_add_f64 v[54:55], v[44:45], -v[52:53]
	v_add_f64 v[40:41], v[44:45], v[40:41]
	v_add_f64 v[48:49], v[48:49], -v[54:55]
	v_add_f64 v[42:43], v[42:43], -v[52:53]
	v_add_f64 v[44:45], v[50:51], v[40:41]
	v_add_f64 v[42:43], v[42:43], v[48:49]
	v_add_f64 v[48:49], v[44:45], -v[50:51]
	v_add_f64 v[40:41], v[40:41], -v[48:49]
	v_add_f64 v[40:41], v[42:43], v[40:41]
	v_add_f64 v[40:41], v[44:45], v[40:41]
	v_cndmask_b32_e32 v39, v46, v41, vcc
	v_cndmask_b32_e32 v38, 0, v40, vcc
	v_mul_f64 v[40:41], v[2:3], s[0:1]
	v_mul_f64 v[42:43], v[40:41], s[62:63]
	v_rndne_f64_e32 v[42:43], v[42:43]
	v_fma_f64 v[44:45], s[58:59], v[42:43], v[40:41]
	v_fmac_f64_e32 v[44:45], s[60:61], v[42:43]
	v_fma_f64 v[48:49], s[34:35], v[44:45], v[6:7]
	v_fma_f64 v[48:49], v[44:45], v[48:49], s[38:39]
	;; [unrolled: 1-line block ×9, first 2 shown]
	v_fma_f64 v[48:49], v[44:45], v[48:49], 1.0
	v_fma_f64 v[44:45], v[44:45], v[48:49], 1.0
	v_cvt_i32_f64_e32 v42, v[42:43]
	s_mov_b32 s0, 0xa0902de0
	v_ldexp_f64 v[42:43], v[44:45], v42
	s_mov_b32 s1, 0x3fda31f8
	v_mul_f64 v[42:43], v[42:43], s[0:1]
	v_cmp_nlt_f64_e32 vcc, s[54:55], v[40:41]
	v_cmp_ngt_f64_e64 s[0:1], s[56:57], v[40:41]
	s_nop 0
	v_cndmask_b32_e32 v43, v46, v43, vcc
	s_and_b64 vcc, s[0:1], vcc
	v_cndmask_b32_e64 v41, 0, v43, s[0:1]
	s_mov_b32 s0, 0xfbd2e5b1
	s_mov_b32 s1, 0xbf4aba41
	v_cndmask_b32_e32 v40, 0, v42, vcc
	v_mul_f64 v[42:43], v[2:3], s[0:1]
	v_mul_f64 v[44:45], v[42:43], s[62:63]
	v_rndne_f64_e32 v[44:45], v[44:45]
	v_fma_f64 v[48:49], s[58:59], v[44:45], v[42:43]
	v_fmac_f64_e32 v[48:49], s[60:61], v[44:45]
	v_fma_f64 v[50:51], s[34:35], v[48:49], v[6:7]
	v_fma_f64 v[50:51], v[48:49], v[50:51], s[38:39]
	;; [unrolled: 1-line block ×9, first 2 shown]
	v_fma_f64 v[50:51], v[48:49], v[50:51], 1.0
	v_fma_f64 v[48:49], v[48:49], v[50:51], 1.0
	v_cvt_i32_f64_e32 v44, v[44:45]
	s_mov_b32 s0, 0xafb7e910
	v_ldexp_f64 v[44:45], v[48:49], v44
	s_mov_b32 s1, 0x3fe2e703
	v_mul_f64 v[44:45], v[44:45], s[0:1]
	v_cmp_nlt_f64_e32 vcc, s[54:55], v[42:43]
	v_cmp_ngt_f64_e64 s[0:1], s[56:57], v[42:43]
	s_nop 0
	v_cndmask_b32_e32 v45, v46, v45, vcc
	s_and_b64 vcc, s[0:1], vcc
	v_cndmask_b32_e64 v43, 0, v45, s[0:1]
	s_mov_b32 s0, 0
	v_cndmask_b32_e32 v42, 0, v44, vcc
	s_mov_b32 s1, 0xc0b44100
	v_add_f64 v[40:41], v[40:41], v[42:43]
	v_mul_f64 v[42:43], v[20:21], s[0:1]
	v_mul_f64 v[44:45], v[42:43], s[62:63]
	v_rndne_f64_e32 v[44:45], v[44:45]
	v_fma_f64 v[48:49], s[58:59], v[44:45], v[42:43]
	v_fmac_f64_e32 v[48:49], s[60:61], v[44:45]
	v_fma_f64 v[50:51], s[34:35], v[48:49], v[6:7]
	v_fma_f64 v[50:51], v[48:49], v[50:51], s[38:39]
	;; [unrolled: 1-line block ×9, first 2 shown]
	v_fma_f64 v[50:51], v[48:49], v[50:51], 1.0
	v_fma_f64 v[48:49], v[48:49], v[50:51], 1.0
	v_cvt_i32_f64_e32 v44, v[44:45]
	v_ldexp_f64 v[44:45], v[48:49], v44
	v_cmp_nlt_f64_e32 vcc, s[54:55], v[42:43]
	v_cmp_ngt_f64_e64 s[0:1], s[56:57], v[42:43]
	s_nop 0
	v_cndmask_b32_e32 v45, v46, v45, vcc
	s_and_b64 vcc, s[0:1], vcc
	v_cndmask_b32_e32 v42, 0, v44, vcc
	v_cndmask_b32_e64 v43, 0, v45, s[0:1]
	v_add_f64 v[40:41], v[42:43], v[40:41]
	v_max_f64 v[40:41], v[40:41], s[2:3]
	v_frexp_mant_f64_e32 v[42:43], v[40:41]
	v_cmp_gt_f64_e32 vcc, s[4:5], v[42:43]
	v_frexp_exp_i32_f64_e32 v44, v[40:41]
	s_nop 0
	v_cndmask_b32_e64 v45, 0, 1, vcc
	v_ldexp_f64 v[42:43], v[42:43], v45
	v_add_f64 v[48:49], v[42:43], 1.0
	v_add_f64 v[50:51], v[48:49], -1.0
	v_subbrev_co_u32_e32 v47, vcc, 0, v44, vcc
	v_add_f64 v[44:45], v[42:43], -1.0
	v_add_f64 v[42:43], v[42:43], -v[50:51]
	v_rcp_f64_e32 v[50:51], v[48:49]
	v_cmp_neq_f64_e32 vcc, s[36:37], v[40:41]
	v_fma_f64 v[52:53], -v[48:49], v[50:51], 1.0
	v_fmac_f64_e32 v[50:51], v[52:53], v[50:51]
	v_fma_f64 v[52:53], -v[48:49], v[50:51], 1.0
	v_fmac_f64_e32 v[50:51], v[52:53], v[50:51]
	v_mul_f64 v[52:53], v[44:45], v[50:51]
	v_mul_f64 v[54:55], v[48:49], v[52:53]
	v_fma_f64 v[48:49], v[52:53], v[48:49], -v[54:55]
	v_fmac_f64_e32 v[48:49], v[52:53], v[42:43]
	v_add_f64 v[42:43], v[54:55], v[48:49]
	v_add_f64 v[56:57], v[44:45], -v[42:43]
	v_add_f64 v[54:55], v[42:43], -v[54:55]
	;; [unrolled: 1-line block ×5, first 2 shown]
	v_add_f64 v[42:43], v[44:45], v[42:43]
	v_add_f64 v[42:43], v[56:57], v[42:43]
	v_mul_f64 v[42:43], v[50:51], v[42:43]
	v_add_f64 v[44:45], v[52:53], v[42:43]
	v_add_f64 v[48:49], v[44:45], -v[52:53]
	v_add_f64 v[42:43], v[42:43], -v[48:49]
	v_mul_f64 v[48:49], v[44:45], v[44:45]
	v_fma_f64 v[50:51], s[6:7], v[48:49], v[0:1]
	v_fma_f64 v[50:51], v[48:49], v[50:51], s[14:15]
	;; [unrolled: 1-line block ×6, first 2 shown]
	v_ldexp_f64 v[52:53], v[44:45], 1
	v_mul_f64 v[44:45], v[44:45], v[48:49]
	v_mul_f64 v[44:45], v[44:45], v[50:51]
	v_add_f64 v[48:49], v[52:53], v[44:45]
	v_add_f64 v[50:51], v[48:49], -v[52:53]
	v_ldexp_f64 v[42:43], v[42:43], 1
	v_add_f64 v[44:45], v[44:45], -v[50:51]
	v_add_f64 v[42:43], v[42:43], v[44:45]
	v_add_f64 v[44:45], v[48:49], v[42:43]
	v_add_f64 v[48:49], v[44:45], -v[48:49]
	v_add_f64 v[42:43], v[42:43], -v[48:49]
	v_cvt_f64_i32_e32 v[48:49], v47
	v_mul_f64 v[50:51], v[48:49], s[24:25]
	v_fma_f64 v[52:53], v[48:49], s[24:25], -v[50:51]
	v_fmac_f64_e32 v[52:53], s[26:27], v[48:49]
	v_add_f64 v[48:49], v[50:51], v[52:53]
	v_add_f64 v[50:51], v[48:49], -v[50:51]
	v_add_f64 v[50:51], v[52:53], -v[50:51]
	v_mul_f64 v[52:53], v[44:45], s[28:29]
	v_fma_f64 v[54:55], v[44:45], s[28:29], -v[52:53]
	v_fmac_f64_e32 v[54:55], s[28:29], v[42:43]
	v_fmac_f64_e32 v[54:55], s[30:31], v[44:45]
	v_add_f64 v[42:43], v[52:53], v[54:55]
	v_add_f64 v[44:45], v[42:43], -v[52:53]
	v_add_f64 v[52:53], v[48:49], v[42:43]
	v_add_f64 v[44:45], v[54:55], -v[44:45]
	v_add_f64 v[54:55], v[52:53], -v[48:49]
	;; [unrolled: 1-line block ×5, first 2 shown]
	v_add_f64 v[42:43], v[42:43], v[48:49]
	v_add_f64 v[48:49], v[50:51], v[44:45]
	v_add_f64 v[54:55], v[48:49], -v[50:51]
	v_add_f64 v[56:57], v[48:49], -v[54:55]
	v_add_f64 v[42:43], v[48:49], v[42:43]
	v_add_f64 v[50:51], v[50:51], -v[56:57]
	v_add_f64 v[44:45], v[44:45], -v[54:55]
	v_add_f64 v[48:49], v[52:53], v[42:43]
	v_add_f64 v[44:45], v[44:45], v[50:51]
	v_add_f64 v[50:51], v[48:49], -v[52:53]
	v_add_f64 v[42:43], v[42:43], -v[50:51]
	v_add_f64 v[42:43], v[44:45], v[42:43]
	v_add_f64 v[42:43], v[48:49], v[42:43]
	v_cndmask_b32_e32 v41, v46, v43, vcc
	v_cndmask_b32_e32 v40, 0, v42, vcc
	v_fma_f64 v[44:45], s[66:67], v[40:41], v[18:19]
	v_fma_f64 v[42:43], s[64:65], v[40:41], v[16:17]
	v_add_f64 v[38:39], v[38:39], -v[44:45]
	v_fmac_f64_e32 v[42:43], s[68:69], v[38:39]
	v_div_scale_f64 v[44:45], s[0:1], v[42:43], v[42:43], 1.0
	v_rcp_f64_e32 v[48:49], v[44:45]
	s_nop 0
	v_fma_f64 v[50:51], -v[44:45], v[48:49], 1.0
	v_fmac_f64_e32 v[48:49], v[48:49], v[50:51]
	v_fma_f64 v[50:51], -v[44:45], v[48:49], 1.0
	v_fmac_f64_e32 v[48:49], v[48:49], v[50:51]
	v_div_scale_f64 v[50:51], vcc, 1.0, v[42:43], 1.0
	v_mul_f64 v[52:53], v[50:51], v[48:49]
	v_fma_f64 v[44:45], -v[44:45], v[52:53], v[50:51]
	s_nop 1
	v_div_fmas_f64 v[44:45], v[44:45], v[48:49], v[52:53]
	v_div_fixup_f64 v[42:43], v[44:45], v[42:43], 1.0
	v_mul_f64 v[38:39], v[38:39], v[42:43]
	v_fma_f64 v[38:39], v[38:39], v[38:39], 1.0
	v_div_scale_f64 v[42:43], s[0:1], v[38:39], v[38:39], 1.0
	v_rcp_f64_e32 v[44:45], v[42:43]
	s_nop 0
	v_fma_f64 v[48:49], -v[42:43], v[44:45], 1.0
	v_fmac_f64_e32 v[44:45], v[44:45], v[48:49]
	v_fma_f64 v[48:49], -v[42:43], v[44:45], 1.0
	v_fmac_f64_e32 v[44:45], v[44:45], v[48:49]
	v_div_scale_f64 v[48:49], vcc, 1.0, v[38:39], 1.0
	v_mul_f64 v[50:51], v[48:49], v[44:45]
	v_fma_f64 v[42:43], -v[42:43], v[50:51], v[48:49]
	s_nop 1
	v_div_fmas_f64 v[42:43], v[42:43], v[44:45], v[50:51]
	v_div_fixup_f64 v[38:39], v[42:43], v[38:39], 1.0
	v_mul_f64 v[38:39], v[40:41], v[38:39]
	v_mul_f64 v[40:41], v[38:39], s[70:71]
	v_rndne_f64_e32 v[40:41], v[40:41]
	v_fma_f64 v[42:43], s[72:73], v[40:41], v[38:39]
	v_fmac_f64_e32 v[42:43], s[74:75], v[40:41]
	v_mul_f64 v[44:45], v[42:43], s[76:77]
	v_fmac_f64_e32 v[44:45], s[78:79], v[42:43]
	v_fma_f64 v[42:43], s[34:35], v[44:45], v[6:7]
	v_fma_f64 v[42:43], v[44:45], v[42:43], s[38:39]
	v_fma_f64 v[42:43], v[44:45], v[42:43], s[40:41]
	v_fma_f64 v[42:43], v[44:45], v[42:43], s[42:43]
	v_fma_f64 v[42:43], v[44:45], v[42:43], s[44:45]
	v_fma_f64 v[42:43], v[44:45], v[42:43], s[46:47]
	v_fma_f64 v[42:43], v[44:45], v[42:43], s[48:49]
	v_fma_f64 v[42:43], v[44:45], v[42:43], s[50:51]
	v_fma_f64 v[42:43], v[44:45], v[42:43], s[52:53]
	v_fma_f64 v[42:43], v[44:45], v[42:43], 1.0
	v_fma_f64 v[42:43], v[44:45], v[42:43], 1.0
	v_cvt_i32_f64_e32 v40, v[40:41]
	v_ldexp_f64 v[40:41], v[42:43], v40
	v_cmp_nlt_f64_e32 vcc, s[54:55], v[38:39]
	v_cmp_ngt_f64_e64 s[0:1], s[56:57], v[38:39]
	s_nop 0
	v_cndmask_b32_e32 v41, v46, v41, vcc
	s_and_b64 vcc, s[0:1], vcc
	v_cndmask_b32_e32 v38, 0, v40, vcc
	v_cndmask_b32_e64 v39, 0, v41, s[0:1]
	v_mul_f64 v[36:37], v[36:37], v[38:39]
	v_mul_f64 v[34:35], v[34:35], v[36:37]
	global_store_dwordx2 v[32:33], v[34:35], off
	global_load_dwordx2 v[32:33], v[30:31], off
	s_waitcnt vmcnt(0)
	v_mul_f64 v[32:33], v[32:33], v[36:37]
	global_load_dwordx2 v[36:37], v[26:27], off
	v_mad_u64_u32 v[26:27], s[0:1], s33, 15, v[4:5]
	v_mov_b32_e32 v27, v5
	global_store_dwordx2 v[30:31], v[32:33], off
	v_lshlrev_b64 v[30:31], 3, v[26:27]
	v_lshl_add_u64 v[32:33], s[8:9], 0, v[30:31]
	global_load_dwordx2 v[34:35], v[32:33], off
	v_lshl_add_u64 v[30:31], s[10:11], 0, v[30:31]
	s_waitcnt vmcnt(0)
	v_div_scale_f64 v[38:39], s[0:1], v[34:35], v[34:35], 1.0
	v_rcp_f64_e32 v[40:41], v[38:39]
	s_nop 0
	v_fma_f64 v[42:43], -v[38:39], v[40:41], 1.0
	v_fmac_f64_e32 v[40:41], v[40:41], v[42:43]
	v_fma_f64 v[42:43], -v[38:39], v[40:41], 1.0
	v_fmac_f64_e32 v[40:41], v[40:41], v[42:43]
	v_div_scale_f64 v[42:43], vcc, 1.0, v[34:35], 1.0
	v_mul_f64 v[44:45], v[42:43], v[40:41]
	v_fma_f64 v[38:39], -v[38:39], v[44:45], v[42:43]
	s_nop 1
	v_div_fmas_f64 v[38:39], v[38:39], v[40:41], v[44:45]
	v_div_fixup_f64 v[38:39], v[38:39], v[34:35], 1.0
	v_mul_f64 v[38:39], v[12:13], v[38:39]
	v_mul_f64 v[40:41], v[36:37], v[38:39]
	v_fma_f64 v[36:37], v[36:37], v[38:39], 1.0
	v_div_scale_f64 v[38:39], s[0:1], v[36:37], v[36:37], 1.0
	v_rcp_f64_e32 v[42:43], v[38:39]
	s_mov_b32 s0, 0x6c53a1d5
	s_mov_b32 s1, 0xbf45129a
	v_fma_f64 v[44:45], -v[38:39], v[42:43], 1.0
	v_fmac_f64_e32 v[42:43], v[42:43], v[44:45]
	v_fma_f64 v[44:45], -v[38:39], v[42:43], 1.0
	v_fmac_f64_e32 v[42:43], v[42:43], v[44:45]
	v_div_scale_f64 v[44:45], vcc, 1.0, v[36:37], 1.0
	v_mul_f64 v[48:49], v[44:45], v[42:43]
	v_fma_f64 v[38:39], -v[38:39], v[48:49], v[44:45]
	s_nop 1
	v_div_fmas_f64 v[38:39], v[38:39], v[42:43], v[48:49]
	v_div_fixup_f64 v[36:37], v[38:39], v[36:37], 1.0
	v_max_f64 v[38:39], v[40:41], s[2:3]
	v_mul_f64 v[36:37], v[40:41], v[36:37]
	v_frexp_mant_f64_e32 v[40:41], v[38:39]
	v_cmp_gt_f64_e32 vcc, s[4:5], v[40:41]
	v_frexp_exp_i32_f64_e32 v4, v[38:39]
	s_nop 0
	v_cndmask_b32_e64 v27, 0, 1, vcc
	v_ldexp_f64 v[40:41], v[40:41], v27
	v_add_f64 v[44:45], v[40:41], 1.0
	v_add_f64 v[48:49], v[44:45], -1.0
	v_add_f64 v[42:43], v[40:41], -1.0
	v_add_f64 v[40:41], v[40:41], -v[48:49]
	v_rcp_f64_e32 v[48:49], v[44:45]
	v_subbrev_co_u32_e32 v4, vcc, 0, v4, vcc
	v_cmp_neq_f64_e32 vcc, s[36:37], v[38:39]
	v_fma_f64 v[50:51], -v[44:45], v[48:49], 1.0
	v_fmac_f64_e32 v[48:49], v[50:51], v[48:49]
	v_fma_f64 v[50:51], -v[44:45], v[48:49], 1.0
	v_fmac_f64_e32 v[48:49], v[50:51], v[48:49]
	v_mul_f64 v[50:51], v[42:43], v[48:49]
	v_mul_f64 v[52:53], v[44:45], v[50:51]
	v_fma_f64 v[44:45], v[50:51], v[44:45], -v[52:53]
	v_fmac_f64_e32 v[44:45], v[50:51], v[40:41]
	v_add_f64 v[40:41], v[52:53], v[44:45]
	v_add_f64 v[54:55], v[42:43], -v[40:41]
	v_add_f64 v[52:53], v[40:41], -v[52:53]
	;; [unrolled: 1-line block ×5, first 2 shown]
	v_add_f64 v[40:41], v[42:43], v[40:41]
	v_add_f64 v[40:41], v[54:55], v[40:41]
	v_mul_f64 v[40:41], v[48:49], v[40:41]
	v_add_f64 v[42:43], v[50:51], v[40:41]
	v_add_f64 v[44:45], v[42:43], -v[50:51]
	v_add_f64 v[40:41], v[40:41], -v[44:45]
	v_mul_f64 v[44:45], v[42:43], v[42:43]
	v_fma_f64 v[48:49], s[6:7], v[44:45], v[0:1]
	v_fma_f64 v[48:49], v[44:45], v[48:49], s[14:15]
	;; [unrolled: 1-line block ×6, first 2 shown]
	v_ldexp_f64 v[50:51], v[42:43], 1
	v_mul_f64 v[42:43], v[42:43], v[44:45]
	v_mul_f64 v[42:43], v[42:43], v[48:49]
	v_add_f64 v[44:45], v[50:51], v[42:43]
	v_add_f64 v[48:49], v[44:45], -v[50:51]
	v_ldexp_f64 v[40:41], v[40:41], 1
	v_add_f64 v[42:43], v[42:43], -v[48:49]
	v_add_f64 v[40:41], v[40:41], v[42:43]
	v_add_f64 v[42:43], v[44:45], v[40:41]
	v_add_f64 v[44:45], v[42:43], -v[44:45]
	v_add_f64 v[40:41], v[40:41], -v[44:45]
	v_cvt_f64_i32_e32 v[44:45], v4
	v_mul_f64 v[48:49], v[44:45], s[24:25]
	v_fma_f64 v[50:51], v[44:45], s[24:25], -v[48:49]
	v_fmac_f64_e32 v[50:51], s[26:27], v[44:45]
	v_add_f64 v[44:45], v[48:49], v[50:51]
	v_add_f64 v[48:49], v[44:45], -v[48:49]
	v_add_f64 v[48:49], v[50:51], -v[48:49]
	v_mul_f64 v[50:51], v[42:43], s[28:29]
	v_fma_f64 v[52:53], v[42:43], s[28:29], -v[50:51]
	v_fmac_f64_e32 v[52:53], s[28:29], v[40:41]
	v_fmac_f64_e32 v[52:53], s[30:31], v[42:43]
	v_add_f64 v[40:41], v[50:51], v[52:53]
	v_add_f64 v[42:43], v[40:41], -v[50:51]
	v_add_f64 v[50:51], v[44:45], v[40:41]
	v_add_f64 v[42:43], v[52:53], -v[42:43]
	v_add_f64 v[52:53], v[50:51], -v[44:45]
	;; [unrolled: 1-line block ×5, first 2 shown]
	v_add_f64 v[40:41], v[40:41], v[44:45]
	v_add_f64 v[44:45], v[48:49], v[42:43]
	v_add_f64 v[52:53], v[44:45], -v[48:49]
	v_add_f64 v[54:55], v[44:45], -v[52:53]
	v_add_f64 v[40:41], v[44:45], v[40:41]
	v_add_f64 v[48:49], v[48:49], -v[54:55]
	v_add_f64 v[42:43], v[42:43], -v[52:53]
	v_add_f64 v[44:45], v[50:51], v[40:41]
	v_add_f64 v[42:43], v[42:43], v[48:49]
	v_add_f64 v[48:49], v[44:45], -v[50:51]
	v_add_f64 v[40:41], v[40:41], -v[48:49]
	v_add_f64 v[40:41], v[42:43], v[40:41]
	v_add_f64 v[40:41], v[44:45], v[40:41]
	v_cndmask_b32_e32 v39, v46, v41, vcc
	v_cndmask_b32_e32 v38, 0, v40, vcc
	v_mul_f64 v[40:41], v[2:3], s[0:1]
	v_mul_f64 v[42:43], v[40:41], s[62:63]
	v_rndne_f64_e32 v[42:43], v[42:43]
	v_fma_f64 v[44:45], s[58:59], v[42:43], v[40:41]
	v_fmac_f64_e32 v[44:45], s[60:61], v[42:43]
	v_fma_f64 v[48:49], s[34:35], v[44:45], v[6:7]
	v_fma_f64 v[48:49], v[44:45], v[48:49], s[38:39]
	;; [unrolled: 1-line block ×9, first 2 shown]
	v_fma_f64 v[48:49], v[44:45], v[48:49], 1.0
	v_fma_f64 v[44:45], v[44:45], v[48:49], 1.0
	v_cvt_i32_f64_e32 v4, v[42:43]
	s_mov_b32 s0, 0x374bc6a8
	v_ldexp_f64 v[42:43], v[44:45], v4
	s_mov_b32 s1, 0x3fe84189
	v_mul_f64 v[42:43], v[42:43], s[0:1]
	v_cmp_nlt_f64_e32 vcc, s[54:55], v[40:41]
	v_cmp_ngt_f64_e64 s[0:1], s[56:57], v[40:41]
	s_nop 0
	v_cndmask_b32_e32 v4, v46, v43, vcc
	s_and_b64 vcc, s[0:1], vcc
	v_cndmask_b32_e64 v41, 0, v4, s[0:1]
	s_mov_b32 s0, 0x22d0e560
	v_cndmask_b32_e32 v40, 0, v42, vcc
	s_mov_b32 s1, 0x3fcef9db
	v_fmac_f64_e32 v[40:41], s[0:1], v[28:29]
	s_mov_b32 s0, 0
	s_mov_b32 s1, 0xc0b06800
	v_mul_f64 v[28:29], v[20:21], s[0:1]
	v_mul_f64 v[42:43], v[28:29], s[62:63]
	v_rndne_f64_e32 v[42:43], v[42:43]
	v_fma_f64 v[44:45], s[58:59], v[42:43], v[28:29]
	v_fmac_f64_e32 v[44:45], s[60:61], v[42:43]
	v_fma_f64 v[48:49], s[34:35], v[44:45], v[6:7]
	v_fma_f64 v[48:49], v[44:45], v[48:49], s[38:39]
	;; [unrolled: 1-line block ×9, first 2 shown]
	v_fma_f64 v[48:49], v[44:45], v[48:49], 1.0
	v_fma_f64 v[44:45], v[44:45], v[48:49], 1.0
	v_cvt_i32_f64_e32 v4, v[42:43]
	v_ldexp_f64 v[42:43], v[44:45], v4
	v_cmp_nlt_f64_e32 vcc, s[54:55], v[28:29]
	v_cmp_ngt_f64_e64 s[0:1], s[56:57], v[28:29]
	s_nop 0
	v_cndmask_b32_e32 v4, v46, v43, vcc
	s_and_b64 vcc, s[0:1], vcc
	v_cndmask_b32_e32 v28, 0, v42, vcc
	v_cndmask_b32_e64 v29, 0, v4, s[0:1]
	v_add_f64 v[28:29], v[28:29], v[40:41]
	v_max_f64 v[28:29], v[28:29], s[2:3]
	v_frexp_mant_f64_e32 v[40:41], v[28:29]
	v_cmp_gt_f64_e32 vcc, s[4:5], v[40:41]
	v_frexp_exp_i32_f64_e32 v4, v[28:29]
	s_nop 0
	v_cndmask_b32_e64 v27, 0, 1, vcc
	v_ldexp_f64 v[40:41], v[40:41], v27
	v_add_f64 v[44:45], v[40:41], 1.0
	v_add_f64 v[48:49], v[44:45], -1.0
	v_add_f64 v[42:43], v[40:41], -1.0
	v_add_f64 v[40:41], v[40:41], -v[48:49]
	v_rcp_f64_e32 v[48:49], v[44:45]
	v_subbrev_co_u32_e32 v4, vcc, 0, v4, vcc
	v_cmp_neq_f64_e32 vcc, s[36:37], v[28:29]
	v_fma_f64 v[50:51], -v[44:45], v[48:49], 1.0
	v_fmac_f64_e32 v[48:49], v[50:51], v[48:49]
	v_fma_f64 v[50:51], -v[44:45], v[48:49], 1.0
	v_fmac_f64_e32 v[48:49], v[50:51], v[48:49]
	v_mul_f64 v[50:51], v[42:43], v[48:49]
	v_mul_f64 v[52:53], v[44:45], v[50:51]
	v_fma_f64 v[44:45], v[50:51], v[44:45], -v[52:53]
	v_fmac_f64_e32 v[44:45], v[50:51], v[40:41]
	v_add_f64 v[40:41], v[52:53], v[44:45]
	v_add_f64 v[54:55], v[42:43], -v[40:41]
	v_add_f64 v[52:53], v[40:41], -v[52:53]
	;; [unrolled: 1-line block ×5, first 2 shown]
	v_add_f64 v[40:41], v[42:43], v[40:41]
	v_add_f64 v[40:41], v[54:55], v[40:41]
	v_mul_f64 v[40:41], v[48:49], v[40:41]
	v_add_f64 v[42:43], v[50:51], v[40:41]
	v_add_f64 v[44:45], v[42:43], -v[50:51]
	v_add_f64 v[40:41], v[40:41], -v[44:45]
	v_mul_f64 v[44:45], v[42:43], v[42:43]
	v_fma_f64 v[48:49], s[6:7], v[44:45], v[0:1]
	v_fma_f64 v[48:49], v[44:45], v[48:49], s[14:15]
	;; [unrolled: 1-line block ×6, first 2 shown]
	v_ldexp_f64 v[50:51], v[42:43], 1
	v_mul_f64 v[42:43], v[42:43], v[44:45]
	v_mul_f64 v[42:43], v[42:43], v[48:49]
	v_add_f64 v[44:45], v[50:51], v[42:43]
	v_add_f64 v[48:49], v[44:45], -v[50:51]
	v_ldexp_f64 v[40:41], v[40:41], 1
	v_add_f64 v[42:43], v[42:43], -v[48:49]
	v_add_f64 v[40:41], v[40:41], v[42:43]
	v_add_f64 v[42:43], v[44:45], v[40:41]
	v_add_f64 v[44:45], v[42:43], -v[44:45]
	v_add_f64 v[40:41], v[40:41], -v[44:45]
	v_cvt_f64_i32_e32 v[44:45], v4
	v_mul_f64 v[48:49], v[44:45], s[24:25]
	v_fma_f64 v[50:51], v[44:45], s[24:25], -v[48:49]
	v_fmac_f64_e32 v[50:51], s[26:27], v[44:45]
	v_add_f64 v[44:45], v[48:49], v[50:51]
	v_add_f64 v[48:49], v[44:45], -v[48:49]
	v_add_f64 v[48:49], v[50:51], -v[48:49]
	v_mul_f64 v[50:51], v[42:43], s[28:29]
	v_fma_f64 v[52:53], v[42:43], s[28:29], -v[50:51]
	v_fmac_f64_e32 v[52:53], s[28:29], v[40:41]
	v_fmac_f64_e32 v[52:53], s[30:31], v[42:43]
	v_add_f64 v[40:41], v[50:51], v[52:53]
	v_add_f64 v[42:43], v[40:41], -v[50:51]
	v_add_f64 v[50:51], v[44:45], v[40:41]
	v_add_f64 v[42:43], v[52:53], -v[42:43]
	v_add_f64 v[52:53], v[50:51], -v[44:45]
	;; [unrolled: 1-line block ×5, first 2 shown]
	v_add_f64 v[40:41], v[40:41], v[44:45]
	v_add_f64 v[44:45], v[48:49], v[42:43]
	v_add_f64 v[52:53], v[44:45], -v[48:49]
	v_add_f64 v[54:55], v[44:45], -v[52:53]
	v_add_f64 v[40:41], v[44:45], v[40:41]
	v_add_f64 v[48:49], v[48:49], -v[54:55]
	v_add_f64 v[42:43], v[42:43], -v[52:53]
	v_add_f64 v[44:45], v[50:51], v[40:41]
	v_add_f64 v[42:43], v[42:43], v[48:49]
	v_add_f64 v[48:49], v[44:45], -v[50:51]
	v_add_f64 v[40:41], v[40:41], -v[48:49]
	v_add_f64 v[40:41], v[42:43], v[40:41]
	v_add_f64 v[40:41], v[44:45], v[40:41]
	v_cndmask_b32_e32 v29, v46, v41, vcc
	v_cndmask_b32_e32 v28, 0, v40, vcc
	v_fma_f64 v[42:43], s[66:67], v[28:29], v[18:19]
	v_fma_f64 v[40:41], s[64:65], v[28:29], v[16:17]
	v_add_f64 v[38:39], v[38:39], -v[42:43]
	v_fmac_f64_e32 v[40:41], s[68:69], v[38:39]
	v_div_scale_f64 v[42:43], s[0:1], v[40:41], v[40:41], 1.0
	v_rcp_f64_e32 v[44:45], v[42:43]
	s_nop 0
	v_fma_f64 v[48:49], -v[42:43], v[44:45], 1.0
	v_fmac_f64_e32 v[44:45], v[44:45], v[48:49]
	v_fma_f64 v[48:49], -v[42:43], v[44:45], 1.0
	v_fmac_f64_e32 v[44:45], v[44:45], v[48:49]
	v_div_scale_f64 v[48:49], vcc, 1.0, v[40:41], 1.0
	v_mul_f64 v[50:51], v[48:49], v[44:45]
	v_fma_f64 v[42:43], -v[42:43], v[50:51], v[48:49]
	s_nop 1
	v_div_fmas_f64 v[42:43], v[42:43], v[44:45], v[50:51]
	v_div_fixup_f64 v[40:41], v[42:43], v[40:41], 1.0
	v_mul_f64 v[38:39], v[38:39], v[40:41]
	v_fma_f64 v[38:39], v[38:39], v[38:39], 1.0
	v_div_scale_f64 v[40:41], s[0:1], v[38:39], v[38:39], 1.0
	v_rcp_f64_e32 v[42:43], v[40:41]
	s_nop 0
	v_fma_f64 v[44:45], -v[40:41], v[42:43], 1.0
	v_fmac_f64_e32 v[42:43], v[42:43], v[44:45]
	v_fma_f64 v[44:45], -v[40:41], v[42:43], 1.0
	v_fmac_f64_e32 v[42:43], v[42:43], v[44:45]
	v_div_scale_f64 v[44:45], vcc, 1.0, v[38:39], 1.0
	v_mul_f64 v[48:49], v[44:45], v[42:43]
	v_fma_f64 v[40:41], -v[40:41], v[48:49], v[44:45]
	s_nop 1
	v_div_fmas_f64 v[40:41], v[40:41], v[42:43], v[48:49]
	v_div_fixup_f64 v[38:39], v[40:41], v[38:39], 1.0
	v_mul_f64 v[28:29], v[28:29], v[38:39]
	v_mul_f64 v[38:39], v[28:29], s[70:71]
	v_rndne_f64_e32 v[38:39], v[38:39]
	v_fma_f64 v[40:41], s[72:73], v[38:39], v[28:29]
	v_fmac_f64_e32 v[40:41], s[74:75], v[38:39]
	v_mul_f64 v[42:43], v[40:41], s[76:77]
	v_fmac_f64_e32 v[42:43], s[78:79], v[40:41]
	v_fma_f64 v[40:41], s[34:35], v[42:43], v[6:7]
	v_fma_f64 v[40:41], v[42:43], v[40:41], s[38:39]
	v_fma_f64 v[40:41], v[42:43], v[40:41], s[40:41]
	v_fma_f64 v[40:41], v[42:43], v[40:41], s[42:43]
	v_fma_f64 v[40:41], v[42:43], v[40:41], s[44:45]
	v_fma_f64 v[40:41], v[42:43], v[40:41], s[46:47]
	v_fma_f64 v[40:41], v[42:43], v[40:41], s[48:49]
	v_fma_f64 v[40:41], v[42:43], v[40:41], s[50:51]
	v_fma_f64 v[40:41], v[42:43], v[40:41], s[52:53]
	v_fma_f64 v[40:41], v[42:43], v[40:41], 1.0
	v_fma_f64 v[40:41], v[42:43], v[40:41], 1.0
	v_cvt_i32_f64_e32 v4, v[38:39]
	v_ldexp_f64 v[38:39], v[40:41], v4
	v_cmp_nlt_f64_e32 vcc, s[54:55], v[28:29]
	v_cmp_ngt_f64_e64 s[0:1], s[56:57], v[28:29]
	s_nop 0
	v_cndmask_b32_e32 v4, v46, v39, vcc
	s_and_b64 vcc, s[0:1], vcc
	v_cndmask_b32_e32 v28, 0, v38, vcc
	v_cndmask_b32_e64 v29, 0, v4, s[0:1]
	v_mul_f64 v[28:29], v[36:37], v[28:29]
	v_mul_f64 v[34:35], v[34:35], v[28:29]
	global_store_dwordx2 v[32:33], v[34:35], off
	global_load_dwordx2 v[32:33], v[30:31], off
	s_waitcnt vmcnt(0)
	v_mul_f64 v[28:29], v[32:33], v[28:29]
	global_load_dwordx2 v[32:33], v[24:25], off
	v_mad_u64_u32 v[24:25], s[0:1], s33, 7, v[26:27]
	v_mov_b32_e32 v25, v5
	v_lshlrev_b64 v[26:27], 3, v[24:25]
	global_store_dwordx2 v[30:31], v[28:29], off
	v_lshl_add_u64 v[28:29], s[8:9], 0, v[26:27]
	global_load_dwordx2 v[30:31], v[28:29], off
	v_lshl_add_u64 v[26:27], s[10:11], 0, v[26:27]
	s_waitcnt vmcnt(0)
	v_div_scale_f64 v[34:35], s[0:1], v[30:31], v[30:31], 1.0
	v_rcp_f64_e32 v[36:37], v[34:35]
	s_nop 0
	v_fma_f64 v[38:39], -v[34:35], v[36:37], 1.0
	v_fmac_f64_e32 v[36:37], v[36:37], v[38:39]
	v_fma_f64 v[38:39], -v[34:35], v[36:37], 1.0
	v_fmac_f64_e32 v[36:37], v[36:37], v[38:39]
	v_div_scale_f64 v[38:39], vcc, 1.0, v[30:31], 1.0
	v_mul_f64 v[40:41], v[38:39], v[36:37]
	v_fma_f64 v[34:35], -v[34:35], v[40:41], v[38:39]
	s_nop 1
	v_div_fmas_f64 v[34:35], v[34:35], v[36:37], v[40:41]
	v_div_fixup_f64 v[34:35], v[34:35], v[30:31], 1.0
	v_mul_f64 v[34:35], v[12:13], v[34:35]
	v_mul_f64 v[36:37], v[32:33], v[34:35]
	v_fma_f64 v[32:33], v[32:33], v[34:35], 1.0
	v_div_scale_f64 v[34:35], s[0:1], v[32:33], v[32:33], 1.0
	v_rcp_f64_e32 v[38:39], v[34:35]
	s_mov_b32 s0, 0x14c1bad0
	s_mov_b32 s1, 0xbf8bacf9
	v_fma_f64 v[40:41], -v[34:35], v[38:39], 1.0
	v_fmac_f64_e32 v[38:39], v[38:39], v[40:41]
	v_fma_f64 v[40:41], -v[34:35], v[38:39], 1.0
	v_fmac_f64_e32 v[38:39], v[38:39], v[40:41]
	v_div_scale_f64 v[40:41], vcc, 1.0, v[32:33], 1.0
	v_mul_f64 v[42:43], v[40:41], v[38:39]
	v_fma_f64 v[34:35], -v[34:35], v[42:43], v[40:41]
	s_nop 1
	v_div_fmas_f64 v[34:35], v[34:35], v[38:39], v[42:43]
	v_div_fixup_f64 v[32:33], v[34:35], v[32:33], 1.0
	v_max_f64 v[34:35], v[36:37], s[2:3]
	v_mul_f64 v[32:33], v[36:37], v[32:33]
	v_frexp_mant_f64_e32 v[36:37], v[34:35]
	v_cmp_gt_f64_e32 vcc, s[4:5], v[36:37]
	v_frexp_exp_i32_f64_e32 v4, v[34:35]
	s_nop 0
	v_cndmask_b32_e64 v25, 0, 1, vcc
	v_ldexp_f64 v[36:37], v[36:37], v25
	v_add_f64 v[40:41], v[36:37], 1.0
	v_add_f64 v[42:43], v[40:41], -1.0
	v_add_f64 v[38:39], v[36:37], -1.0
	v_add_f64 v[36:37], v[36:37], -v[42:43]
	v_rcp_f64_e32 v[42:43], v[40:41]
	v_subbrev_co_u32_e32 v4, vcc, 0, v4, vcc
	v_cmp_neq_f64_e32 vcc, s[36:37], v[34:35]
	v_fma_f64 v[44:45], -v[40:41], v[42:43], 1.0
	v_fmac_f64_e32 v[42:43], v[44:45], v[42:43]
	v_fma_f64 v[44:45], -v[40:41], v[42:43], 1.0
	v_fmac_f64_e32 v[42:43], v[44:45], v[42:43]
	v_mul_f64 v[44:45], v[38:39], v[42:43]
	v_mul_f64 v[48:49], v[40:41], v[44:45]
	v_fma_f64 v[40:41], v[44:45], v[40:41], -v[48:49]
	v_fmac_f64_e32 v[40:41], v[44:45], v[36:37]
	v_add_f64 v[36:37], v[48:49], v[40:41]
	v_add_f64 v[50:51], v[38:39], -v[36:37]
	v_add_f64 v[48:49], v[36:37], -v[48:49]
	;; [unrolled: 1-line block ×5, first 2 shown]
	v_add_f64 v[36:37], v[38:39], v[36:37]
	v_add_f64 v[36:37], v[50:51], v[36:37]
	v_mul_f64 v[36:37], v[42:43], v[36:37]
	v_add_f64 v[38:39], v[44:45], v[36:37]
	v_add_f64 v[40:41], v[38:39], -v[44:45]
	v_add_f64 v[36:37], v[36:37], -v[40:41]
	v_mul_f64 v[40:41], v[38:39], v[38:39]
	v_fma_f64 v[42:43], s[6:7], v[40:41], v[0:1]
	v_fma_f64 v[42:43], v[40:41], v[42:43], s[14:15]
	v_fma_f64 v[42:43], v[40:41], v[42:43], s[16:17]
	v_fma_f64 v[42:43], v[40:41], v[42:43], s[18:19]
	v_fma_f64 v[42:43], v[40:41], v[42:43], s[20:21]
	v_fma_f64 v[42:43], v[40:41], v[42:43], s[22:23]
	v_ldexp_f64 v[44:45], v[38:39], 1
	v_mul_f64 v[38:39], v[38:39], v[40:41]
	v_mul_f64 v[38:39], v[38:39], v[42:43]
	v_add_f64 v[40:41], v[44:45], v[38:39]
	v_add_f64 v[42:43], v[40:41], -v[44:45]
	v_ldexp_f64 v[36:37], v[36:37], 1
	v_add_f64 v[38:39], v[38:39], -v[42:43]
	v_add_f64 v[36:37], v[36:37], v[38:39]
	v_add_f64 v[38:39], v[40:41], v[36:37]
	v_add_f64 v[40:41], v[38:39], -v[40:41]
	v_add_f64 v[36:37], v[36:37], -v[40:41]
	v_cvt_f64_i32_e32 v[40:41], v4
	v_mul_f64 v[42:43], v[40:41], s[24:25]
	v_fma_f64 v[44:45], v[40:41], s[24:25], -v[42:43]
	v_fmac_f64_e32 v[44:45], s[26:27], v[40:41]
	v_add_f64 v[40:41], v[42:43], v[44:45]
	v_add_f64 v[42:43], v[40:41], -v[42:43]
	v_add_f64 v[42:43], v[44:45], -v[42:43]
	v_mul_f64 v[44:45], v[38:39], s[28:29]
	v_fma_f64 v[48:49], v[38:39], s[28:29], -v[44:45]
	v_fmac_f64_e32 v[48:49], s[28:29], v[36:37]
	v_fmac_f64_e32 v[48:49], s[30:31], v[38:39]
	v_add_f64 v[36:37], v[44:45], v[48:49]
	v_add_f64 v[38:39], v[36:37], -v[44:45]
	v_add_f64 v[44:45], v[40:41], v[36:37]
	v_add_f64 v[38:39], v[48:49], -v[38:39]
	v_add_f64 v[48:49], v[44:45], -v[40:41]
	;; [unrolled: 1-line block ×5, first 2 shown]
	v_add_f64 v[36:37], v[36:37], v[40:41]
	v_add_f64 v[40:41], v[42:43], v[38:39]
	v_add_f64 v[48:49], v[40:41], -v[42:43]
	v_add_f64 v[50:51], v[40:41], -v[48:49]
	v_add_f64 v[36:37], v[40:41], v[36:37]
	v_add_f64 v[42:43], v[42:43], -v[50:51]
	v_add_f64 v[38:39], v[38:39], -v[48:49]
	v_add_f64 v[40:41], v[44:45], v[36:37]
	v_add_f64 v[38:39], v[38:39], v[42:43]
	v_add_f64 v[42:43], v[40:41], -v[44:45]
	v_add_f64 v[36:37], v[36:37], -v[42:43]
	v_add_f64 v[36:37], v[38:39], v[36:37]
	v_add_f64 v[36:37], v[40:41], v[36:37]
	v_cndmask_b32_e32 v35, v46, v37, vcc
	v_cndmask_b32_e32 v34, 0, v36, vcc
	v_mul_f64 v[36:37], v[2:3], s[0:1]
	v_mul_f64 v[38:39], v[36:37], s[62:63]
	v_rndne_f64_e32 v[38:39], v[38:39]
	v_fma_f64 v[40:41], s[58:59], v[38:39], v[36:37]
	v_fmac_f64_e32 v[40:41], s[60:61], v[38:39]
	v_fma_f64 v[42:43], s[34:35], v[40:41], v[6:7]
	v_fma_f64 v[42:43], v[40:41], v[42:43], s[38:39]
	;; [unrolled: 1-line block ×9, first 2 shown]
	v_fma_f64 v[42:43], v[40:41], v[42:43], 1.0
	v_fma_f64 v[40:41], v[40:41], v[42:43], 1.0
	v_cvt_i32_f64_e32 v4, v[38:39]
	s_mov_b32 s0, 0xef9db22d
	v_ldexp_f64 v[38:39], v[40:41], v4
	s_mov_b32 s1, 0x3fcbc6a7
	v_mul_f64 v[38:39], v[38:39], s[0:1]
	v_cmp_nlt_f64_e32 vcc, s[54:55], v[36:37]
	v_cmp_ngt_f64_e64 s[0:1], s[56:57], v[36:37]
	s_nop 0
	v_cndmask_b32_e32 v4, v46, v39, vcc
	s_and_b64 vcc, s[0:1], vcc
	v_cndmask_b32_e64 v37, 0, v4, s[0:1]
	s_mov_b32 s0, 0x80d3b1a9
	s_mov_b32 s1, 0xbf364898
	v_cndmask_b32_e32 v36, 0, v38, vcc
	v_mul_f64 v[38:39], v[2:3], s[0:1]
	v_mul_f64 v[40:41], v[38:39], s[62:63]
	v_rndne_f64_e32 v[40:41], v[40:41]
	v_fma_f64 v[42:43], s[58:59], v[40:41], v[38:39]
	v_fmac_f64_e32 v[42:43], s[60:61], v[40:41]
	v_fma_f64 v[44:45], s[34:35], v[42:43], v[6:7]
	v_fma_f64 v[44:45], v[42:43], v[44:45], s[38:39]
	;; [unrolled: 1-line block ×9, first 2 shown]
	v_fma_f64 v[44:45], v[42:43], v[44:45], 1.0
	v_fma_f64 v[42:43], v[42:43], v[44:45], 1.0
	v_cvt_i32_f64_e32 v4, v[40:41]
	s_mov_b32 s0, 0x4189375
	v_ldexp_f64 v[40:41], v[42:43], v4
	s_mov_b32 s1, 0x3fe90e56
	v_mul_f64 v[40:41], v[40:41], s[0:1]
	v_cmp_nlt_f64_e32 vcc, s[54:55], v[38:39]
	v_cmp_ngt_f64_e64 s[0:1], s[56:57], v[38:39]
	s_nop 0
	v_cndmask_b32_e32 v4, v46, v41, vcc
	s_and_b64 vcc, s[0:1], vcc
	v_cndmask_b32_e64 v39, 0, v4, s[0:1]
	s_mov_b32 s0, 0
	v_cndmask_b32_e32 v38, 0, v40, vcc
	s_mov_b32 s1, 0xc0bb3400
	v_add_f64 v[36:37], v[36:37], v[38:39]
	v_mul_f64 v[38:39], v[20:21], s[0:1]
	v_mul_f64 v[40:41], v[38:39], s[62:63]
	v_rndne_f64_e32 v[40:41], v[40:41]
	v_fma_f64 v[42:43], s[58:59], v[40:41], v[38:39]
	v_fmac_f64_e32 v[42:43], s[60:61], v[40:41]
	v_fma_f64 v[44:45], s[34:35], v[42:43], v[6:7]
	v_fma_f64 v[44:45], v[42:43], v[44:45], s[38:39]
	;; [unrolled: 1-line block ×9, first 2 shown]
	v_fma_f64 v[44:45], v[42:43], v[44:45], 1.0
	v_fma_f64 v[42:43], v[42:43], v[44:45], 1.0
	v_cvt_i32_f64_e32 v4, v[40:41]
	v_ldexp_f64 v[40:41], v[42:43], v4
	v_cmp_nlt_f64_e32 vcc, s[54:55], v[38:39]
	v_cmp_ngt_f64_e64 s[0:1], s[56:57], v[38:39]
	s_nop 0
	v_cndmask_b32_e32 v4, v46, v41, vcc
	s_and_b64 vcc, s[0:1], vcc
	v_cndmask_b32_e32 v38, 0, v40, vcc
	v_cndmask_b32_e64 v39, 0, v4, s[0:1]
	v_add_f64 v[36:37], v[38:39], v[36:37]
	v_max_f64 v[36:37], v[36:37], s[2:3]
	v_frexp_mant_f64_e32 v[38:39], v[36:37]
	v_cmp_gt_f64_e32 vcc, s[4:5], v[38:39]
	v_frexp_exp_i32_f64_e32 v4, v[36:37]
	s_nop 0
	v_cndmask_b32_e64 v25, 0, 1, vcc
	v_ldexp_f64 v[38:39], v[38:39], v25
	v_add_f64 v[42:43], v[38:39], 1.0
	v_add_f64 v[44:45], v[42:43], -1.0
	v_add_f64 v[40:41], v[38:39], -1.0
	v_add_f64 v[38:39], v[38:39], -v[44:45]
	v_rcp_f64_e32 v[44:45], v[42:43]
	v_subbrev_co_u32_e32 v4, vcc, 0, v4, vcc
	v_cmp_neq_f64_e32 vcc, s[36:37], v[36:37]
	v_fma_f64 v[48:49], -v[42:43], v[44:45], 1.0
	v_fmac_f64_e32 v[44:45], v[48:49], v[44:45]
	v_fma_f64 v[48:49], -v[42:43], v[44:45], 1.0
	v_fmac_f64_e32 v[44:45], v[48:49], v[44:45]
	v_mul_f64 v[48:49], v[40:41], v[44:45]
	v_mul_f64 v[50:51], v[42:43], v[48:49]
	v_fma_f64 v[42:43], v[48:49], v[42:43], -v[50:51]
	v_fmac_f64_e32 v[42:43], v[48:49], v[38:39]
	v_add_f64 v[38:39], v[50:51], v[42:43]
	v_add_f64 v[52:53], v[40:41], -v[38:39]
	v_add_f64 v[50:51], v[38:39], -v[50:51]
	;; [unrolled: 1-line block ×5, first 2 shown]
	v_add_f64 v[38:39], v[40:41], v[38:39]
	v_add_f64 v[38:39], v[52:53], v[38:39]
	v_mul_f64 v[38:39], v[44:45], v[38:39]
	v_add_f64 v[40:41], v[48:49], v[38:39]
	v_add_f64 v[42:43], v[40:41], -v[48:49]
	v_add_f64 v[38:39], v[38:39], -v[42:43]
	v_mul_f64 v[42:43], v[40:41], v[40:41]
	v_fma_f64 v[44:45], s[6:7], v[42:43], v[0:1]
	v_fma_f64 v[44:45], v[42:43], v[44:45], s[14:15]
	;; [unrolled: 1-line block ×6, first 2 shown]
	v_ldexp_f64 v[48:49], v[40:41], 1
	v_mul_f64 v[40:41], v[40:41], v[42:43]
	v_mul_f64 v[40:41], v[40:41], v[44:45]
	v_add_f64 v[42:43], v[48:49], v[40:41]
	v_add_f64 v[44:45], v[42:43], -v[48:49]
	v_ldexp_f64 v[38:39], v[38:39], 1
	v_add_f64 v[40:41], v[40:41], -v[44:45]
	v_add_f64 v[38:39], v[38:39], v[40:41]
	v_add_f64 v[40:41], v[42:43], v[38:39]
	v_add_f64 v[42:43], v[40:41], -v[42:43]
	v_add_f64 v[38:39], v[38:39], -v[42:43]
	v_cvt_f64_i32_e32 v[42:43], v4
	v_mul_f64 v[44:45], v[42:43], s[24:25]
	v_fma_f64 v[48:49], v[42:43], s[24:25], -v[44:45]
	v_fmac_f64_e32 v[48:49], s[26:27], v[42:43]
	v_add_f64 v[42:43], v[44:45], v[48:49]
	v_add_f64 v[44:45], v[42:43], -v[44:45]
	v_add_f64 v[44:45], v[48:49], -v[44:45]
	v_mul_f64 v[48:49], v[40:41], s[28:29]
	v_fma_f64 v[50:51], v[40:41], s[28:29], -v[48:49]
	v_fmac_f64_e32 v[50:51], s[28:29], v[38:39]
	v_fmac_f64_e32 v[50:51], s[30:31], v[40:41]
	v_add_f64 v[38:39], v[48:49], v[50:51]
	v_add_f64 v[40:41], v[38:39], -v[48:49]
	v_add_f64 v[48:49], v[42:43], v[38:39]
	v_add_f64 v[40:41], v[50:51], -v[40:41]
	v_add_f64 v[50:51], v[48:49], -v[42:43]
	;; [unrolled: 1-line block ×5, first 2 shown]
	v_add_f64 v[38:39], v[38:39], v[42:43]
	v_add_f64 v[42:43], v[44:45], v[40:41]
	v_add_f64 v[50:51], v[42:43], -v[44:45]
	v_add_f64 v[52:53], v[42:43], -v[50:51]
	v_add_f64 v[38:39], v[42:43], v[38:39]
	v_add_f64 v[44:45], v[44:45], -v[52:53]
	v_add_f64 v[40:41], v[40:41], -v[50:51]
	v_add_f64 v[42:43], v[48:49], v[38:39]
	v_add_f64 v[40:41], v[40:41], v[44:45]
	v_add_f64 v[44:45], v[42:43], -v[48:49]
	v_add_f64 v[38:39], v[38:39], -v[44:45]
	v_add_f64 v[38:39], v[40:41], v[38:39]
	v_add_f64 v[38:39], v[42:43], v[38:39]
	v_cndmask_b32_e32 v37, v46, v39, vcc
	v_cndmask_b32_e32 v36, 0, v38, vcc
	v_fma_f64 v[40:41], s[66:67], v[36:37], v[18:19]
	v_fma_f64 v[38:39], s[64:65], v[36:37], v[16:17]
	v_add_f64 v[34:35], v[34:35], -v[40:41]
	v_fmac_f64_e32 v[38:39], s[68:69], v[34:35]
	v_div_scale_f64 v[40:41], s[0:1], v[38:39], v[38:39], 1.0
	v_rcp_f64_e32 v[42:43], v[40:41]
	s_nop 0
	v_fma_f64 v[44:45], -v[40:41], v[42:43], 1.0
	v_fmac_f64_e32 v[42:43], v[42:43], v[44:45]
	v_fma_f64 v[44:45], -v[40:41], v[42:43], 1.0
	v_fmac_f64_e32 v[42:43], v[42:43], v[44:45]
	v_div_scale_f64 v[44:45], vcc, 1.0, v[38:39], 1.0
	v_mul_f64 v[48:49], v[44:45], v[42:43]
	v_fma_f64 v[40:41], -v[40:41], v[48:49], v[44:45]
	s_nop 1
	v_div_fmas_f64 v[40:41], v[40:41], v[42:43], v[48:49]
	v_div_fixup_f64 v[38:39], v[40:41], v[38:39], 1.0
	v_mul_f64 v[34:35], v[34:35], v[38:39]
	v_fma_f64 v[34:35], v[34:35], v[34:35], 1.0
	v_div_scale_f64 v[38:39], s[0:1], v[34:35], v[34:35], 1.0
	v_rcp_f64_e32 v[40:41], v[38:39]
	s_nop 0
	v_fma_f64 v[42:43], -v[38:39], v[40:41], 1.0
	v_fmac_f64_e32 v[40:41], v[40:41], v[42:43]
	v_fma_f64 v[42:43], -v[38:39], v[40:41], 1.0
	v_fmac_f64_e32 v[40:41], v[40:41], v[42:43]
	v_div_scale_f64 v[42:43], vcc, 1.0, v[34:35], 1.0
	v_mul_f64 v[44:45], v[42:43], v[40:41]
	v_fma_f64 v[38:39], -v[38:39], v[44:45], v[42:43]
	s_nop 1
	v_div_fmas_f64 v[38:39], v[38:39], v[40:41], v[44:45]
	v_div_fixup_f64 v[34:35], v[38:39], v[34:35], 1.0
	v_mul_f64 v[34:35], v[36:37], v[34:35]
	v_mul_f64 v[36:37], v[34:35], s[70:71]
	v_rndne_f64_e32 v[36:37], v[36:37]
	v_fma_f64 v[38:39], s[72:73], v[36:37], v[34:35]
	v_fmac_f64_e32 v[38:39], s[74:75], v[36:37]
	v_mul_f64 v[40:41], v[38:39], s[76:77]
	v_fmac_f64_e32 v[40:41], s[78:79], v[38:39]
	v_fma_f64 v[38:39], s[34:35], v[40:41], v[6:7]
	v_fma_f64 v[38:39], v[40:41], v[38:39], s[38:39]
	;; [unrolled: 1-line block ×9, first 2 shown]
	v_fma_f64 v[38:39], v[40:41], v[38:39], 1.0
	v_fma_f64 v[38:39], v[40:41], v[38:39], 1.0
	v_cvt_i32_f64_e32 v4, v[36:37]
	v_ldexp_f64 v[36:37], v[38:39], v4
	v_cmp_nlt_f64_e32 vcc, s[54:55], v[34:35]
	v_cmp_ngt_f64_e64 s[0:1], s[56:57], v[34:35]
	s_nop 0
	v_cndmask_b32_e32 v4, v46, v37, vcc
	s_and_b64 vcc, s[0:1], vcc
	v_cndmask_b32_e32 v34, 0, v36, vcc
	v_cndmask_b32_e64 v35, 0, v4, s[0:1]
	v_mul_f64 v[32:33], v[32:33], v[34:35]
	v_mul_f64 v[30:31], v[30:31], v[32:33]
	global_store_dwordx2 v[28:29], v[30:31], off
	global_load_dwordx2 v[28:29], v[26:27], off
	s_mul_i32 s0, s33, 0xffffffbb
	v_add_u32_e32 v4, s0, v24
	s_mul_i32 s0, s33, 0x50
	v_lshl_add_u64 v[24:25], v[4:5], 3, s[12:13]
	v_add_u32_e32 v4, s0, v4
	global_load_dwordx2 v[30:31], v[24:25], off
	v_lshlrev_b64 v[24:25], 3, v[4:5]
	v_lshl_add_u32 v4, s33, 2, v4
	s_waitcnt vmcnt(1)
	v_mul_f64 v[28:29], v[28:29], v[32:33]
	global_store_dwordx2 v[26:27], v[28:29], off
	v_lshl_add_u64 v[26:27], s[8:9], 0, v[24:25]
	global_load_dwordx2 v[28:29], v[26:27], off
	v_lshl_add_u64 v[24:25], s[10:11], 0, v[24:25]
	s_waitcnt vmcnt(0)
	v_div_scale_f64 v[32:33], s[0:1], v[28:29], v[28:29], 1.0
	v_rcp_f64_e32 v[34:35], v[32:33]
	s_nop 0
	v_fma_f64 v[36:37], -v[32:33], v[34:35], 1.0
	v_fmac_f64_e32 v[34:35], v[34:35], v[36:37]
	v_fma_f64 v[36:37], -v[32:33], v[34:35], 1.0
	v_fmac_f64_e32 v[34:35], v[34:35], v[36:37]
	v_div_scale_f64 v[36:37], vcc, 1.0, v[28:29], 1.0
	v_mul_f64 v[38:39], v[36:37], v[34:35]
	v_fma_f64 v[32:33], -v[32:33], v[38:39], v[36:37]
	s_nop 1
	v_div_fmas_f64 v[32:33], v[32:33], v[34:35], v[38:39]
	v_div_fixup_f64 v[32:33], v[32:33], v[28:29], 1.0
	v_mul_f64 v[32:33], v[12:13], v[32:33]
	v_mul_f64 v[34:35], v[30:31], v[32:33]
	v_fma_f64 v[30:31], v[30:31], v[32:33], 1.0
	v_div_scale_f64 v[32:33], s[0:1], v[30:31], v[30:31], 1.0
	v_rcp_f64_e32 v[36:37], v[32:33]
	s_mov_b32 s0, 0x251e9ea8
	s_mov_b32 s1, 0xbfb393ee
	v_fma_f64 v[38:39], -v[32:33], v[36:37], 1.0
	v_fmac_f64_e32 v[36:37], v[36:37], v[38:39]
	v_fma_f64 v[38:39], -v[32:33], v[36:37], 1.0
	v_fmac_f64_e32 v[36:37], v[36:37], v[38:39]
	v_div_scale_f64 v[38:39], vcc, 1.0, v[30:31], 1.0
	v_mul_f64 v[40:41], v[38:39], v[36:37]
	v_fma_f64 v[32:33], -v[32:33], v[40:41], v[38:39]
	s_nop 1
	v_div_fmas_f64 v[32:33], v[32:33], v[36:37], v[40:41]
	v_div_fixup_f64 v[30:31], v[32:33], v[30:31], 1.0
	v_max_f64 v[32:33], v[34:35], s[2:3]
	v_mul_f64 v[30:31], v[34:35], v[30:31]
	v_frexp_mant_f64_e32 v[34:35], v[32:33]
	v_cmp_gt_f64_e32 vcc, s[4:5], v[34:35]
	v_frexp_exp_i32_f64_e32 v36, v[32:33]
	s_nop 0
	v_cndmask_b32_e64 v37, 0, 1, vcc
	v_ldexp_f64 v[34:35], v[34:35], v37
	v_add_f64 v[38:39], v[34:35], 1.0
	v_add_f64 v[40:41], v[38:39], -1.0
	v_subbrev_co_u32_e32 v47, vcc, 0, v36, vcc
	v_add_f64 v[36:37], v[34:35], -1.0
	v_add_f64 v[34:35], v[34:35], -v[40:41]
	v_rcp_f64_e32 v[40:41], v[38:39]
	v_cmp_neq_f64_e32 vcc, s[36:37], v[32:33]
	v_fma_f64 v[42:43], -v[38:39], v[40:41], 1.0
	v_fmac_f64_e32 v[40:41], v[42:43], v[40:41]
	v_fma_f64 v[42:43], -v[38:39], v[40:41], 1.0
	v_fmac_f64_e32 v[40:41], v[42:43], v[40:41]
	v_mul_f64 v[42:43], v[36:37], v[40:41]
	v_mul_f64 v[44:45], v[38:39], v[42:43]
	v_fma_f64 v[38:39], v[42:43], v[38:39], -v[44:45]
	v_fmac_f64_e32 v[38:39], v[42:43], v[34:35]
	v_add_f64 v[34:35], v[44:45], v[38:39]
	v_add_f64 v[48:49], v[36:37], -v[34:35]
	v_add_f64 v[44:45], v[34:35], -v[44:45]
	v_add_f64 v[36:37], v[36:37], -v[48:49]
	v_add_f64 v[34:35], v[36:37], -v[34:35]
	v_add_f64 v[36:37], v[44:45], -v[38:39]
	v_add_f64 v[34:35], v[36:37], v[34:35]
	v_add_f64 v[34:35], v[48:49], v[34:35]
	v_mul_f64 v[34:35], v[40:41], v[34:35]
	v_add_f64 v[36:37], v[42:43], v[34:35]
	v_add_f64 v[38:39], v[36:37], -v[42:43]
	v_add_f64 v[34:35], v[34:35], -v[38:39]
	v_mul_f64 v[38:39], v[36:37], v[36:37]
	v_fma_f64 v[40:41], s[6:7], v[38:39], v[0:1]
	v_fma_f64 v[40:41], v[38:39], v[40:41], s[14:15]
	;; [unrolled: 1-line block ×6, first 2 shown]
	v_ldexp_f64 v[42:43], v[36:37], 1
	v_mul_f64 v[36:37], v[36:37], v[38:39]
	v_mul_f64 v[36:37], v[36:37], v[40:41]
	v_add_f64 v[38:39], v[42:43], v[36:37]
	v_add_f64 v[40:41], v[38:39], -v[42:43]
	v_ldexp_f64 v[34:35], v[34:35], 1
	v_add_f64 v[36:37], v[36:37], -v[40:41]
	v_add_f64 v[34:35], v[34:35], v[36:37]
	v_add_f64 v[36:37], v[38:39], v[34:35]
	v_add_f64 v[38:39], v[36:37], -v[38:39]
	v_add_f64 v[34:35], v[34:35], -v[38:39]
	v_cvt_f64_i32_e32 v[38:39], v47
	v_mul_f64 v[40:41], v[38:39], s[24:25]
	v_fma_f64 v[42:43], v[38:39], s[24:25], -v[40:41]
	v_fmac_f64_e32 v[42:43], s[26:27], v[38:39]
	v_add_f64 v[38:39], v[40:41], v[42:43]
	v_add_f64 v[40:41], v[38:39], -v[40:41]
	v_add_f64 v[40:41], v[42:43], -v[40:41]
	v_mul_f64 v[42:43], v[36:37], s[28:29]
	v_fma_f64 v[44:45], v[36:37], s[28:29], -v[42:43]
	v_fmac_f64_e32 v[44:45], s[28:29], v[34:35]
	v_fmac_f64_e32 v[44:45], s[30:31], v[36:37]
	v_add_f64 v[34:35], v[42:43], v[44:45]
	v_add_f64 v[36:37], v[34:35], -v[42:43]
	v_add_f64 v[42:43], v[38:39], v[34:35]
	v_add_f64 v[36:37], v[44:45], -v[36:37]
	v_add_f64 v[44:45], v[42:43], -v[38:39]
	;; [unrolled: 1-line block ×5, first 2 shown]
	v_add_f64 v[34:35], v[34:35], v[38:39]
	v_add_f64 v[38:39], v[40:41], v[36:37]
	v_add_f64 v[44:45], v[38:39], -v[40:41]
	v_add_f64 v[48:49], v[38:39], -v[44:45]
	v_add_f64 v[34:35], v[38:39], v[34:35]
	v_add_f64 v[40:41], v[40:41], -v[48:49]
	v_add_f64 v[36:37], v[36:37], -v[44:45]
	v_add_f64 v[38:39], v[42:43], v[34:35]
	v_add_f64 v[36:37], v[36:37], v[40:41]
	v_add_f64 v[40:41], v[38:39], -v[42:43]
	v_add_f64 v[34:35], v[34:35], -v[40:41]
	v_add_f64 v[34:35], v[36:37], v[34:35]
	v_add_f64 v[34:35], v[38:39], v[34:35]
	v_cndmask_b32_e32 v33, v46, v35, vcc
	v_cndmask_b32_e32 v32, 0, v34, vcc
	v_mul_f64 v[34:35], v[2:3], s[0:1]
	v_mul_f64 v[36:37], v[34:35], s[62:63]
	v_rndne_f64_e32 v[36:37], v[36:37]
	v_fma_f64 v[38:39], s[58:59], v[36:37], v[34:35]
	v_fmac_f64_e32 v[38:39], s[60:61], v[36:37]
	v_fma_f64 v[40:41], s[34:35], v[38:39], v[6:7]
	v_fma_f64 v[40:41], v[38:39], v[40:41], s[38:39]
	;; [unrolled: 1-line block ×9, first 2 shown]
	v_fma_f64 v[40:41], v[38:39], v[40:41], 1.0
	v_fma_f64 v[38:39], v[38:39], v[40:41], 1.0
	v_cvt_i32_f64_e32 v36, v[36:37]
	s_mov_b32 s0, 0x240b7803
	v_ldexp_f64 v[36:37], v[38:39], v36
	s_mov_b32 s1, 0x3fd87e28
	v_mul_f64 v[36:37], v[36:37], s[0:1]
	v_cmp_nlt_f64_e32 vcc, s[54:55], v[34:35]
	v_cmp_ngt_f64_e64 s[0:1], s[56:57], v[34:35]
	s_nop 0
	v_cndmask_b32_e32 v37, v46, v37, vcc
	s_and_b64 vcc, s[0:1], vcc
	v_cndmask_b32_e64 v35, 0, v37, s[0:1]
	s_mov_b32 s0, 0x80dcc421
	s_mov_b32 s1, 0xbf3f89bb
	v_cndmask_b32_e32 v34, 0, v36, vcc
	v_mul_f64 v[36:37], v[2:3], s[0:1]
	v_mul_f64 v[38:39], v[36:37], s[62:63]
	v_rndne_f64_e32 v[38:39], v[38:39]
	v_fma_f64 v[40:41], s[58:59], v[38:39], v[36:37]
	v_fmac_f64_e32 v[40:41], s[60:61], v[38:39]
	v_fma_f64 v[42:43], s[34:35], v[40:41], v[6:7]
	v_fma_f64 v[42:43], v[40:41], v[42:43], s[38:39]
	;; [unrolled: 1-line block ×9, first 2 shown]
	v_fma_f64 v[42:43], v[40:41], v[42:43], 1.0
	v_fma_f64 v[40:41], v[40:41], v[42:43], 1.0
	v_cvt_i32_f64_e32 v38, v[38:39]
	s_mov_b32 s0, 0xedfa43fe
	v_ldexp_f64 v[38:39], v[40:41], v38
	s_mov_b32 s1, 0x3fe3c0eb
	v_mul_f64 v[38:39], v[38:39], s[0:1]
	v_cmp_nlt_f64_e32 vcc, s[54:55], v[36:37]
	v_cmp_ngt_f64_e64 s[0:1], s[56:57], v[36:37]
	s_nop 0
	v_cndmask_b32_e32 v39, v46, v39, vcc
	s_and_b64 vcc, s[0:1], vcc
	v_cndmask_b32_e64 v37, 0, v39, s[0:1]
	s_mov_b32 s0, 0
	v_cndmask_b32_e32 v36, 0, v38, vcc
	s_mov_b32 s1, 0xc0b3e500
	v_add_f64 v[34:35], v[34:35], v[36:37]
	v_mul_f64 v[36:37], v[20:21], s[0:1]
	v_mul_f64 v[38:39], v[36:37], s[62:63]
	v_rndne_f64_e32 v[38:39], v[38:39]
	v_fma_f64 v[40:41], s[58:59], v[38:39], v[36:37]
	v_fmac_f64_e32 v[40:41], s[60:61], v[38:39]
	v_fma_f64 v[42:43], s[34:35], v[40:41], v[6:7]
	v_fma_f64 v[42:43], v[40:41], v[42:43], s[38:39]
	v_fma_f64 v[42:43], v[40:41], v[42:43], s[40:41]
	v_fma_f64 v[42:43], v[40:41], v[42:43], s[42:43]
	v_fma_f64 v[42:43], v[40:41], v[42:43], s[44:45]
	v_fma_f64 v[42:43], v[40:41], v[42:43], s[46:47]
	v_fma_f64 v[42:43], v[40:41], v[42:43], s[48:49]
	v_fma_f64 v[42:43], v[40:41], v[42:43], s[50:51]
	v_fma_f64 v[42:43], v[40:41], v[42:43], s[52:53]
	v_fma_f64 v[42:43], v[40:41], v[42:43], 1.0
	v_fma_f64 v[40:41], v[40:41], v[42:43], 1.0
	v_cvt_i32_f64_e32 v38, v[38:39]
	v_ldexp_f64 v[38:39], v[40:41], v38
	v_cmp_nlt_f64_e32 vcc, s[54:55], v[36:37]
	v_cmp_ngt_f64_e64 s[0:1], s[56:57], v[36:37]
	s_nop 0
	v_cndmask_b32_e32 v39, v46, v39, vcc
	s_and_b64 vcc, s[0:1], vcc
	v_cndmask_b32_e32 v36, 0, v38, vcc
	v_cndmask_b32_e64 v37, 0, v39, s[0:1]
	v_add_f64 v[34:35], v[36:37], v[34:35]
	v_max_f64 v[34:35], v[34:35], s[2:3]
	v_frexp_mant_f64_e32 v[36:37], v[34:35]
	v_cmp_gt_f64_e32 vcc, s[4:5], v[36:37]
	v_frexp_exp_i32_f64_e32 v38, v[34:35]
	s_nop 0
	v_cndmask_b32_e64 v39, 0, 1, vcc
	v_ldexp_f64 v[36:37], v[36:37], v39
	v_add_f64 v[40:41], v[36:37], 1.0
	v_add_f64 v[42:43], v[40:41], -1.0
	v_subbrev_co_u32_e32 v47, vcc, 0, v38, vcc
	v_add_f64 v[38:39], v[36:37], -1.0
	v_add_f64 v[36:37], v[36:37], -v[42:43]
	v_rcp_f64_e32 v[42:43], v[40:41]
	v_cmp_neq_f64_e32 vcc, s[36:37], v[34:35]
	v_fma_f64 v[44:45], -v[40:41], v[42:43], 1.0
	v_fmac_f64_e32 v[42:43], v[44:45], v[42:43]
	v_fma_f64 v[44:45], -v[40:41], v[42:43], 1.0
	v_fmac_f64_e32 v[42:43], v[44:45], v[42:43]
	v_mul_f64 v[44:45], v[38:39], v[42:43]
	v_mul_f64 v[48:49], v[40:41], v[44:45]
	v_fma_f64 v[40:41], v[44:45], v[40:41], -v[48:49]
	v_fmac_f64_e32 v[40:41], v[44:45], v[36:37]
	v_add_f64 v[36:37], v[48:49], v[40:41]
	v_add_f64 v[50:51], v[38:39], -v[36:37]
	v_add_f64 v[48:49], v[36:37], -v[48:49]
	v_add_f64 v[38:39], v[38:39], -v[50:51]
	v_add_f64 v[36:37], v[38:39], -v[36:37]
	v_add_f64 v[38:39], v[48:49], -v[40:41]
	v_add_f64 v[36:37], v[38:39], v[36:37]
	v_add_f64 v[36:37], v[50:51], v[36:37]
	v_mul_f64 v[36:37], v[42:43], v[36:37]
	v_add_f64 v[38:39], v[44:45], v[36:37]
	v_add_f64 v[40:41], v[38:39], -v[44:45]
	v_add_f64 v[36:37], v[36:37], -v[40:41]
	v_mul_f64 v[40:41], v[38:39], v[38:39]
	v_fma_f64 v[42:43], s[6:7], v[40:41], v[0:1]
	v_fma_f64 v[42:43], v[40:41], v[42:43], s[14:15]
	;; [unrolled: 1-line block ×6, first 2 shown]
	v_ldexp_f64 v[44:45], v[38:39], 1
	v_mul_f64 v[38:39], v[38:39], v[40:41]
	v_mul_f64 v[38:39], v[38:39], v[42:43]
	v_add_f64 v[40:41], v[44:45], v[38:39]
	v_add_f64 v[42:43], v[40:41], -v[44:45]
	v_ldexp_f64 v[36:37], v[36:37], 1
	v_add_f64 v[38:39], v[38:39], -v[42:43]
	v_add_f64 v[36:37], v[36:37], v[38:39]
	v_add_f64 v[38:39], v[40:41], v[36:37]
	v_add_f64 v[40:41], v[38:39], -v[40:41]
	v_add_f64 v[36:37], v[36:37], -v[40:41]
	v_cvt_f64_i32_e32 v[40:41], v47
	v_mul_f64 v[42:43], v[40:41], s[24:25]
	v_fma_f64 v[44:45], v[40:41], s[24:25], -v[42:43]
	v_fmac_f64_e32 v[44:45], s[26:27], v[40:41]
	v_add_f64 v[40:41], v[42:43], v[44:45]
	v_add_f64 v[42:43], v[40:41], -v[42:43]
	v_add_f64 v[42:43], v[44:45], -v[42:43]
	v_mul_f64 v[44:45], v[38:39], s[28:29]
	v_fma_f64 v[48:49], v[38:39], s[28:29], -v[44:45]
	v_fmac_f64_e32 v[48:49], s[28:29], v[36:37]
	v_fmac_f64_e32 v[48:49], s[30:31], v[38:39]
	v_add_f64 v[36:37], v[44:45], v[48:49]
	v_add_f64 v[38:39], v[36:37], -v[44:45]
	v_add_f64 v[44:45], v[40:41], v[36:37]
	v_add_f64 v[38:39], v[48:49], -v[38:39]
	v_add_f64 v[48:49], v[44:45], -v[40:41]
	;; [unrolled: 1-line block ×5, first 2 shown]
	v_add_f64 v[36:37], v[36:37], v[40:41]
	v_add_f64 v[40:41], v[42:43], v[38:39]
	v_add_f64 v[48:49], v[40:41], -v[42:43]
	v_add_f64 v[50:51], v[40:41], -v[48:49]
	v_add_f64 v[36:37], v[40:41], v[36:37]
	v_add_f64 v[42:43], v[42:43], -v[50:51]
	v_add_f64 v[38:39], v[38:39], -v[48:49]
	v_add_f64 v[40:41], v[44:45], v[36:37]
	v_add_f64 v[38:39], v[38:39], v[42:43]
	v_add_f64 v[42:43], v[40:41], -v[44:45]
	v_add_f64 v[36:37], v[36:37], -v[42:43]
	v_add_f64 v[36:37], v[38:39], v[36:37]
	v_add_f64 v[36:37], v[40:41], v[36:37]
	v_cndmask_b32_e32 v35, v46, v37, vcc
	v_cndmask_b32_e32 v34, 0, v36, vcc
	v_fma_f64 v[38:39], s[66:67], v[34:35], v[18:19]
	v_fma_f64 v[36:37], s[64:65], v[34:35], v[16:17]
	v_add_f64 v[32:33], v[32:33], -v[38:39]
	v_fmac_f64_e32 v[36:37], s[68:69], v[32:33]
	v_div_scale_f64 v[38:39], s[0:1], v[36:37], v[36:37], 1.0
	v_rcp_f64_e32 v[40:41], v[38:39]
	s_nop 0
	v_fma_f64 v[42:43], -v[38:39], v[40:41], 1.0
	v_fmac_f64_e32 v[40:41], v[40:41], v[42:43]
	v_fma_f64 v[42:43], -v[38:39], v[40:41], 1.0
	v_fmac_f64_e32 v[40:41], v[40:41], v[42:43]
	v_div_scale_f64 v[42:43], vcc, 1.0, v[36:37], 1.0
	v_mul_f64 v[44:45], v[42:43], v[40:41]
	v_fma_f64 v[38:39], -v[38:39], v[44:45], v[42:43]
	s_nop 1
	v_div_fmas_f64 v[38:39], v[38:39], v[40:41], v[44:45]
	v_div_fixup_f64 v[36:37], v[38:39], v[36:37], 1.0
	v_mul_f64 v[32:33], v[32:33], v[36:37]
	v_fma_f64 v[32:33], v[32:33], v[32:33], 1.0
	v_div_scale_f64 v[36:37], s[0:1], v[32:33], v[32:33], 1.0
	v_rcp_f64_e32 v[38:39], v[36:37]
	s_nop 0
	v_fma_f64 v[40:41], -v[36:37], v[38:39], 1.0
	v_fmac_f64_e32 v[38:39], v[38:39], v[40:41]
	v_fma_f64 v[40:41], -v[36:37], v[38:39], 1.0
	v_fmac_f64_e32 v[38:39], v[38:39], v[40:41]
	v_div_scale_f64 v[40:41], vcc, 1.0, v[32:33], 1.0
	v_mul_f64 v[42:43], v[40:41], v[38:39]
	v_fma_f64 v[36:37], -v[36:37], v[42:43], v[40:41]
	s_nop 1
	v_div_fmas_f64 v[36:37], v[36:37], v[38:39], v[42:43]
	v_div_fixup_f64 v[32:33], v[36:37], v[32:33], 1.0
	v_mul_f64 v[32:33], v[34:35], v[32:33]
	v_mul_f64 v[34:35], v[32:33], s[70:71]
	v_rndne_f64_e32 v[34:35], v[34:35]
	v_fma_f64 v[36:37], s[72:73], v[34:35], v[32:33]
	v_fmac_f64_e32 v[36:37], s[74:75], v[34:35]
	v_mul_f64 v[38:39], v[36:37], s[76:77]
	v_fmac_f64_e32 v[38:39], s[78:79], v[36:37]
	v_fma_f64 v[36:37], s[34:35], v[38:39], v[6:7]
	v_fma_f64 v[36:37], v[38:39], v[36:37], s[38:39]
	v_fma_f64 v[36:37], v[38:39], v[36:37], s[40:41]
	v_fma_f64 v[36:37], v[38:39], v[36:37], s[42:43]
	v_fma_f64 v[36:37], v[38:39], v[36:37], s[44:45]
	v_fma_f64 v[36:37], v[38:39], v[36:37], s[46:47]
	v_fma_f64 v[36:37], v[38:39], v[36:37], s[48:49]
	v_fma_f64 v[36:37], v[38:39], v[36:37], s[50:51]
	v_fma_f64 v[36:37], v[38:39], v[36:37], s[52:53]
	v_fma_f64 v[36:37], v[38:39], v[36:37], 1.0
	v_fma_f64 v[36:37], v[38:39], v[36:37], 1.0
	v_cvt_i32_f64_e32 v34, v[34:35]
	v_ldexp_f64 v[34:35], v[36:37], v34
	v_cmp_nlt_f64_e32 vcc, s[54:55], v[32:33]
	v_cmp_ngt_f64_e64 s[0:1], s[56:57], v[32:33]
	s_nop 0
	v_cndmask_b32_e32 v35, v46, v35, vcc
	s_and_b64 vcc, s[0:1], vcc
	v_cndmask_b32_e32 v32, 0, v34, vcc
	v_cndmask_b32_e64 v33, 0, v35, s[0:1]
	v_mul_f64 v[30:31], v[30:31], v[32:33]
	v_mul_f64 v[28:29], v[28:29], v[30:31]
	global_store_dwordx2 v[26:27], v[28:29], off
	global_load_dwordx2 v[26:27], v[24:25], off
	s_waitcnt vmcnt(0)
	v_mul_f64 v[26:27], v[26:27], v[30:31]
	global_load_dwordx2 v[28:29], v[22:23], off
	v_lshlrev_b64 v[22:23], 3, v[4:5]
	global_store_dwordx2 v[24:25], v[26:27], off
	v_lshl_add_u64 v[24:25], s[8:9], 0, v[22:23]
	global_load_dwordx2 v[26:27], v[24:25], off
	v_lshl_add_u64 v[22:23], s[10:11], 0, v[22:23]
	s_waitcnt vmcnt(0)
	v_div_scale_f64 v[30:31], s[0:1], v[26:27], v[26:27], 1.0
	v_rcp_f64_e32 v[32:33], v[30:31]
	s_nop 0
	v_fma_f64 v[34:35], -v[30:31], v[32:33], 1.0
	v_fmac_f64_e32 v[32:33], v[32:33], v[34:35]
	v_fma_f64 v[34:35], -v[30:31], v[32:33], 1.0
	v_fmac_f64_e32 v[32:33], v[32:33], v[34:35]
	v_div_scale_f64 v[34:35], vcc, 1.0, v[26:27], 1.0
	v_mul_f64 v[36:37], v[34:35], v[32:33]
	v_fma_f64 v[30:31], -v[30:31], v[36:37], v[34:35]
	s_nop 1
	v_div_fmas_f64 v[30:31], v[30:31], v[32:33], v[36:37]
	v_div_fixup_f64 v[30:31], v[30:31], v[26:27], 1.0
	v_mul_f64 v[30:31], v[12:13], v[30:31]
	v_mul_f64 v[32:33], v[28:29], v[30:31]
	v_fma_f64 v[28:29], v[28:29], v[30:31], 1.0
	v_div_scale_f64 v[30:31], s[0:1], v[28:29], v[28:29], 1.0
	v_rcp_f64_e32 v[34:35], v[30:31]
	s_mov_b32 s0, 0x406c80d9
	s_mov_b32 s1, 0xbf7b2036
	v_fma_f64 v[36:37], -v[30:31], v[34:35], 1.0
	v_fmac_f64_e32 v[34:35], v[34:35], v[36:37]
	v_fma_f64 v[36:37], -v[30:31], v[34:35], 1.0
	v_fmac_f64_e32 v[34:35], v[34:35], v[36:37]
	v_div_scale_f64 v[36:37], vcc, 1.0, v[28:29], 1.0
	v_mul_f64 v[38:39], v[36:37], v[34:35]
	v_fma_f64 v[30:31], -v[30:31], v[38:39], v[36:37]
	s_nop 1
	v_div_fmas_f64 v[30:31], v[30:31], v[34:35], v[38:39]
	v_div_fixup_f64 v[28:29], v[30:31], v[28:29], 1.0
	v_max_f64 v[30:31], v[32:33], s[2:3]
	v_mul_f64 v[28:29], v[32:33], v[28:29]
	v_frexp_mant_f64_e32 v[32:33], v[30:31]
	v_cmp_gt_f64_e32 vcc, s[4:5], v[32:33]
	v_frexp_exp_i32_f64_e32 v34, v[30:31]
	s_nop 0
	v_cndmask_b32_e64 v35, 0, 1, vcc
	v_ldexp_f64 v[32:33], v[32:33], v35
	v_add_f64 v[36:37], v[32:33], 1.0
	v_add_f64 v[38:39], v[36:37], -1.0
	v_subbrev_co_u32_e32 v47, vcc, 0, v34, vcc
	v_add_f64 v[34:35], v[32:33], -1.0
	v_add_f64 v[32:33], v[32:33], -v[38:39]
	v_rcp_f64_e32 v[38:39], v[36:37]
	v_cmp_neq_f64_e32 vcc, s[36:37], v[30:31]
	v_fma_f64 v[40:41], -v[36:37], v[38:39], 1.0
	v_fmac_f64_e32 v[38:39], v[40:41], v[38:39]
	v_fma_f64 v[40:41], -v[36:37], v[38:39], 1.0
	v_fmac_f64_e32 v[38:39], v[40:41], v[38:39]
	v_mul_f64 v[40:41], v[34:35], v[38:39]
	v_mul_f64 v[42:43], v[36:37], v[40:41]
	v_fma_f64 v[36:37], v[40:41], v[36:37], -v[42:43]
	v_fmac_f64_e32 v[36:37], v[40:41], v[32:33]
	v_add_f64 v[32:33], v[42:43], v[36:37]
	v_add_f64 v[44:45], v[34:35], -v[32:33]
	v_add_f64 v[42:43], v[32:33], -v[42:43]
	;; [unrolled: 1-line block ×5, first 2 shown]
	v_add_f64 v[32:33], v[34:35], v[32:33]
	v_add_f64 v[32:33], v[44:45], v[32:33]
	v_mul_f64 v[32:33], v[38:39], v[32:33]
	v_add_f64 v[34:35], v[40:41], v[32:33]
	v_add_f64 v[36:37], v[34:35], -v[40:41]
	v_add_f64 v[32:33], v[32:33], -v[36:37]
	v_mul_f64 v[36:37], v[34:35], v[34:35]
	v_fma_f64 v[38:39], s[6:7], v[36:37], v[0:1]
	v_fma_f64 v[38:39], v[36:37], v[38:39], s[14:15]
	;; [unrolled: 1-line block ×6, first 2 shown]
	v_ldexp_f64 v[40:41], v[34:35], 1
	v_mul_f64 v[34:35], v[34:35], v[36:37]
	v_mul_f64 v[34:35], v[34:35], v[38:39]
	v_add_f64 v[36:37], v[40:41], v[34:35]
	v_add_f64 v[38:39], v[36:37], -v[40:41]
	v_ldexp_f64 v[32:33], v[32:33], 1
	v_add_f64 v[34:35], v[34:35], -v[38:39]
	v_add_f64 v[32:33], v[32:33], v[34:35]
	v_add_f64 v[34:35], v[36:37], v[32:33]
	v_add_f64 v[36:37], v[34:35], -v[36:37]
	v_add_f64 v[32:33], v[32:33], -v[36:37]
	v_cvt_f64_i32_e32 v[36:37], v47
	v_mul_f64 v[38:39], v[36:37], s[24:25]
	v_fma_f64 v[40:41], v[36:37], s[24:25], -v[38:39]
	v_fmac_f64_e32 v[40:41], s[26:27], v[36:37]
	v_add_f64 v[36:37], v[38:39], v[40:41]
	v_add_f64 v[38:39], v[36:37], -v[38:39]
	v_add_f64 v[38:39], v[40:41], -v[38:39]
	v_mul_f64 v[40:41], v[34:35], s[28:29]
	v_fma_f64 v[42:43], v[34:35], s[28:29], -v[40:41]
	v_fmac_f64_e32 v[42:43], s[28:29], v[32:33]
	v_fmac_f64_e32 v[42:43], s[30:31], v[34:35]
	v_add_f64 v[32:33], v[40:41], v[42:43]
	v_add_f64 v[34:35], v[32:33], -v[40:41]
	v_add_f64 v[40:41], v[36:37], v[32:33]
	v_add_f64 v[34:35], v[42:43], -v[34:35]
	v_add_f64 v[42:43], v[40:41], -v[36:37]
	;; [unrolled: 1-line block ×5, first 2 shown]
	v_add_f64 v[32:33], v[32:33], v[36:37]
	v_add_f64 v[36:37], v[38:39], v[34:35]
	v_add_f64 v[42:43], v[36:37], -v[38:39]
	v_add_f64 v[44:45], v[36:37], -v[42:43]
	v_add_f64 v[32:33], v[36:37], v[32:33]
	v_add_f64 v[38:39], v[38:39], -v[44:45]
	v_add_f64 v[34:35], v[34:35], -v[42:43]
	v_add_f64 v[36:37], v[40:41], v[32:33]
	v_add_f64 v[34:35], v[34:35], v[38:39]
	v_add_f64 v[38:39], v[36:37], -v[40:41]
	v_add_f64 v[32:33], v[32:33], -v[38:39]
	v_add_f64 v[32:33], v[34:35], v[32:33]
	v_add_f64 v[32:33], v[36:37], v[32:33]
	v_cndmask_b32_e32 v31, v46, v33, vcc
	v_cndmask_b32_e32 v30, 0, v32, vcc
	v_mul_f64 v[32:33], v[2:3], s[0:1]
	v_mul_f64 v[34:35], v[32:33], s[62:63]
	v_rndne_f64_e32 v[34:35], v[34:35]
	v_fma_f64 v[36:37], s[58:59], v[34:35], v[32:33]
	v_fmac_f64_e32 v[36:37], s[60:61], v[34:35]
	v_fma_f64 v[38:39], s[34:35], v[36:37], v[6:7]
	v_fma_f64 v[38:39], v[36:37], v[38:39], s[38:39]
	;; [unrolled: 1-line block ×9, first 2 shown]
	v_fma_f64 v[38:39], v[36:37], v[38:39], 1.0
	v_fma_f64 v[36:37], v[36:37], v[38:39], 1.0
	v_cvt_i32_f64_e32 v34, v[34:35]
	v_ldexp_f64 v[34:35], v[36:37], v34
	s_mov_b32 s1, 0x3fddeb85
	s_mov_b32 s0, s68
	v_mul_f64 v[34:35], v[34:35], s[0:1]
	v_cmp_nlt_f64_e32 vcc, s[54:55], v[32:33]
	v_cmp_ngt_f64_e64 s[0:1], s[56:57], v[32:33]
	s_nop 0
	v_cndmask_b32_e32 v35, v46, v35, vcc
	s_and_b64 vcc, s[0:1], vcc
	v_cndmask_b32_e64 v33, 0, v35, s[0:1]
	s_mov_b32 s0, 0xb6813baf
	s_mov_b32 s1, 0xbf4f9182
	v_cndmask_b32_e32 v32, 0, v34, vcc
	v_mul_f64 v[34:35], v[2:3], s[0:1]
	v_mul_f64 v[36:37], v[34:35], s[62:63]
	v_rndne_f64_e32 v[36:37], v[36:37]
	v_fma_f64 v[38:39], s[58:59], v[36:37], v[34:35]
	v_fmac_f64_e32 v[38:39], s[60:61], v[36:37]
	v_fma_f64 v[40:41], s[34:35], v[38:39], v[6:7]
	v_fma_f64 v[40:41], v[38:39], v[40:41], s[38:39]
	;; [unrolled: 1-line block ×9, first 2 shown]
	v_fma_f64 v[40:41], v[38:39], v[40:41], 1.0
	v_fma_f64 v[38:39], v[38:39], v[40:41], 1.0
	v_cvt_i32_f64_e32 v36, v[36:37]
	s_mov_b32 s0, 0x70a3d70a
	v_ldexp_f64 v[36:37], v[38:39], v36
	s_mov_b32 s1, 0x3fe10a3d
	v_mul_f64 v[36:37], v[36:37], s[0:1]
	v_cmp_nlt_f64_e32 vcc, s[54:55], v[34:35]
	v_cmp_ngt_f64_e64 s[0:1], s[56:57], v[34:35]
	s_nop 0
	v_cndmask_b32_e32 v37, v46, v37, vcc
	s_and_b64 vcc, s[0:1], vcc
	v_cndmask_b32_e64 v35, 0, v37, s[0:1]
	s_mov_b32 s0, 0
	v_cndmask_b32_e32 v34, 0, v36, vcc
	s_mov_b32 s1, 0xc0b36a00
	v_add_f64 v[32:33], v[32:33], v[34:35]
	v_mul_f64 v[34:35], v[20:21], s[0:1]
	v_mul_f64 v[36:37], v[34:35], s[62:63]
	v_rndne_f64_e32 v[36:37], v[36:37]
	v_fma_f64 v[38:39], s[58:59], v[36:37], v[34:35]
	v_fmac_f64_e32 v[38:39], s[60:61], v[36:37]
	v_fma_f64 v[40:41], s[34:35], v[38:39], v[6:7]
	v_fma_f64 v[40:41], v[38:39], v[40:41], s[38:39]
	;; [unrolled: 1-line block ×9, first 2 shown]
	v_fma_f64 v[40:41], v[38:39], v[40:41], 1.0
	v_fma_f64 v[38:39], v[38:39], v[40:41], 1.0
	v_cvt_i32_f64_e32 v36, v[36:37]
	v_ldexp_f64 v[36:37], v[38:39], v36
	v_cmp_nlt_f64_e32 vcc, s[54:55], v[34:35]
	v_cmp_ngt_f64_e64 s[0:1], s[56:57], v[34:35]
	s_nop 0
	v_cndmask_b32_e32 v37, v46, v37, vcc
	s_and_b64 vcc, s[0:1], vcc
	v_cndmask_b32_e32 v34, 0, v36, vcc
	v_cndmask_b32_e64 v35, 0, v37, s[0:1]
	v_add_f64 v[32:33], v[34:35], v[32:33]
	v_max_f64 v[32:33], v[32:33], s[2:3]
	v_frexp_mant_f64_e32 v[34:35], v[32:33]
	v_cmp_gt_f64_e32 vcc, s[4:5], v[34:35]
	v_frexp_exp_i32_f64_e32 v36, v[32:33]
	s_nop 0
	v_cndmask_b32_e64 v37, 0, 1, vcc
	v_ldexp_f64 v[34:35], v[34:35], v37
	v_add_f64 v[38:39], v[34:35], 1.0
	v_add_f64 v[40:41], v[38:39], -1.0
	v_subbrev_co_u32_e32 v47, vcc, 0, v36, vcc
	v_add_f64 v[36:37], v[34:35], -1.0
	v_add_f64 v[34:35], v[34:35], -v[40:41]
	v_rcp_f64_e32 v[40:41], v[38:39]
	v_cmp_neq_f64_e32 vcc, s[36:37], v[32:33]
	v_fma_f64 v[42:43], -v[38:39], v[40:41], 1.0
	v_fmac_f64_e32 v[40:41], v[42:43], v[40:41]
	v_fma_f64 v[42:43], -v[38:39], v[40:41], 1.0
	v_fmac_f64_e32 v[40:41], v[42:43], v[40:41]
	v_mul_f64 v[42:43], v[36:37], v[40:41]
	v_mul_f64 v[44:45], v[38:39], v[42:43]
	v_fma_f64 v[38:39], v[42:43], v[38:39], -v[44:45]
	v_fmac_f64_e32 v[38:39], v[42:43], v[34:35]
	v_add_f64 v[34:35], v[44:45], v[38:39]
	v_add_f64 v[48:49], v[36:37], -v[34:35]
	v_add_f64 v[44:45], v[34:35], -v[44:45]
	;; [unrolled: 1-line block ×5, first 2 shown]
	v_add_f64 v[34:35], v[36:37], v[34:35]
	v_add_f64 v[34:35], v[48:49], v[34:35]
	v_mul_f64 v[34:35], v[40:41], v[34:35]
	v_add_f64 v[36:37], v[42:43], v[34:35]
	v_add_f64 v[38:39], v[36:37], -v[42:43]
	v_add_f64 v[34:35], v[34:35], -v[38:39]
	v_mul_f64 v[38:39], v[36:37], v[36:37]
	v_fma_f64 v[40:41], s[6:7], v[38:39], v[0:1]
	v_fma_f64 v[40:41], v[38:39], v[40:41], s[14:15]
	;; [unrolled: 1-line block ×6, first 2 shown]
	v_ldexp_f64 v[42:43], v[36:37], 1
	v_mul_f64 v[36:37], v[36:37], v[38:39]
	v_mul_f64 v[36:37], v[36:37], v[40:41]
	v_add_f64 v[38:39], v[42:43], v[36:37]
	v_add_f64 v[40:41], v[38:39], -v[42:43]
	v_ldexp_f64 v[34:35], v[34:35], 1
	v_add_f64 v[36:37], v[36:37], -v[40:41]
	v_add_f64 v[34:35], v[34:35], v[36:37]
	v_add_f64 v[36:37], v[38:39], v[34:35]
	v_add_f64 v[38:39], v[36:37], -v[38:39]
	v_add_f64 v[34:35], v[34:35], -v[38:39]
	v_cvt_f64_i32_e32 v[38:39], v47
	v_mul_f64 v[40:41], v[38:39], s[24:25]
	v_fma_f64 v[42:43], v[38:39], s[24:25], -v[40:41]
	v_fmac_f64_e32 v[42:43], s[26:27], v[38:39]
	v_add_f64 v[38:39], v[40:41], v[42:43]
	v_add_f64 v[40:41], v[38:39], -v[40:41]
	v_add_f64 v[40:41], v[42:43], -v[40:41]
	v_mul_f64 v[42:43], v[36:37], s[28:29]
	v_fma_f64 v[44:45], v[36:37], s[28:29], -v[42:43]
	v_fmac_f64_e32 v[44:45], s[28:29], v[34:35]
	v_fmac_f64_e32 v[44:45], s[30:31], v[36:37]
	v_add_f64 v[34:35], v[42:43], v[44:45]
	v_add_f64 v[36:37], v[34:35], -v[42:43]
	v_add_f64 v[42:43], v[38:39], v[34:35]
	v_add_f64 v[36:37], v[44:45], -v[36:37]
	v_add_f64 v[44:45], v[42:43], -v[38:39]
	;; [unrolled: 1-line block ×5, first 2 shown]
	v_add_f64 v[34:35], v[34:35], v[38:39]
	v_add_f64 v[38:39], v[40:41], v[36:37]
	v_add_f64 v[44:45], v[38:39], -v[40:41]
	v_add_f64 v[48:49], v[38:39], -v[44:45]
	v_add_f64 v[34:35], v[38:39], v[34:35]
	v_add_f64 v[40:41], v[40:41], -v[48:49]
	v_add_f64 v[36:37], v[36:37], -v[44:45]
	v_add_f64 v[38:39], v[42:43], v[34:35]
	v_add_f64 v[36:37], v[36:37], v[40:41]
	v_add_f64 v[40:41], v[38:39], -v[42:43]
	v_add_f64 v[34:35], v[34:35], -v[40:41]
	v_add_f64 v[34:35], v[36:37], v[34:35]
	v_add_f64 v[34:35], v[38:39], v[34:35]
	v_cndmask_b32_e32 v33, v46, v35, vcc
	v_cndmask_b32_e32 v32, 0, v34, vcc
	v_fma_f64 v[36:37], s[66:67], v[32:33], v[18:19]
	v_fma_f64 v[34:35], s[64:65], v[32:33], v[16:17]
	v_add_f64 v[30:31], v[30:31], -v[36:37]
	v_fmac_f64_e32 v[34:35], s[68:69], v[30:31]
	v_div_scale_f64 v[36:37], s[0:1], v[34:35], v[34:35], 1.0
	v_rcp_f64_e32 v[38:39], v[36:37]
	s_nop 0
	v_fma_f64 v[40:41], -v[36:37], v[38:39], 1.0
	v_fmac_f64_e32 v[38:39], v[38:39], v[40:41]
	v_fma_f64 v[40:41], -v[36:37], v[38:39], 1.0
	v_fmac_f64_e32 v[38:39], v[38:39], v[40:41]
	v_div_scale_f64 v[40:41], vcc, 1.0, v[34:35], 1.0
	v_mul_f64 v[42:43], v[40:41], v[38:39]
	v_fma_f64 v[36:37], -v[36:37], v[42:43], v[40:41]
	s_nop 1
	v_div_fmas_f64 v[36:37], v[36:37], v[38:39], v[42:43]
	v_div_fixup_f64 v[34:35], v[36:37], v[34:35], 1.0
	v_mul_f64 v[30:31], v[30:31], v[34:35]
	v_fma_f64 v[30:31], v[30:31], v[30:31], 1.0
	v_div_scale_f64 v[34:35], s[0:1], v[30:31], v[30:31], 1.0
	v_rcp_f64_e32 v[36:37], v[34:35]
	s_nop 0
	v_fma_f64 v[38:39], -v[34:35], v[36:37], 1.0
	v_fmac_f64_e32 v[36:37], v[36:37], v[38:39]
	v_fma_f64 v[38:39], -v[34:35], v[36:37], 1.0
	v_fmac_f64_e32 v[36:37], v[36:37], v[38:39]
	v_div_scale_f64 v[38:39], vcc, 1.0, v[30:31], 1.0
	v_mul_f64 v[40:41], v[38:39], v[36:37]
	v_fma_f64 v[34:35], -v[34:35], v[40:41], v[38:39]
	s_nop 1
	v_div_fmas_f64 v[34:35], v[34:35], v[36:37], v[40:41]
	v_div_fixup_f64 v[30:31], v[34:35], v[30:31], 1.0
	v_mul_f64 v[30:31], v[32:33], v[30:31]
	v_mul_f64 v[32:33], v[30:31], s[70:71]
	v_rndne_f64_e32 v[32:33], v[32:33]
	v_fma_f64 v[34:35], s[72:73], v[32:33], v[30:31]
	v_fmac_f64_e32 v[34:35], s[74:75], v[32:33]
	v_mul_f64 v[36:37], v[34:35], s[76:77]
	v_fmac_f64_e32 v[36:37], s[78:79], v[34:35]
	v_fma_f64 v[34:35], s[34:35], v[36:37], v[6:7]
	v_fma_f64 v[34:35], v[36:37], v[34:35], s[38:39]
	;; [unrolled: 1-line block ×9, first 2 shown]
	v_fma_f64 v[34:35], v[36:37], v[34:35], 1.0
	v_fma_f64 v[34:35], v[36:37], v[34:35], 1.0
	v_cvt_i32_f64_e32 v32, v[32:33]
	v_ldexp_f64 v[32:33], v[34:35], v32
	v_cmp_nlt_f64_e32 vcc, s[54:55], v[30:31]
	v_cmp_ngt_f64_e64 s[0:1], s[56:57], v[30:31]
	s_nop 0
	v_cndmask_b32_e32 v33, v46, v33, vcc
	s_and_b64 vcc, s[0:1], vcc
	v_cndmask_b32_e32 v30, 0, v32, vcc
	v_cndmask_b32_e64 v31, 0, v33, s[0:1]
	v_mul_f64 v[28:29], v[28:29], v[30:31]
	v_mul_f64 v[26:27], v[26:27], v[28:29]
	global_store_dwordx2 v[24:25], v[26:27], off
	global_load_dwordx2 v[24:25], v[22:23], off
	s_waitcnt vmcnt(0)
	v_mul_f64 v[24:25], v[24:25], v[28:29]
	global_store_dwordx2 v[22:23], v[24:25], off
	v_mad_u64_u32 v[22:23], s[0:1], s33, 21, v[4:5]
	v_mov_b32_e32 v23, v5
	v_lshlrev_b64 v[24:25], 3, v[22:23]
	v_lshl_add_u64 v[26:27], s[8:9], 0, v[24:25]
	global_load_dwordx2 v[28:29], v[26:27], off
	v_add_u32_e32 v4, s33, v22
	v_lshlrev_b64 v[4:5], 3, v[4:5]
	s_waitcnt vmcnt(0)
	v_div_scale_f64 v[30:31], s[0:1], v[28:29], v[28:29], 1.0
	v_rcp_f64_e32 v[32:33], v[30:31]
	s_nop 0
	v_fma_f64 v[34:35], -v[30:31], v[32:33], 1.0
	v_fmac_f64_e32 v[32:33], v[32:33], v[34:35]
	v_fma_f64 v[34:35], -v[30:31], v[32:33], 1.0
	v_fmac_f64_e32 v[32:33], v[32:33], v[34:35]
	v_div_scale_f64 v[34:35], vcc, 1.0, v[28:29], 1.0
	v_mul_f64 v[36:37], v[34:35], v[32:33]
	v_fma_f64 v[30:31], -v[30:31], v[36:37], v[34:35]
	s_nop 1
	v_div_fmas_f64 v[30:31], v[30:31], v[32:33], v[36:37]
	v_div_fixup_f64 v[30:31], v[30:31], v[28:29], 1.0
	v_mul_f64 v[14:15], v[14:15], v[30:31]
	v_mul_f64 v[30:31], v[10:11], v[14:15]
	v_fma_f64 v[10:11], v[10:11], v[14:15], 1.0
	v_div_scale_f64 v[14:15], s[0:1], v[10:11], v[10:11], 1.0
	v_rcp_f64_e32 v[32:33], v[14:15]
	s_nop 0
	v_fma_f64 v[34:35], -v[14:15], v[32:33], 1.0
	v_fmac_f64_e32 v[32:33], v[32:33], v[34:35]
	v_fma_f64 v[34:35], -v[14:15], v[32:33], 1.0
	v_fmac_f64_e32 v[32:33], v[32:33], v[34:35]
	v_div_scale_f64 v[34:35], vcc, 1.0, v[10:11], 1.0
	v_mul_f64 v[36:37], v[34:35], v[32:33]
	v_fma_f64 v[14:15], -v[14:15], v[36:37], v[34:35]
	s_nop 1
	v_div_fmas_f64 v[14:15], v[14:15], v[32:33], v[36:37]
	v_div_fixup_f64 v[10:11], v[14:15], v[10:11], 1.0
	v_mul_f64 v[10:11], v[30:31], v[10:11]
	v_mul_f64 v[14:15], v[28:29], v[10:11]
	global_store_dwordx2 v[26:27], v[14:15], off
	v_lshl_add_u64 v[14:15], s[10:11], 0, v[24:25]
	global_load_dwordx2 v[24:25], v[14:15], off
	s_waitcnt vmcnt(0)
	v_mul_f64 v[10:11], v[24:25], v[10:11]
	global_store_dwordx2 v[14:15], v[10:11], off
	global_load_dwordx2 v[14:15], v[8:9], off
	v_lshl_add_u64 v[8:9], s[8:9], 0, v[4:5]
	global_load_dwordx2 v[10:11], v[8:9], off
	s_waitcnt vmcnt(0)
	v_div_scale_f64 v[22:23], s[0:1], v[10:11], v[10:11], 1.0
	v_rcp_f64_e32 v[24:25], v[22:23]
	s_nop 0
	v_fma_f64 v[26:27], -v[22:23], v[24:25], 1.0
	v_fmac_f64_e32 v[24:25], v[24:25], v[26:27]
	v_fma_f64 v[26:27], -v[22:23], v[24:25], 1.0
	v_fmac_f64_e32 v[24:25], v[24:25], v[26:27]
	v_div_scale_f64 v[26:27], vcc, 1.0, v[10:11], 1.0
	v_mul_f64 v[28:29], v[26:27], v[24:25]
	v_fma_f64 v[22:23], -v[22:23], v[28:29], v[26:27]
	s_nop 1
	v_div_fmas_f64 v[22:23], v[22:23], v[24:25], v[28:29]
	v_div_fixup_f64 v[22:23], v[22:23], v[10:11], 1.0
	v_mul_f64 v[12:13], v[12:13], v[22:23]
	v_mul_f64 v[22:23], v[14:15], v[12:13]
	v_fma_f64 v[12:13], v[14:15], v[12:13], 1.0
	v_div_scale_f64 v[14:15], s[0:1], v[12:13], v[12:13], 1.0
	v_rcp_f64_e32 v[24:25], v[14:15]
	s_mov_b32 s0, 0xcf48b83b
	s_mov_b32 s1, 0xbf285898
	v_fma_f64 v[26:27], -v[14:15], v[24:25], 1.0
	v_fmac_f64_e32 v[24:25], v[24:25], v[26:27]
	v_fma_f64 v[26:27], -v[14:15], v[24:25], 1.0
	v_fmac_f64_e32 v[24:25], v[24:25], v[26:27]
	v_div_scale_f64 v[26:27], vcc, 1.0, v[12:13], 1.0
	v_mul_f64 v[28:29], v[26:27], v[24:25]
	v_fma_f64 v[14:15], -v[14:15], v[28:29], v[26:27]
	s_nop 1
	v_div_fmas_f64 v[14:15], v[14:15], v[24:25], v[28:29]
	v_div_fixup_f64 v[12:13], v[14:15], v[12:13], 1.0
	v_max_f64 v[14:15], v[22:23], s[2:3]
	v_mul_f64 v[12:13], v[22:23], v[12:13]
	v_frexp_mant_f64_e32 v[22:23], v[14:15]
	v_cmp_gt_f64_e32 vcc, s[4:5], v[22:23]
	v_frexp_exp_i32_f64_e32 v24, v[14:15]
	s_nop 0
	v_cndmask_b32_e64 v25, 0, 1, vcc
	v_ldexp_f64 v[22:23], v[22:23], v25
	v_add_f64 v[26:27], v[22:23], 1.0
	v_add_f64 v[28:29], v[26:27], -1.0
	v_subbrev_co_u32_e32 v36, vcc, 0, v24, vcc
	v_add_f64 v[24:25], v[22:23], -1.0
	v_add_f64 v[22:23], v[22:23], -v[28:29]
	v_rcp_f64_e32 v[28:29], v[26:27]
	v_cmp_neq_f64_e32 vcc, s[36:37], v[14:15]
	v_fma_f64 v[30:31], -v[26:27], v[28:29], 1.0
	v_fmac_f64_e32 v[28:29], v[30:31], v[28:29]
	v_fma_f64 v[30:31], -v[26:27], v[28:29], 1.0
	v_fmac_f64_e32 v[28:29], v[30:31], v[28:29]
	v_mul_f64 v[30:31], v[24:25], v[28:29]
	v_mul_f64 v[32:33], v[26:27], v[30:31]
	v_fma_f64 v[26:27], v[30:31], v[26:27], -v[32:33]
	v_fmac_f64_e32 v[26:27], v[30:31], v[22:23]
	v_add_f64 v[22:23], v[32:33], v[26:27]
	v_add_f64 v[34:35], v[24:25], -v[22:23]
	v_add_f64 v[32:33], v[22:23], -v[32:33]
	;; [unrolled: 1-line block ×5, first 2 shown]
	v_add_f64 v[22:23], v[24:25], v[22:23]
	v_add_f64 v[22:23], v[34:35], v[22:23]
	v_mul_f64 v[22:23], v[28:29], v[22:23]
	v_add_f64 v[24:25], v[30:31], v[22:23]
	v_add_f64 v[26:27], v[24:25], -v[30:31]
	v_add_f64 v[22:23], v[22:23], -v[26:27]
	v_mul_f64 v[26:27], v[24:25], v[24:25]
	v_fma_f64 v[28:29], s[6:7], v[26:27], v[0:1]
	v_fma_f64 v[28:29], v[26:27], v[28:29], s[14:15]
	;; [unrolled: 1-line block ×6, first 2 shown]
	v_ldexp_f64 v[30:31], v[24:25], 1
	v_mul_f64 v[24:25], v[24:25], v[26:27]
	v_mul_f64 v[24:25], v[24:25], v[28:29]
	v_add_f64 v[26:27], v[30:31], v[24:25]
	v_add_f64 v[28:29], v[26:27], -v[30:31]
	v_ldexp_f64 v[22:23], v[22:23], 1
	v_add_f64 v[24:25], v[24:25], -v[28:29]
	v_add_f64 v[22:23], v[22:23], v[24:25]
	v_add_f64 v[24:25], v[26:27], v[22:23]
	v_add_f64 v[26:27], v[24:25], -v[26:27]
	v_add_f64 v[22:23], v[22:23], -v[26:27]
	v_cvt_f64_i32_e32 v[26:27], v36
	v_mul_f64 v[28:29], v[26:27], s[24:25]
	v_fma_f64 v[30:31], v[26:27], s[24:25], -v[28:29]
	v_fmac_f64_e32 v[30:31], s[26:27], v[26:27]
	v_add_f64 v[26:27], v[28:29], v[30:31]
	v_add_f64 v[28:29], v[26:27], -v[28:29]
	v_add_f64 v[28:29], v[30:31], -v[28:29]
	v_mul_f64 v[30:31], v[24:25], s[28:29]
	v_fma_f64 v[32:33], v[24:25], s[28:29], -v[30:31]
	v_fmac_f64_e32 v[32:33], s[28:29], v[22:23]
	v_fmac_f64_e32 v[32:33], s[30:31], v[24:25]
	v_add_f64 v[22:23], v[30:31], v[32:33]
	v_add_f64 v[24:25], v[22:23], -v[30:31]
	v_add_f64 v[30:31], v[26:27], v[22:23]
	v_add_f64 v[24:25], v[32:33], -v[24:25]
	v_add_f64 v[32:33], v[30:31], -v[26:27]
	;; [unrolled: 1-line block ×5, first 2 shown]
	v_add_f64 v[22:23], v[22:23], v[26:27]
	v_add_f64 v[26:27], v[28:29], v[24:25]
	v_add_f64 v[32:33], v[26:27], -v[28:29]
	v_add_f64 v[34:35], v[26:27], -v[32:33]
	v_add_f64 v[22:23], v[26:27], v[22:23]
	v_add_f64 v[28:29], v[28:29], -v[34:35]
	v_add_f64 v[24:25], v[24:25], -v[32:33]
	v_add_f64 v[26:27], v[30:31], v[22:23]
	v_add_f64 v[24:25], v[24:25], v[28:29]
	v_add_f64 v[28:29], v[26:27], -v[30:31]
	v_add_f64 v[22:23], v[22:23], -v[28:29]
	v_add_f64 v[22:23], v[24:25], v[22:23]
	v_add_f64 v[22:23], v[26:27], v[22:23]
	v_cndmask_b32_e32 v15, v46, v23, vcc
	v_cndmask_b32_e32 v14, 0, v22, vcc
	v_mul_f64 v[22:23], v[2:3], s[0:1]
	v_mul_f64 v[24:25], v[22:23], s[62:63]
	v_rndne_f64_e32 v[24:25], v[24:25]
	v_fma_f64 v[26:27], s[58:59], v[24:25], v[22:23]
	v_fmac_f64_e32 v[26:27], s[60:61], v[24:25]
	v_fma_f64 v[28:29], s[34:35], v[26:27], v[6:7]
	v_fma_f64 v[28:29], v[26:27], v[28:29], s[38:39]
	;; [unrolled: 1-line block ×9, first 2 shown]
	v_fma_f64 v[28:29], v[26:27], v[28:29], 1.0
	v_fma_f64 v[26:27], v[26:27], v[28:29], 1.0
	v_cvt_i32_f64_e32 v24, v[24:25]
	s_mov_b32 s0, 0x67381d7e
	v_ldexp_f64 v[24:25], v[26:27], v24
	s_mov_b32 s1, 0xbfef6944
	v_mul_f64 v[24:25], v[24:25], s[0:1]
	v_cmp_nlt_f64_e32 vcc, s[54:55], v[22:23]
	v_mov_b32_e32 v26, 0xfff00000
	v_cmp_ngt_f64_e64 s[0:1], s[56:57], v[22:23]
	v_cndmask_b32_e32 v25, v26, v25, vcc
	v_bfrev_b32_e32 v23, 1
	s_and_b64 vcc, s[0:1], vcc
	v_cndmask_b32_e64 v23, v23, v25, s[0:1]
	s_mov_b32 s0, 0x1068f29
	s_mov_b32 s1, 0xbfcdd089
	v_mul_f64 v[2:3], v[2:3], s[0:1]
	v_cndmask_b32_e32 v22, 0, v24, vcc
	v_mul_f64 v[24:25], v[2:3], s[62:63]
	v_rndne_f64_e32 v[24:25], v[24:25]
	v_fma_f64 v[26:27], s[58:59], v[24:25], v[2:3]
	v_fmac_f64_e32 v[26:27], s[60:61], v[24:25]
	v_fma_f64 v[28:29], s[34:35], v[26:27], v[6:7]
	v_fma_f64 v[28:29], v[26:27], v[28:29], s[38:39]
	;; [unrolled: 1-line block ×9, first 2 shown]
	v_fma_f64 v[28:29], v[26:27], v[28:29], 1.0
	v_fma_f64 v[26:27], v[26:27], v[28:29], 1.0
	v_cvt_i32_f64_e32 v24, v[24:25]
	s_mov_b32 s0, 0x339c0ebf
	v_ldexp_f64 v[24:25], v[26:27], v24
	s_mov_b32 s1, 0x3fffb4a2
	v_mul_f64 v[24:25], v[24:25], s[0:1]
	v_cmp_nlt_f64_e32 vcc, s[54:55], v[2:3]
	v_cmp_ngt_f64_e64 s[0:1], s[56:57], v[2:3]
	s_nop 0
	v_cndmask_b32_e32 v25, v46, v25, vcc
	s_and_b64 vcc, s[0:1], vcc
	v_cndmask_b32_e64 v3, 0, v25, s[0:1]
	s_mov_b32 s0, 0xac083127
	s_mov_b32 s1, 0x3fb45a1c
	v_cndmask_b32_e32 v2, 0, v24, vcc
	v_mul_f64 v[20:21], v[20:21], s[0:1]
	v_add_f64 v[2:3], v[22:23], v[2:3]
	v_mul_f64 v[22:23], v[20:21], s[62:63]
	v_rndne_f64_e32 v[22:23], v[22:23]
	v_fma_f64 v[24:25], s[58:59], v[22:23], v[20:21]
	v_fmac_f64_e32 v[24:25], s[60:61], v[22:23]
	v_fma_f64 v[26:27], s[34:35], v[24:25], v[6:7]
	v_fma_f64 v[26:27], v[24:25], v[26:27], s[38:39]
	;; [unrolled: 1-line block ×9, first 2 shown]
	v_fma_f64 v[26:27], v[24:25], v[26:27], 1.0
	v_fma_f64 v[24:25], v[24:25], v[26:27], 1.0
	v_cvt_i32_f64_e32 v22, v[22:23]
	v_ldexp_f64 v[22:23], v[24:25], v22
	v_cmp_nlt_f64_e32 vcc, s[54:55], v[20:21]
	v_cmp_ngt_f64_e64 s[0:1], s[56:57], v[20:21]
	s_nop 0
	v_cndmask_b32_e32 v23, v46, v23, vcc
	s_and_b64 vcc, s[0:1], vcc
	v_cndmask_b32_e32 v20, 0, v22, vcc
	v_cndmask_b32_e64 v21, 0, v23, s[0:1]
	v_add_f64 v[2:3], v[20:21], v[2:3]
	v_max_f64 v[2:3], v[2:3], s[2:3]
	v_frexp_mant_f64_e32 v[20:21], v[2:3]
	v_cmp_gt_f64_e32 vcc, s[4:5], v[20:21]
	v_frexp_exp_i32_f64_e32 v22, v[2:3]
	s_nop 0
	v_cndmask_b32_e64 v23, 0, 1, vcc
	v_ldexp_f64 v[20:21], v[20:21], v23
	v_add_f64 v[24:25], v[20:21], 1.0
	v_add_f64 v[26:27], v[24:25], -1.0
	v_subbrev_co_u32_e32 v34, vcc, 0, v22, vcc
	v_add_f64 v[22:23], v[20:21], -1.0
	v_add_f64 v[20:21], v[20:21], -v[26:27]
	v_rcp_f64_e32 v[26:27], v[24:25]
	v_cmp_neq_f64_e32 vcc, s[36:37], v[2:3]
	v_fma_f64 v[28:29], -v[24:25], v[26:27], 1.0
	v_fmac_f64_e32 v[26:27], v[28:29], v[26:27]
	v_fma_f64 v[28:29], -v[24:25], v[26:27], 1.0
	v_fmac_f64_e32 v[26:27], v[28:29], v[26:27]
	v_mul_f64 v[28:29], v[22:23], v[26:27]
	v_mul_f64 v[30:31], v[24:25], v[28:29]
	v_fma_f64 v[24:25], v[28:29], v[24:25], -v[30:31]
	v_fmac_f64_e32 v[24:25], v[28:29], v[20:21]
	v_add_f64 v[20:21], v[30:31], v[24:25]
	v_add_f64 v[32:33], v[22:23], -v[20:21]
	v_add_f64 v[30:31], v[20:21], -v[30:31]
	;; [unrolled: 1-line block ×5, first 2 shown]
	v_add_f64 v[20:21], v[22:23], v[20:21]
	v_add_f64 v[20:21], v[32:33], v[20:21]
	v_mul_f64 v[20:21], v[26:27], v[20:21]
	v_add_f64 v[22:23], v[28:29], v[20:21]
	v_add_f64 v[24:25], v[22:23], -v[28:29]
	v_add_f64 v[20:21], v[20:21], -v[24:25]
	v_mul_f64 v[24:25], v[22:23], v[22:23]
	v_fmac_f64_e32 v[0:1], s[6:7], v[24:25]
	v_fma_f64 v[0:1], v[24:25], v[0:1], s[14:15]
	v_fma_f64 v[0:1], v[24:25], v[0:1], s[16:17]
	;; [unrolled: 1-line block ×5, first 2 shown]
	v_ldexp_f64 v[26:27], v[22:23], 1
	v_mul_f64 v[22:23], v[22:23], v[24:25]
	v_mul_f64 v[0:1], v[22:23], v[0:1]
	v_add_f64 v[22:23], v[26:27], v[0:1]
	v_add_f64 v[24:25], v[22:23], -v[26:27]
	v_ldexp_f64 v[20:21], v[20:21], 1
	v_add_f64 v[0:1], v[0:1], -v[24:25]
	v_add_f64 v[0:1], v[20:21], v[0:1]
	v_add_f64 v[20:21], v[22:23], v[0:1]
	v_add_f64 v[22:23], v[20:21], -v[22:23]
	v_add_f64 v[0:1], v[0:1], -v[22:23]
	v_cvt_f64_i32_e32 v[22:23], v34
	v_mul_f64 v[24:25], v[22:23], s[24:25]
	v_fma_f64 v[26:27], v[22:23], s[24:25], -v[24:25]
	v_fmac_f64_e32 v[26:27], s[26:27], v[22:23]
	v_add_f64 v[22:23], v[24:25], v[26:27]
	v_add_f64 v[24:25], v[22:23], -v[24:25]
	v_add_f64 v[24:25], v[26:27], -v[24:25]
	v_mul_f64 v[26:27], v[20:21], s[28:29]
	v_fma_f64 v[28:29], v[20:21], s[28:29], -v[26:27]
	v_fmac_f64_e32 v[28:29], s[28:29], v[0:1]
	v_fmac_f64_e32 v[28:29], s[30:31], v[20:21]
	v_add_f64 v[0:1], v[26:27], v[28:29]
	v_add_f64 v[20:21], v[0:1], -v[26:27]
	v_add_f64 v[26:27], v[22:23], v[0:1]
	v_add_f64 v[20:21], v[28:29], -v[20:21]
	v_add_f64 v[28:29], v[26:27], -v[22:23]
	;; [unrolled: 1-line block ×5, first 2 shown]
	v_add_f64 v[0:1], v[0:1], v[22:23]
	v_add_f64 v[22:23], v[24:25], v[20:21]
	v_add_f64 v[28:29], v[22:23], -v[24:25]
	v_add_f64 v[30:31], v[22:23], -v[28:29]
	v_add_f64 v[0:1], v[22:23], v[0:1]
	v_add_f64 v[24:25], v[24:25], -v[30:31]
	v_add_f64 v[20:21], v[20:21], -v[28:29]
	v_add_f64 v[22:23], v[26:27], v[0:1]
	v_add_f64 v[20:21], v[20:21], v[24:25]
	v_add_f64 v[24:25], v[22:23], -v[26:27]
	v_add_f64 v[0:1], v[0:1], -v[24:25]
	v_add_f64 v[0:1], v[20:21], v[0:1]
	v_add_f64 v[0:1], v[22:23], v[0:1]
	v_cndmask_b32_e32 v1, v46, v1, vcc
	v_cndmask_b32_e32 v0, 0, v0, vcc
	v_fmac_f64_e32 v[18:19], s[66:67], v[0:1]
	v_fmac_f64_e32 v[16:17], s[64:65], v[0:1]
	v_add_f64 v[2:3], v[14:15], -v[18:19]
	v_fmac_f64_e32 v[16:17], s[68:69], v[2:3]
	v_div_scale_f64 v[14:15], s[0:1], v[16:17], v[16:17], 1.0
	v_rcp_f64_e32 v[18:19], v[14:15]
	s_nop 0
	v_fma_f64 v[20:21], -v[14:15], v[18:19], 1.0
	v_fmac_f64_e32 v[18:19], v[18:19], v[20:21]
	v_fma_f64 v[20:21], -v[14:15], v[18:19], 1.0
	v_fmac_f64_e32 v[18:19], v[18:19], v[20:21]
	v_div_scale_f64 v[20:21], vcc, 1.0, v[16:17], 1.0
	v_mul_f64 v[22:23], v[20:21], v[18:19]
	v_fma_f64 v[14:15], -v[14:15], v[22:23], v[20:21]
	s_nop 1
	v_div_fmas_f64 v[14:15], v[14:15], v[18:19], v[22:23]
	v_div_fixup_f64 v[14:15], v[14:15], v[16:17], 1.0
	v_mul_f64 v[2:3], v[2:3], v[14:15]
	v_fma_f64 v[2:3], v[2:3], v[2:3], 1.0
	v_div_scale_f64 v[14:15], s[0:1], v[2:3], v[2:3], 1.0
	v_rcp_f64_e32 v[16:17], v[14:15]
	s_nop 0
	v_fma_f64 v[18:19], -v[14:15], v[16:17], 1.0
	v_fmac_f64_e32 v[16:17], v[16:17], v[18:19]
	v_fma_f64 v[18:19], -v[14:15], v[16:17], 1.0
	v_fmac_f64_e32 v[16:17], v[16:17], v[18:19]
	v_div_scale_f64 v[18:19], vcc, 1.0, v[2:3], 1.0
	v_mul_f64 v[20:21], v[18:19], v[16:17]
	v_fma_f64 v[14:15], -v[14:15], v[20:21], v[18:19]
	s_nop 1
	v_div_fmas_f64 v[14:15], v[14:15], v[16:17], v[20:21]
	v_div_fixup_f64 v[2:3], v[14:15], v[2:3], 1.0
	v_mul_f64 v[0:1], v[0:1], v[2:3]
	v_mul_f64 v[2:3], v[0:1], s[70:71]
	v_rndne_f64_e32 v[2:3], v[2:3]
	v_fma_f64 v[14:15], s[72:73], v[2:3], v[0:1]
	v_fmac_f64_e32 v[14:15], s[74:75], v[2:3]
	v_mul_f64 v[16:17], v[14:15], s[76:77]
	v_fmac_f64_e32 v[16:17], s[78:79], v[14:15]
	v_fmac_f64_e32 v[6:7], s[34:35], v[16:17]
	v_fma_f64 v[6:7], v[16:17], v[6:7], s[38:39]
	v_fma_f64 v[6:7], v[16:17], v[6:7], s[40:41]
	v_fma_f64 v[6:7], v[16:17], v[6:7], s[42:43]
	v_fma_f64 v[6:7], v[16:17], v[6:7], s[44:45]
	v_fma_f64 v[6:7], v[16:17], v[6:7], s[46:47]
	v_fma_f64 v[6:7], v[16:17], v[6:7], s[48:49]
	v_fma_f64 v[6:7], v[16:17], v[6:7], s[50:51]
	v_fma_f64 v[6:7], v[16:17], v[6:7], s[52:53]
	v_fma_f64 v[6:7], v[16:17], v[6:7], 1.0
	v_fma_f64 v[6:7], v[16:17], v[6:7], 1.0
	v_cvt_i32_f64_e32 v2, v[2:3]
	v_ldexp_f64 v[2:3], v[6:7], v2
	v_cmp_nlt_f64_e32 vcc, s[54:55], v[0:1]
	v_cmp_ngt_f64_e64 s[0:1], s[56:57], v[0:1]
	s_nop 0
	v_cndmask_b32_e32 v3, v46, v3, vcc
	s_and_b64 vcc, s[0:1], vcc
	v_cndmask_b32_e32 v0, 0, v2, vcc
	v_cndmask_b32_e64 v1, 0, v3, s[0:1]
	v_mul_f64 v[0:1], v[12:13], v[0:1]
	v_mul_f64 v[2:3], v[10:11], v[0:1]
	global_store_dwordx2 v[8:9], v[2:3], off
	v_lshl_add_u64 v[2:3], s[10:11], 0, v[4:5]
	global_load_dwordx2 v[4:5], v[2:3], off
	s_waitcnt vmcnt(0)
	v_mul_f64 v[0:1], v[4:5], v[0:1]
	global_store_dwordx2 v[2:3], v[0:1], off
	s_endpgm
	.section	.rodata,"a",@progbits
	.p2align	6, 0x0
	.amdhsa_kernel _Z11ratx_kernelIdEvPKT_S2_PS0_S3_S2_S0_
		.amdhsa_group_segment_fixed_size 0
		.amdhsa_private_segment_fixed_size 0
		.amdhsa_kernarg_size 304
		.amdhsa_user_sgpr_count 2
		.amdhsa_user_sgpr_dispatch_ptr 0
		.amdhsa_user_sgpr_queue_ptr 0
		.amdhsa_user_sgpr_kernarg_segment_ptr 1
		.amdhsa_user_sgpr_dispatch_id 0
		.amdhsa_user_sgpr_kernarg_preload_length 0
		.amdhsa_user_sgpr_kernarg_preload_offset 0
		.amdhsa_user_sgpr_private_segment_size 0
		.amdhsa_uses_dynamic_stack 0
		.amdhsa_enable_private_segment 0
		.amdhsa_system_sgpr_workgroup_id_x 1
		.amdhsa_system_sgpr_workgroup_id_y 0
		.amdhsa_system_sgpr_workgroup_id_z 0
		.amdhsa_system_sgpr_workgroup_info 0
		.amdhsa_system_vgpr_workitem_id 0
		.amdhsa_next_free_vgpr 64
		.amdhsa_next_free_sgpr 80
		.amdhsa_accum_offset 64
		.amdhsa_reserve_vcc 1
		.amdhsa_float_round_mode_32 0
		.amdhsa_float_round_mode_16_64 0
		.amdhsa_float_denorm_mode_32 3
		.amdhsa_float_denorm_mode_16_64 3
		.amdhsa_dx10_clamp 1
		.amdhsa_ieee_mode 1
		.amdhsa_fp16_overflow 0
		.amdhsa_tg_split 0
		.amdhsa_exception_fp_ieee_invalid_op 0
		.amdhsa_exception_fp_denorm_src 0
		.amdhsa_exception_fp_ieee_div_zero 0
		.amdhsa_exception_fp_ieee_overflow 0
		.amdhsa_exception_fp_ieee_underflow 0
		.amdhsa_exception_fp_ieee_inexact 0
		.amdhsa_exception_int_div_zero 0
	.end_amdhsa_kernel
	.section	.text._Z11ratx_kernelIdEvPKT_S2_PS0_S3_S2_S0_,"axG",@progbits,_Z11ratx_kernelIdEvPKT_S2_PS0_S3_S2_S0_,comdat
.Lfunc_end39:
	.size	_Z11ratx_kernelIdEvPKT_S2_PS0_S3_S2_S0_, .Lfunc_end39-_Z11ratx_kernelIdEvPKT_S2_PS0_S3_S2_S0_
                                        ; -- End function
	.set _Z11ratx_kernelIdEvPKT_S2_PS0_S3_S2_S0_.num_vgpr, 64
	.set _Z11ratx_kernelIdEvPKT_S2_PS0_S3_S2_S0_.num_agpr, 0
	.set _Z11ratx_kernelIdEvPKT_S2_PS0_S3_S2_S0_.numbered_sgpr, 80
	.set _Z11ratx_kernelIdEvPKT_S2_PS0_S3_S2_S0_.num_named_barrier, 0
	.set _Z11ratx_kernelIdEvPKT_S2_PS0_S3_S2_S0_.private_seg_size, 0
	.set _Z11ratx_kernelIdEvPKT_S2_PS0_S3_S2_S0_.uses_vcc, 1
	.set _Z11ratx_kernelIdEvPKT_S2_PS0_S3_S2_S0_.uses_flat_scratch, 0
	.set _Z11ratx_kernelIdEvPKT_S2_PS0_S3_S2_S0_.has_dyn_sized_stack, 0
	.set _Z11ratx_kernelIdEvPKT_S2_PS0_S3_S2_S0_.has_recursion, 0
	.set _Z11ratx_kernelIdEvPKT_S2_PS0_S3_S2_S0_.has_indirect_call, 0
	.section	.AMDGPU.csdata,"",@progbits
; Kernel info:
; codeLenInByte = 29916
; TotalNumSgprs: 86
; NumVgprs: 64
; NumAgprs: 0
; TotalNumVgprs: 64
; ScratchSize: 0
; MemoryBound: 0
; FloatMode: 240
; IeeeMode: 1
; LDSByteSize: 0 bytes/workgroup (compile time only)
; SGPRBlocks: 10
; VGPRBlocks: 7
; NumSGPRsForWavesPerEU: 86
; NumVGPRsForWavesPerEU: 64
; AccumOffset: 64
; Occupancy: 8
; WaveLimiterHint : 0
; COMPUTE_PGM_RSRC2:SCRATCH_EN: 0
; COMPUTE_PGM_RSRC2:USER_SGPR: 2
; COMPUTE_PGM_RSRC2:TRAP_HANDLER: 0
; COMPUTE_PGM_RSRC2:TGID_X_EN: 1
; COMPUTE_PGM_RSRC2:TGID_Y_EN: 0
; COMPUTE_PGM_RSRC2:TGID_Z_EN: 0
; COMPUTE_PGM_RSRC2:TIDIG_COMP_CNT: 0
; COMPUTE_PGM_RSRC3_GFX90A:ACCUM_OFFSET: 15
; COMPUTE_PGM_RSRC3_GFX90A:TG_SPLIT: 0
	.section	.text._Z12ratxb_kernelIdEvPKT_S2_PS0_S3_S2_S0_,"axG",@progbits,_Z12ratxb_kernelIdEvPKT_S2_PS0_S3_S2_S0_,comdat
	.protected	_Z12ratxb_kernelIdEvPKT_S2_PS0_S3_S2_S0_ ; -- Begin function _Z12ratxb_kernelIdEvPKT_S2_PS0_S3_S2_S0_
	.globl	_Z12ratxb_kernelIdEvPKT_S2_PS0_S3_S2_S0_
	.p2align	8
	.type	_Z12ratxb_kernelIdEvPKT_S2_PS0_S3_S2_S0_,@function
_Z12ratxb_kernelIdEvPKT_S2_PS0_S3_S2_S0_: ; @_Z12ratxb_kernelIdEvPKT_S2_PS0_S3_S2_S0_
; %bb.0:
	s_load_dwordx8 s[4:11], s[0:1], 0x0
	s_load_dwordx4 s[12:15], s[0:1], 0x20
	s_load_dword s33, s[0:1], 0x30
	s_load_dword s3, s[0:1], 0x3c
	v_mov_b32_e32 v5, 0
	s_mov_b32 s85, 0x3ff66666
	s_mov_b32 s84, 0x66666666
	s_mov_b32 s67, 0x402ccccc
	s_waitcnt lgkmcnt(0)
	s_and_b32 s0, s3, 0xffff
	s_mul_i32 s2, s2, s0
	v_add_u32_e32 v4, s2, v0
	v_lshlrev_b64 v[2:3], 3, v[4:5]
	s_mul_i32 s33, s33, s0
	v_lshl_add_u64 v[0:1], s[4:5], 0, v[2:3]
	v_lshl_add_u64 v[2:3], s[6:7], 0, v[2:3]
	v_add_u32_e32 v4, s33, v4
	global_load_dwordx2 v[38:39], v[2:3], off
	v_lshl_add_u64 v[6:7], v[4:5], 3, s[6:7]
	v_add_u32_e32 v4, s33, v4
	global_load_dwordx2 v[16:17], v[6:7], off
	v_lshl_add_u64 v[6:7], v[4:5], 3, s[6:7]
	global_load_dwordx2 v[6:7], v[6:7], off
	v_add_u32_e32 v4, s33, v4
	global_load_dwordx2 v[0:1], v[0:1], off
	s_mov_b32 s0, 0x147ae148
	s_mov_b32 s1, 0xbfd147ae
	;; [unrolled: 1-line block ×3, first 2 shown]
	s_mul_i32 s88, s33, 5
	s_mov_b32 s18, 0
	s_mov_b32 s19, 0x38100000
	;; [unrolled: 1-line block ×68, first 2 shown]
	s_waitcnt vmcnt(3)
	v_add_f64 v[2:3], v[38:39], 0
	s_mov_b32 s82, 0xbbb55516
	s_mov_b32 s83, 0x40026bb1
	s_waitcnt vmcnt(2)
	v_add_f64 v[2:3], v[2:3], v[16:17]
	s_waitcnt vmcnt(1)
	v_add_f64 v[2:3], v[2:3], v[6:7]
	v_lshl_add_u64 v[6:7], v[4:5], 3, s[6:7]
	v_add_u32_e32 v4, s33, v4
	global_load_dwordx2 v[44:45], v[6:7], off
	v_lshl_add_u64 v[6:7], v[4:5], 3, s[6:7]
	global_load_dwordx2 v[6:7], v[6:7], off
	v_add_u32_e32 v4, s33, v4
	s_waitcnt vmcnt(1)
	v_add_f64 v[2:3], v[2:3], v[44:45]
	s_waitcnt vmcnt(0)
	v_add_f64 v[2:3], v[2:3], v[6:7]
	v_lshl_add_u64 v[6:7], v[4:5], 3, s[6:7]
	v_add_u32_e32 v4, s33, v4
	global_load_dwordx2 v[48:49], v[6:7], off
	v_lshl_add_u64 v[36:37], v[4:5], 3, s[6:7]
	global_load_dwordx2 v[6:7], v[36:37], off
	v_add_u32_e32 v4, s33, v4
	global_load_dwordx2 v[36:37], v[36:37], off
	s_waitcnt vmcnt(2)
	v_add_f64 v[2:3], v[2:3], v[48:49]
	s_waitcnt vmcnt(1)
	v_add_f64 v[2:3], v[2:3], v[6:7]
	v_lshl_add_u64 v[6:7], v[4:5], 3, s[6:7]
	global_load_dwordx2 v[6:7], v[6:7], off
	v_add_u32_e32 v4, s33, v4
	s_waitcnt vmcnt(0)
	v_add_f64 v[2:3], v[2:3], v[6:7]
	v_lshl_add_u64 v[6:7], v[4:5], 3, s[6:7]
	global_load_dwordx2 v[6:7], v[6:7], off
	v_add_u32_e32 v4, s33, v4
	v_lshlrev_b64 v[54:55], 3, v[4:5]
	v_add_u32_e32 v4, s33, v4
	v_lshlrev_b64 v[52:53], 3, v[4:5]
	;; [unrolled: 2-line block ×5, first 2 shown]
	v_lshl_add_u64 v[22:23], s[6:7], 0, v[30:31]
	global_load_dwordx2 v[64:65], v[22:23], off
	v_lshl_add_u64 v[34:35], s[6:7], 0, v[52:53]
	global_load_dwordx2 v[42:43], v[34:35], off
	v_add_u32_e32 v4, s33, v4
	v_lshlrev_b64 v[28:29], 3, v[4:5]
	v_add_u32_e32 v4, s33, v4
	v_lshlrev_b64 v[26:27], 3, v[4:5]
	v_add_u32_e32 v4, s33, v4
	v_lshl_add_u64 v[30:31], s[12:13], 0, v[30:31]
	global_load_dwordx2 v[22:23], v[22:23], off
	s_waitcnt vmcnt(3)
	v_add_f64 v[2:3], v[2:3], v[6:7]
	v_lshl_add_u64 v[6:7], s[6:7], 0, v[54:55]
	global_load_dwordx2 v[46:47], v[6:7], off
	v_lshl_add_u64 v[6:7], s[6:7], 0, v[50:51]
	global_load_dwordx2 v[40:41], v[6:7], off
	;; [unrolled: 2-line block ×4, first 2 shown]
	s_waitcnt vmcnt(3)
	v_add_f64 v[2:3], v[2:3], v[46:47]
	v_add_f64 v[2:3], v[2:3], v[42:43]
	s_waitcnt vmcnt(2)
	v_add_f64 v[2:3], v[2:3], v[40:41]
	global_load_dwordx2 v[34:35], v[34:35], off
	s_waitcnt vmcnt(2)
	v_add_f64 v[2:3], v[2:3], v[6:7]
	v_lshl_add_u64 v[6:7], s[6:7], 0, v[28:29]
	global_load_dwordx2 v[66:67], v[6:7], off
	v_lshl_add_u64 v[6:7], s[6:7], 0, v[26:27]
	global_load_dwordx2 v[68:69], v[6:7], off
	;; [unrolled: 2-line block ×3, first 2 shown]
	v_add_f64 v[2:3], v[2:3], v[64:65]
	v_add_u32_e32 v4, s33, v4
	v_lshlrev_b64 v[20:21], 3, v[4:5]
	v_add_u32_e32 v4, s33, v4
	v_lshlrev_b64 v[18:19], 3, v[4:5]
	v_add_u32_e32 v4, s33, v4
	v_lshlrev_b64 v[12:13], 3, v[4:5]
	v_lshl_add_u64 v[24:25], s[6:7], 0, v[12:13]
	v_add_u32_e32 v4, s33, v4
	v_lshlrev_b64 v[8:9], 3, v[4:5]
	v_add_u32_e32 v4, s33, v4
	v_lshl_add_u64 v[28:29], s[12:13], 0, v[28:29]
	v_lshl_add_u64 v[26:27], s[12:13], 0, v[26:27]
	;; [unrolled: 1-line block ×3, first 2 shown]
	s_waitcnt vmcnt(2)
	v_add_f64 v[2:3], v[2:3], v[66:67]
	s_waitcnt vmcnt(1)
	v_add_f64 v[2:3], v[2:3], v[68:69]
	;; [unrolled: 2-line block ×3, first 2 shown]
	v_lshl_add_u64 v[6:7], s[6:7], 0, v[20:21]
	global_load_dwordx2 v[6:7], v[6:7], off
	v_lshl_add_u64 v[20:21], s[12:13], 0, v[20:21]
	s_waitcnt vmcnt(0)
	v_add_f64 v[2:3], v[2:3], v[6:7]
	v_lshl_add_u64 v[6:7], s[6:7], 0, v[18:19]
	global_load_dwordx2 v[6:7], v[6:7], off
	v_lshl_add_u64 v[18:19], s[12:13], 0, v[18:19]
	s_waitcnt vmcnt(0)
	v_add_f64 v[2:3], v[2:3], v[6:7]
	global_load_dwordx2 v[6:7], v[24:25], off
	s_waitcnt vmcnt(0)
	v_add_f64 v[2:3], v[2:3], v[6:7]
	v_lshl_add_u64 v[6:7], s[6:7], 0, v[8:9]
	global_load_dwordx2 v[6:7], v[6:7], off
	v_lshl_add_u64 v[8:9], s[12:13], 0, v[8:9]
	global_load_dwordx2 v[24:25], v[24:25], off
	s_waitcnt vmcnt(1)
	v_add_f64 v[2:3], v[2:3], v[6:7]
	v_lshl_add_u64 v[6:7], v[4:5], 3, s[6:7]
	global_load_dwordx2 v[58:59], v[6:7], off
	s_waitcnt vmcnt(0)
	v_add_f64 v[32:33], v[2:3], v[58:59]
	v_mul_f64 v[2:3], s[14:15], v[0:1]
	v_add_f64 v[0:1], v[32:33], -v[38:39]
	v_add_f64 v[0:1], v[0:1], -v[48:49]
	v_add_f64 v[0:1], v[0:1], v[46:47]
	v_add_f64 v[62:63], v[0:1], -v[40:41]
	v_fma_f64 v[0:1], s[0:1], v[38:39], v[32:33]
	s_mov_b32 s0, 0x33333333
	s_mov_b32 s1, 0x40053333
	v_fmac_f64_e32 v[0:1], s[0:1], v[48:49]
	v_add_f64 v[70:71], v[32:33], v[38:39]
	v_add_f64 v[60:61], v[46:47], v[0:1]
	v_mov_b64_e32 v[0:1], v[70:71]
	v_fmac_f64_e32 v[0:1], 0x40140000, v[48:49]
	v_add_f64 v[0:1], v[46:47], v[0:1]
	v_fmac_f64_e32 v[0:1], 0.5, v[42:43]
	v_add_f64 v[6:7], v[40:41], v[0:1]
	v_fma_f64 v[0:1], s[84:85], v[38:39], v[32:33]
	v_add_f64 v[72:73], v[32:33], -v[44:45]
	v_fmac_f64_e32 v[70:71], 0x40140000, v[44:45]
	v_fmac_f64_e32 v[0:1], s[66:67], v[48:49]
	v_add_f64 v[72:73], v[72:73], -v[48:49]
	v_fmac_f64_e32 v[70:71], 0x40140000, v[48:49]
	v_add_f64 v[56:57], v[46:47], v[0:1]
	v_fmac_f64_e32 v[72:73], 0xbfd00000, v[42:43]
	v_add_f64 v[46:47], v[46:47], v[70:71]
	v_fmac_f64_e32 v[56:57], 0x3fe80000, v[42:43]
	s_mov_b32 s67, 0x4004cccc
	v_fmac_f64_e32 v[72:73], 0.5, v[40:41]
	v_fmac_f64_e32 v[46:47], 0.5, v[42:43]
	v_fmac_f64_e32 v[56:57], s[66:67], v[40:41]
	v_fmac_f64_e32 v[72:73], 0.5, v[68:69]
	v_fmac_f64_e32 v[46:47], 0x40040000, v[40:41]
	s_mul_i32 s0, s33, 0xffffffef
	v_fmac_f64_e32 v[62:63], 2.0, v[68:69]
	v_fmac_f64_e32 v[60:61], 2.0, v[68:69]
	;; [unrolled: 1-line block ×4, first 2 shown]
	v_add_f64 v[58:59], v[72:73], -v[58:59]
	v_fmac_f64_e32 v[46:47], 2.0, v[68:69]
	v_add_u32_e32 v4, s0, v4
	v_fmac_f64_e32 v[62:63], 2.0, v[64:65]
	v_fmac_f64_e32 v[60:61], 2.0, v[64:65]
	v_fma_f64 v[10:11], 2.0, v[64:65], v[6:7]
	v_fmac_f64_e32 v[56:57], 2.0, v[64:65]
	v_fmac_f64_e32 v[58:59], 2.0, v[64:65]
	;; [unrolled: 1-line block ×3, first 2 shown]
	v_lshlrev_b64 v[64:65], 3, v[4:5]
	v_fmac_f64_e32 v[62:63], 2.0, v[66:67]
	v_fmac_f64_e32 v[60:61], 2.0, v[66:67]
	v_fmac_f64_e32 v[10:11], 2.0, v[66:67]
	v_fmac_f64_e32 v[56:57], 2.0, v[66:67]
	v_fmac_f64_e32 v[58:59], 2.0, v[66:67]
	v_fmac_f64_e32 v[46:47], 2.0, v[66:67]
	v_lshl_add_u64 v[66:67], s[8:9], 0, v[64:65]
	global_load_dwordx2 v[68:69], v[66:67], off
	v_lshl_add_u32 v4, s33, 2, v4
	s_mov_b32 s14, 0x9b27acf1
	s_mov_b32 s15, 0x3fd24924
	v_mov_b32_e32 v0, 0
	v_mov_b32_e32 v1, 0x3fe80000
	s_mov_b32 s85, 0x3fea6666
	s_mov_b32 s67, 0x3fdccccc
	s_waitcnt vmcnt(0)
	v_mul_f64 v[68:69], v[62:63], v[68:69]
	v_mul_f64 v[68:69], v[68:69], v[16:17]
	;; [unrolled: 1-line block ×3, first 2 shown]
	global_store_dwordx2 v[66:67], v[68:69], off
	v_lshl_add_u64 v[66:67], s[10:11], 0, v[64:65]
	global_load_dwordx2 v[68:69], v[66:67], off
	v_lshl_add_u64 v[64:65], s[6:7], 0, v[64:65]
	global_load_dwordx2 v[64:65], v[64:65], off
	s_waitcnt vmcnt(1)
	v_mul_f64 v[62:63], v[62:63], v[68:69]
	v_mul_f64 v[38:39], v[38:39], v[62:63]
	global_store_dwordx2 v[66:67], v[38:39], off
	v_lshlrev_b64 v[38:39], 3, v[4:5]
	v_lshl_add_u64 v[62:63], s[8:9], 0, v[38:39]
	global_load_dwordx2 v[66:67], v[62:63], off
	s_waitcnt vmcnt(0)
	v_mul_f64 v[66:67], v[60:61], v[66:67]
	v_mul_f64 v[66:67], v[16:17], v[66:67]
	v_mul_f64 v[66:67], v[64:65], v[66:67]
	global_store_dwordx2 v[62:63], v[66:67], off
	v_lshl_add_u64 v[62:63], s[10:11], 0, v[38:39]
	global_load_dwordx2 v[66:67], v[62:63], off
	s_waitcnt vmcnt(0)
	v_mul_f64 v[60:61], v[60:61], v[66:67]
	v_mul_f64 v[48:49], v[48:49], v[60:61]
	global_store_dwordx2 v[62:63], v[48:49], off
	v_lshl_add_u64 v[62:63], s[8:9], 0, v[54:55]
	global_load_dwordx2 v[48:49], v[62:63], off
	v_mad_u64_u32 v[60:61], s[0:1], s33, -6, v[4:5]
	v_mov_b32_e32 v61, v5
	v_lshl_add_u64 v[54:55], s[10:11], 0, v[54:55]
	s_waitcnt vmcnt(0)
	v_mul_f64 v[66:67], v[10:11], v[48:49]
	v_lshl_add_u64 v[48:49], v[60:61], 3, s[6:7]
	global_load_dwordx2 v[48:49], v[48:49], off
	s_waitcnt vmcnt(0)
	v_mul_f64 v[66:67], v[66:67], v[48:49]
	v_mul_f64 v[66:67], v[16:17], v[66:67]
	global_store_dwordx2 v[62:63], v[66:67], off
	global_load_dwordx2 v[62:63], v[54:55], off
	s_waitcnt vmcnt(0)
	v_mul_f64 v[62:63], v[10:11], v[62:63]
	v_mul_f64 v[62:63], v[64:65], v[62:63]
	global_store_dwordx2 v[54:55], v[62:63], off
	v_lshl_add_u64 v[54:55], s[8:9], 0, v[52:53]
	global_load_dwordx2 v[62:63], v[54:55], off
	v_lshl_add_u64 v[52:53], s[10:11], 0, v[52:53]
	s_waitcnt vmcnt(0)
	v_mul_f64 v[62:63], v[56:57], v[62:63]
	v_mul_f64 v[62:63], v[48:49], v[62:63]
	;; [unrolled: 1-line block ×3, first 2 shown]
	global_store_dwordx2 v[54:55], v[62:63], off
	global_load_dwordx2 v[54:55], v[52:53], off
	s_waitcnt vmcnt(0)
	v_mul_f64 v[54:55], v[56:57], v[54:55]
	v_mul_f64 v[54:55], v[44:45], v[54:55]
	global_store_dwordx2 v[52:53], v[54:55], off
	v_lshl_add_u64 v[52:53], s[8:9], 0, v[50:51]
	global_load_dwordx2 v[54:55], v[52:53], off
	s_waitcnt vmcnt(0)
	v_mul_f64 v[54:55], v[58:59], v[54:55]
	v_mul_f64 v[54:55], v[16:17], v[54:55]
	;; [unrolled: 1-line block ×3, first 2 shown]
	global_store_dwordx2 v[52:53], v[44:45], off
	v_lshl_add_u64 v[44:45], s[10:11], 0, v[50:51]
	global_load_dwordx2 v[50:51], v[44:45], off
	s_waitcnt vmcnt(0)
	v_mul_f64 v[50:51], v[58:59], v[50:51]
	v_mul_f64 v[36:37], v[50:51], v[36:37]
	global_store_dwordx2 v[44:45], v[36:37], off
	v_mad_u64_u32 v[36:37], s[0:1], s33, 26, v[60:61]
	v_mov_b32_e32 v37, v5
	v_lshlrev_b64 v[44:45], 3, v[36:37]
	v_lshl_add_u64 v[50:51], s[8:9], 0, v[44:45]
	global_load_dwordx2 v[52:53], v[50:51], off
	v_mad_u64_u32 v[36:37], s[0:1], s33, 17, v[36:37]
	v_mov_b32_e32 v37, v5
	s_mul_i32 s0, s33, 0x4b
	v_add_u32_e32 v4, s0, v36
	s_waitcnt vmcnt(0)
	v_mul_f64 v[52:53], v[46:47], v[52:53]
	v_mul_f64 v[42:43], v[42:43], v[52:53]
	;; [unrolled: 1-line block ×3, first 2 shown]
	global_store_dwordx2 v[50:51], v[42:43], off
	v_lshl_add_u64 v[42:43], s[10:11], 0, v[44:45]
	global_load_dwordx2 v[44:45], v[42:43], off
	v_mov_b32_e32 v52, 0x7ff00000
	s_waitcnt vmcnt(0)
	v_mul_f64 v[44:45], v[46:47], v[44:45]
	v_mul_f64 v[40:41], v[40:41], v[44:45]
	global_store_dwordx2 v[42:43], v[40:41], off
	v_lshlrev_b64 v[40:41], 3, v[36:37]
	v_lshl_add_u64 v[42:43], s[8:9], 0, v[40:41]
	global_load_dwordx2 v[44:45], v[42:43], off
	v_lshl_add_u64 v[40:41], s[10:11], 0, v[40:41]
	s_waitcnt vmcnt(0)
	v_mul_f64 v[44:45], v[10:11], v[44:45]
	global_store_dwordx2 v[42:43], v[44:45], off
	global_load_dwordx2 v[42:43], v[40:41], off
	s_waitcnt vmcnt(0)
	v_mul_f64 v[42:43], v[10:11], v[42:43]
	v_mul_f64 v[34:35], v[42:43], v[34:35]
	;; [unrolled: 1-line block ×3, first 2 shown]
	global_store_dwordx2 v[40:41], v[16:17], off
	v_lshlrev_b64 v[16:17], 3, v[4:5]
	v_lshl_add_u64 v[34:35], s[8:9], 0, v[16:17]
	global_load_dwordx2 v[36:37], v[34:35], off
	v_lshl_add_u64 v[16:17], s[10:11], 0, v[16:17]
	v_add_u32_e32 v4, s88, v4
	s_waitcnt vmcnt(0)
	v_mul_f64 v[36:37], v[32:33], v[36:37]
	v_mul_f64 v[22:23], v[36:37], v[22:23]
	v_lshl_add_u64 v[36:37], s[6:7], 0, v[38:39]
	global_load_dwordx2 v[36:37], v[36:37], off
	s_mov_b32 s6, 0x16291751
	s_mov_b32 s7, 0x3fcc71c0
	s_waitcnt vmcnt(0)
	v_mul_f64 v[22:23], v[22:23], v[36:37]
	global_store_dwordx2 v[34:35], v[22:23], off
	global_load_dwordx2 v[22:23], v[16:17], off
	s_waitcnt vmcnt(0)
	v_mul_f64 v[22:23], v[32:33], v[22:23]
	v_lshlrev_b64 v[32:33], 3, v[4:5]
	v_lshl_add_u64 v[34:35], s[8:9], 0, v[32:33]
	global_load_dwordx2 v[36:37], v[34:35], off
	v_mul_f64 v[22:23], v[22:23], v[24:25]
	global_store_dwordx2 v[16:17], v[22:23], off
	v_lshl_add_u64 v[32:33], s[10:11], 0, v[32:33]
	s_waitcnt vmcnt(1)
	v_div_scale_f64 v[16:17], s[0:1], v[36:37], v[36:37], 1.0
	v_rcp_f64_e32 v[22:23], v[16:17]
	s_nop 0
	v_fma_f64 v[24:25], -v[16:17], v[22:23], 1.0
	v_fmac_f64_e32 v[22:23], v[22:23], v[24:25]
	v_fma_f64 v[24:25], -v[16:17], v[22:23], 1.0
	v_fmac_f64_e32 v[22:23], v[22:23], v[24:25]
	v_div_scale_f64 v[24:25], vcc, 1.0, v[36:37], 1.0
	v_mul_f64 v[38:39], v[24:25], v[22:23]
	v_fma_f64 v[16:17], -v[16:17], v[38:39], v[24:25]
	s_nop 1
	v_div_fmas_f64 v[16:17], v[16:17], v[22:23], v[38:39]
	v_div_fixup_f64 v[16:17], v[16:17], v[36:37], 1.0
	v_mul_f64 v[16:17], v[10:11], v[16:17]
	v_mul_f64 v[22:23], v[14:15], v[16:17]
	v_fma_f64 v[14:15], v[14:15], v[16:17], 1.0
	v_div_scale_f64 v[16:17], s[0:1], v[14:15], v[14:15], 1.0
	v_rcp_f64_e32 v[24:25], v[16:17]
	s_mov_b32 s0, 0x6b47b09a
	s_mov_b32 s1, 0x3fc38538
	v_fma_f64 v[38:39], -v[16:17], v[24:25], 1.0
	v_fmac_f64_e32 v[24:25], v[24:25], v[38:39]
	v_fma_f64 v[38:39], -v[16:17], v[24:25], 1.0
	v_fmac_f64_e32 v[24:25], v[24:25], v[38:39]
	v_div_scale_f64 v[38:39], vcc, 1.0, v[14:15], 1.0
	v_mul_f64 v[40:41], v[38:39], v[24:25]
	v_fma_f64 v[16:17], -v[16:17], v[40:41], v[38:39]
	s_nop 1
	v_div_fmas_f64 v[16:17], v[16:17], v[24:25], v[40:41]
	v_div_fixup_f64 v[14:15], v[16:17], v[14:15], 1.0
	v_max_f64 v[16:17], v[22:23], s[18:19]
	v_mul_f64 v[38:39], v[22:23], v[14:15]
	v_frexp_mant_f64_e32 v[14:15], v[16:17]
	v_cmp_gt_f64_e32 vcc, s[20:21], v[14:15]
	v_frexp_exp_i32_f64_e32 v22, v[16:17]
	s_nop 0
	v_cndmask_b32_e64 v23, 0, 1, vcc
	v_ldexp_f64 v[14:15], v[14:15], v23
	v_add_f64 v[24:25], v[14:15], 1.0
	v_add_f64 v[40:41], v[24:25], -1.0
	v_subbrev_co_u32_e32 v48, vcc, 0, v22, vcc
	v_add_f64 v[22:23], v[14:15], -1.0
	v_add_f64 v[14:15], v[14:15], -v[40:41]
	v_rcp_f64_e32 v[40:41], v[24:25]
	v_cmp_neq_f64_e32 vcc, s[34:35], v[16:17]
	v_fma_f64 v[42:43], -v[24:25], v[40:41], 1.0
	v_fmac_f64_e32 v[40:41], v[42:43], v[40:41]
	v_fma_f64 v[42:43], -v[24:25], v[40:41], 1.0
	v_fmac_f64_e32 v[40:41], v[42:43], v[40:41]
	v_mul_f64 v[42:43], v[22:23], v[40:41]
	v_mul_f64 v[44:45], v[24:25], v[42:43]
	v_fma_f64 v[24:25], v[42:43], v[24:25], -v[44:45]
	v_fmac_f64_e32 v[24:25], v[42:43], v[14:15]
	v_add_f64 v[14:15], v[44:45], v[24:25]
	v_add_f64 v[46:47], v[22:23], -v[14:15]
	v_add_f64 v[44:45], v[14:15], -v[44:45]
	;; [unrolled: 1-line block ×5, first 2 shown]
	v_add_f64 v[14:15], v[22:23], v[14:15]
	v_add_f64 v[14:15], v[46:47], v[14:15]
	v_mul_f64 v[14:15], v[40:41], v[14:15]
	v_add_f64 v[22:23], v[42:43], v[14:15]
	v_add_f64 v[24:25], v[22:23], -v[42:43]
	v_add_f64 v[24:25], v[14:15], -v[24:25]
	v_mul_f64 v[40:41], v[22:23], v[22:23]
	v_mov_b64_e32 v[14:15], s[0:1]
	v_fma_f64 v[42:43], s[2:3], v[40:41], v[14:15]
	v_fma_f64 v[42:43], v[40:41], v[42:43], s[4:5]
	;; [unrolled: 1-line block ×6, first 2 shown]
	v_ldexp_f64 v[44:45], v[22:23], 1
	v_mul_f64 v[22:23], v[22:23], v[40:41]
	v_mul_f64 v[22:23], v[22:23], v[42:43]
	v_add_f64 v[40:41], v[44:45], v[22:23]
	v_add_f64 v[42:43], v[40:41], -v[44:45]
	v_ldexp_f64 v[24:25], v[24:25], 1
	v_add_f64 v[22:23], v[22:23], -v[42:43]
	v_add_f64 v[22:23], v[24:25], v[22:23]
	v_add_f64 v[24:25], v[40:41], v[22:23]
	v_add_f64 v[40:41], v[24:25], -v[40:41]
	v_add_f64 v[22:23], v[22:23], -v[40:41]
	v_cvt_f64_i32_e32 v[40:41], v48
	v_mul_f64 v[42:43], v[40:41], s[24:25]
	v_fma_f64 v[44:45], v[40:41], s[24:25], -v[42:43]
	v_fmac_f64_e32 v[44:45], s[26:27], v[40:41]
	v_add_f64 v[40:41], v[42:43], v[44:45]
	v_add_f64 v[42:43], v[40:41], -v[42:43]
	v_add_f64 v[42:43], v[44:45], -v[42:43]
	v_mul_f64 v[44:45], v[24:25], s[28:29]
	v_fma_f64 v[46:47], v[24:25], s[28:29], -v[44:45]
	v_fmac_f64_e32 v[46:47], s[28:29], v[22:23]
	v_fmac_f64_e32 v[46:47], s[30:31], v[24:25]
	v_add_f64 v[22:23], v[44:45], v[46:47]
	v_add_f64 v[24:25], v[22:23], -v[44:45]
	v_add_f64 v[44:45], v[40:41], v[22:23]
	v_add_f64 v[24:25], v[46:47], -v[24:25]
	v_add_f64 v[46:47], v[44:45], -v[40:41]
	v_add_f64 v[48:49], v[44:45], -v[46:47]
	v_add_f64 v[40:41], v[40:41], -v[48:49]
	v_add_f64 v[22:23], v[22:23], -v[46:47]
	v_add_f64 v[22:23], v[22:23], v[40:41]
	v_add_f64 v[40:41], v[42:43], v[24:25]
	v_add_f64 v[46:47], v[40:41], -v[42:43]
	v_add_f64 v[48:49], v[40:41], -v[46:47]
	v_add_f64 v[22:23], v[40:41], v[22:23]
	v_add_f64 v[42:43], v[42:43], -v[48:49]
	v_add_f64 v[24:25], v[24:25], -v[46:47]
	v_add_f64 v[40:41], v[44:45], v[22:23]
	v_add_f64 v[24:25], v[24:25], v[42:43]
	v_add_f64 v[42:43], v[40:41], -v[44:45]
	v_add_f64 v[22:23], v[22:23], -v[42:43]
	v_add_f64 v[22:23], v[24:25], v[22:23]
	s_mov_b32 s0, 0x7cecf427
	v_add_f64 v[22:23], v[40:41], v[22:23]
	s_mov_b32 s1, 0xbf43323d
	v_cndmask_b32_e32 v41, v52, v23, vcc
	v_cndmask_b32_e32 v40, 0, v22, vcc
	v_mul_f64 v[22:23], v[2:3], s[0:1]
	v_mul_f64 v[16:17], v[22:23], s[62:63]
	v_rndne_f64_e32 v[24:25], v[16:17]
	s_mov_b32 s0, 0xfca7ab0c
	v_fma_f64 v[42:43], s[58:59], v[24:25], v[22:23]
	s_mov_b32 s1, 0x3e928af3
	v_fmac_f64_e32 v[42:43], s[60:61], v[24:25]
	v_mov_b64_e32 v[16:17], s[0:1]
	v_fma_f64 v[44:45], s[36:37], v[42:43], v[16:17]
	v_fma_f64 v[44:45], v[42:43], v[44:45], s[38:39]
	;; [unrolled: 1-line block ×9, first 2 shown]
	v_fma_f64 v[44:45], v[42:43], v[44:45], 1.0
	v_fma_f64 v[42:43], v[42:43], v[44:45], 1.0
	v_cvt_i32_f64_e32 v24, v[24:25]
	s_mov_b32 s0, 0xc6a7ef9e
	v_ldexp_f64 v[24:25], v[42:43], v24
	s_mov_b32 s1, 0x3fe5374b
	v_mul_f64 v[24:25], v[24:25], s[0:1]
	v_cmp_nlt_f64_e32 vcc, s[54:55], v[22:23]
	v_cmp_ngt_f64_e64 s[0:1], s[56:57], v[22:23]
	s_nop 0
	v_cndmask_b32_e32 v25, v52, v25, vcc
	s_and_b64 vcc, s[0:1], vcc
	v_cndmask_b32_e32 v22, 0, v24, vcc
	v_cndmask_b32_e64 v23, 0, v25, s[0:1]
	v_mul_f64 v[24:25], v[2:3], s[64:65]
	v_mul_f64 v[42:43], v[24:25], s[62:63]
	v_rndne_f64_e32 v[42:43], v[42:43]
	v_fma_f64 v[44:45], s[58:59], v[42:43], v[24:25]
	v_fmac_f64_e32 v[44:45], s[60:61], v[42:43]
	v_fma_f64 v[46:47], s[36:37], v[44:45], v[16:17]
	v_fma_f64 v[46:47], v[44:45], v[46:47], s[38:39]
	;; [unrolled: 1-line block ×9, first 2 shown]
	v_fma_f64 v[46:47], v[44:45], v[46:47], 1.0
	v_fma_f64 v[44:45], v[44:45], v[46:47], 1.0
	v_cvt_i32_f64_e32 v42, v[42:43]
	s_mov_b32 s0, 0x72b020c5
	v_ldexp_f64 v[42:43], v[44:45], v42
	s_mov_b32 s1, 0x3fd59168
	v_mul_f64 v[42:43], v[42:43], s[0:1]
	v_cmp_nlt_f64_e32 vcc, s[54:55], v[24:25]
	v_cmp_ngt_f64_e64 s[0:1], s[56:57], v[24:25]
	s_mov_b32 s65, 0x3f947ae1
	v_cndmask_b32_e32 v43, v52, v43, vcc
	s_and_b64 vcc, s[0:1], vcc
	v_cndmask_b32_e32 v24, 0, v42, vcc
	v_cndmask_b32_e64 v25, 0, v43, s[0:1]
	v_add_f64 v[24:25], v[22:23], v[24:25]
	v_div_scale_f64 v[22:23], s[0:1], v[2:3], v[2:3], 1.0
	v_rcp_f64_e32 v[42:43], v[22:23]
	s_mov_b32 s0, 0
	s_mov_b32 s1, 0xc0b02300
	v_fma_f64 v[44:45], -v[22:23], v[42:43], 1.0
	v_fmac_f64_e32 v[42:43], v[42:43], v[44:45]
	v_fma_f64 v[44:45], -v[22:23], v[42:43], 1.0
	v_fmac_f64_e32 v[42:43], v[42:43], v[44:45]
	v_div_scale_f64 v[44:45], vcc, 1.0, v[2:3], 1.0
	v_mul_f64 v[46:47], v[44:45], v[42:43]
	v_fma_f64 v[22:23], -v[22:23], v[46:47], v[44:45]
	s_nop 1
	v_div_fmas_f64 v[22:23], v[22:23], v[42:43], v[46:47]
	v_div_fixup_f64 v[22:23], v[22:23], v[2:3], 1.0
	v_mul_f64 v[42:43], v[22:23], s[0:1]
	v_mul_f64 v[44:45], v[42:43], s[62:63]
	v_rndne_f64_e32 v[44:45], v[44:45]
	v_fma_f64 v[46:47], s[58:59], v[44:45], v[42:43]
	v_fmac_f64_e32 v[46:47], s[60:61], v[44:45]
	v_fma_f64 v[48:49], s[36:37], v[46:47], v[16:17]
	v_fma_f64 v[48:49], v[46:47], v[48:49], s[38:39]
	;; [unrolled: 1-line block ×9, first 2 shown]
	v_fma_f64 v[48:49], v[46:47], v[48:49], 1.0
	v_fma_f64 v[46:47], v[46:47], v[48:49], 1.0
	v_cvt_i32_f64_e32 v44, v[44:45]
	v_ldexp_f64 v[44:45], v[46:47], v44
	v_cmp_nlt_f64_e32 vcc, s[54:55], v[42:43]
	v_cmp_ngt_f64_e64 s[0:1], s[56:57], v[42:43]
	s_nop 0
	v_cndmask_b32_e32 v45, v52, v45, vcc
	s_and_b64 vcc, s[0:1], vcc
	v_cndmask_b32_e32 v42, 0, v44, vcc
	v_cndmask_b32_e64 v43, 0, v45, s[0:1]
	v_add_f64 v[24:25], v[42:43], v[24:25]
	v_max_f64 v[24:25], v[24:25], s[18:19]
	v_frexp_mant_f64_e32 v[42:43], v[24:25]
	v_cmp_gt_f64_e32 vcc, s[20:21], v[42:43]
	v_frexp_exp_i32_f64_e32 v44, v[24:25]
	s_nop 0
	v_cndmask_b32_e64 v45, 0, 1, vcc
	v_ldexp_f64 v[42:43], v[42:43], v45
	v_add_f64 v[46:47], v[42:43], 1.0
	v_add_f64 v[48:49], v[46:47], -1.0
	v_subbrev_co_u32_e32 v53, vcc, 0, v44, vcc
	v_add_f64 v[44:45], v[42:43], -1.0
	v_add_f64 v[42:43], v[42:43], -v[48:49]
	v_rcp_f64_e32 v[48:49], v[46:47]
	v_cmp_neq_f64_e32 vcc, s[34:35], v[24:25]
	v_mov_b64_e32 v[24:25], s[86:87]
	s_mov_b32 s87, 0x3fe19999
	v_fma_f64 v[50:51], -v[46:47], v[48:49], 1.0
	v_fmac_f64_e32 v[48:49], v[50:51], v[48:49]
	v_fma_f64 v[50:51], -v[46:47], v[48:49], 1.0
	v_fmac_f64_e32 v[48:49], v[50:51], v[48:49]
	v_mul_f64 v[50:51], v[44:45], v[48:49]
	v_mul_f64 v[54:55], v[46:47], v[50:51]
	v_fma_f64 v[46:47], v[50:51], v[46:47], -v[54:55]
	v_fmac_f64_e32 v[46:47], v[50:51], v[42:43]
	v_add_f64 v[42:43], v[54:55], v[46:47]
	v_add_f64 v[56:57], v[44:45], -v[42:43]
	v_add_f64 v[54:55], v[42:43], -v[54:55]
	;; [unrolled: 1-line block ×5, first 2 shown]
	v_add_f64 v[42:43], v[44:45], v[42:43]
	v_add_f64 v[42:43], v[56:57], v[42:43]
	v_mul_f64 v[42:43], v[48:49], v[42:43]
	v_add_f64 v[44:45], v[50:51], v[42:43]
	v_add_f64 v[46:47], v[44:45], -v[50:51]
	v_add_f64 v[42:43], v[42:43], -v[46:47]
	v_mul_f64 v[46:47], v[44:45], v[44:45]
	v_fma_f64 v[48:49], s[2:3], v[46:47], v[14:15]
	v_fma_f64 v[48:49], v[46:47], v[48:49], s[4:5]
	;; [unrolled: 1-line block ×6, first 2 shown]
	v_ldexp_f64 v[50:51], v[44:45], 1
	v_mul_f64 v[44:45], v[44:45], v[46:47]
	v_mul_f64 v[44:45], v[44:45], v[48:49]
	v_add_f64 v[46:47], v[50:51], v[44:45]
	v_add_f64 v[48:49], v[46:47], -v[50:51]
	v_ldexp_f64 v[42:43], v[42:43], 1
	v_add_f64 v[44:45], v[44:45], -v[48:49]
	v_add_f64 v[42:43], v[42:43], v[44:45]
	v_add_f64 v[44:45], v[46:47], v[42:43]
	v_add_f64 v[46:47], v[44:45], -v[46:47]
	v_add_f64 v[42:43], v[42:43], -v[46:47]
	v_cvt_f64_i32_e32 v[46:47], v53
	v_mul_f64 v[48:49], v[46:47], s[24:25]
	v_fma_f64 v[50:51], v[46:47], s[24:25], -v[48:49]
	v_fmac_f64_e32 v[50:51], s[26:27], v[46:47]
	v_add_f64 v[46:47], v[48:49], v[50:51]
	v_add_f64 v[48:49], v[46:47], -v[48:49]
	v_add_f64 v[48:49], v[50:51], -v[48:49]
	v_mul_f64 v[50:51], v[44:45], s[28:29]
	v_fma_f64 v[54:55], v[44:45], s[28:29], -v[50:51]
	v_fmac_f64_e32 v[54:55], s[28:29], v[42:43]
	v_fmac_f64_e32 v[54:55], s[30:31], v[44:45]
	v_add_f64 v[42:43], v[50:51], v[54:55]
	v_add_f64 v[44:45], v[42:43], -v[50:51]
	v_add_f64 v[50:51], v[46:47], v[42:43]
	v_add_f64 v[44:45], v[54:55], -v[44:45]
	v_add_f64 v[54:55], v[50:51], -v[46:47]
	;; [unrolled: 1-line block ×5, first 2 shown]
	v_add_f64 v[42:43], v[42:43], v[46:47]
	v_add_f64 v[46:47], v[48:49], v[44:45]
	v_add_f64 v[54:55], v[46:47], -v[48:49]
	v_add_f64 v[56:57], v[46:47], -v[54:55]
	v_add_f64 v[42:43], v[46:47], v[42:43]
	v_add_f64 v[48:49], v[48:49], -v[56:57]
	v_add_f64 v[44:45], v[44:45], -v[54:55]
	v_add_f64 v[46:47], v[50:51], v[42:43]
	v_add_f64 v[44:45], v[44:45], v[48:49]
	v_add_f64 v[48:49], v[46:47], -v[50:51]
	v_add_f64 v[42:43], v[42:43], -v[48:49]
	v_add_f64 v[42:43], v[44:45], v[42:43]
	v_add_f64 v[42:43], v[46:47], v[42:43]
	v_cndmask_b32_e32 v43, v52, v43, vcc
	v_cndmask_b32_e32 v42, 0, v42, vcc
	v_fma_f64 v[46:47], s[70:71], v[42:43], v[24:25]
	v_fma_f64 v[44:45], s[68:69], v[42:43], v[0:1]
	v_add_f64 v[40:41], v[40:41], -v[46:47]
	v_fmac_f64_e32 v[44:45], s[72:73], v[40:41]
	v_div_scale_f64 v[46:47], s[0:1], v[44:45], v[44:45], 1.0
	v_rcp_f64_e32 v[48:49], v[46:47]
	s_nop 0
	v_fma_f64 v[50:51], -v[46:47], v[48:49], 1.0
	v_fmac_f64_e32 v[48:49], v[48:49], v[50:51]
	v_fma_f64 v[50:51], -v[46:47], v[48:49], 1.0
	v_fmac_f64_e32 v[48:49], v[48:49], v[50:51]
	v_div_scale_f64 v[50:51], vcc, 1.0, v[44:45], 1.0
	v_mul_f64 v[54:55], v[50:51], v[48:49]
	v_fma_f64 v[46:47], -v[46:47], v[54:55], v[50:51]
	s_nop 1
	v_div_fmas_f64 v[46:47], v[46:47], v[48:49], v[54:55]
	v_div_fixup_f64 v[44:45], v[46:47], v[44:45], 1.0
	v_mul_f64 v[40:41], v[40:41], v[44:45]
	v_fma_f64 v[40:41], v[40:41], v[40:41], 1.0
	v_div_scale_f64 v[44:45], s[0:1], v[40:41], v[40:41], 1.0
	v_rcp_f64_e32 v[46:47], v[44:45]
	s_nop 0
	v_fma_f64 v[48:49], -v[44:45], v[46:47], 1.0
	v_fmac_f64_e32 v[46:47], v[46:47], v[48:49]
	v_fma_f64 v[48:49], -v[44:45], v[46:47], 1.0
	v_fmac_f64_e32 v[46:47], v[46:47], v[48:49]
	v_div_scale_f64 v[48:49], vcc, 1.0, v[40:41], 1.0
	v_mul_f64 v[50:51], v[48:49], v[46:47]
	v_fma_f64 v[44:45], -v[44:45], v[50:51], v[48:49]
	s_nop 1
	v_div_fmas_f64 v[44:45], v[44:45], v[46:47], v[50:51]
	v_div_fixup_f64 v[40:41], v[44:45], v[40:41], 1.0
	v_mul_f64 v[40:41], v[42:43], v[40:41]
	v_mul_f64 v[42:43], v[40:41], s[74:75]
	v_rndne_f64_e32 v[42:43], v[42:43]
	v_fma_f64 v[44:45], s[76:77], v[42:43], v[40:41]
	v_fmac_f64_e32 v[44:45], s[78:79], v[42:43]
	v_mul_f64 v[46:47], v[44:45], s[80:81]
	v_fmac_f64_e32 v[46:47], s[82:83], v[44:45]
	v_fma_f64 v[44:45], s[36:37], v[46:47], v[16:17]
	v_fma_f64 v[44:45], v[46:47], v[44:45], s[38:39]
	;; [unrolled: 1-line block ×9, first 2 shown]
	v_fma_f64 v[44:45], v[46:47], v[44:45], 1.0
	v_fma_f64 v[44:45], v[46:47], v[44:45], 1.0
	v_cvt_i32_f64_e32 v42, v[42:43]
	v_ldexp_f64 v[42:43], v[44:45], v42
	v_cmp_nlt_f64_e32 vcc, s[54:55], v[40:41]
	v_cmp_ngt_f64_e64 s[0:1], s[56:57], v[40:41]
	s_nop 0
	v_cndmask_b32_e32 v43, v52, v43, vcc
	s_and_b64 vcc, s[0:1], vcc
	v_cndmask_b32_e32 v40, 0, v42, vcc
	v_cndmask_b32_e64 v41, 0, v43, s[0:1]
	v_mul_f64 v[38:39], v[38:39], v[40:41]
	v_mul_f64 v[36:37], v[36:37], v[38:39]
	global_store_dwordx2 v[34:35], v[36:37], off
	global_load_dwordx2 v[34:35], v[32:33], off
	s_waitcnt vmcnt(0)
	v_mul_f64 v[34:35], v[34:35], v[38:39]
	global_load_dwordx2 v[38:39], v[30:31], off
	v_mad_u64_u32 v[30:31], s[0:1], s33, 6, v[4:5]
	v_mov_b32_e32 v31, v5
	global_store_dwordx2 v[32:33], v[34:35], off
	v_lshlrev_b64 v[32:33], 3, v[30:31]
	v_lshl_add_u64 v[34:35], s[8:9], 0, v[32:33]
	global_load_dwordx2 v[36:37], v[34:35], off
	v_lshl_add_u64 v[32:33], s[10:11], 0, v[32:33]
	s_waitcnt vmcnt(0)
	v_div_scale_f64 v[40:41], s[0:1], v[36:37], v[36:37], 1.0
	v_rcp_f64_e32 v[42:43], v[40:41]
	s_nop 0
	v_fma_f64 v[44:45], -v[40:41], v[42:43], 1.0
	v_fmac_f64_e32 v[42:43], v[42:43], v[44:45]
	v_fma_f64 v[44:45], -v[40:41], v[42:43], 1.0
	v_fmac_f64_e32 v[42:43], v[42:43], v[44:45]
	v_div_scale_f64 v[44:45], vcc, 1.0, v[36:37], 1.0
	v_mul_f64 v[46:47], v[44:45], v[42:43]
	v_fma_f64 v[40:41], -v[40:41], v[46:47], v[44:45]
	s_nop 1
	v_div_fmas_f64 v[40:41], v[40:41], v[42:43], v[46:47]
	v_div_fixup_f64 v[40:41], v[40:41], v[36:37], 1.0
	v_mul_f64 v[40:41], v[10:11], v[40:41]
	v_mul_f64 v[42:43], v[38:39], v[40:41]
	v_fma_f64 v[38:39], v[38:39], v[40:41], 1.0
	v_div_scale_f64 v[40:41], s[0:1], v[38:39], v[38:39], 1.0
	v_rcp_f64_e32 v[44:45], v[40:41]
	s_mov_b32 s0, 0xd9232955
	s_mov_b32 s1, 0xbf73bd60
	v_fma_f64 v[46:47], -v[40:41], v[44:45], 1.0
	v_fmac_f64_e32 v[44:45], v[44:45], v[46:47]
	v_fma_f64 v[46:47], -v[40:41], v[44:45], 1.0
	v_fmac_f64_e32 v[44:45], v[44:45], v[46:47]
	v_div_scale_f64 v[46:47], vcc, 1.0, v[38:39], 1.0
	v_mul_f64 v[48:49], v[46:47], v[44:45]
	v_fma_f64 v[40:41], -v[40:41], v[48:49], v[46:47]
	s_nop 1
	v_div_fmas_f64 v[40:41], v[40:41], v[44:45], v[48:49]
	v_div_fixup_f64 v[38:39], v[40:41], v[38:39], 1.0
	v_max_f64 v[40:41], v[42:43], s[18:19]
	v_mul_f64 v[38:39], v[42:43], v[38:39]
	v_frexp_mant_f64_e32 v[42:43], v[40:41]
	v_cmp_gt_f64_e32 vcc, s[20:21], v[42:43]
	v_frexp_exp_i32_f64_e32 v4, v[40:41]
	s_nop 0
	v_cndmask_b32_e64 v31, 0, 1, vcc
	v_ldexp_f64 v[42:43], v[42:43], v31
	v_add_f64 v[46:47], v[42:43], 1.0
	v_add_f64 v[48:49], v[46:47], -1.0
	v_add_f64 v[44:45], v[42:43], -1.0
	v_add_f64 v[42:43], v[42:43], -v[48:49]
	v_rcp_f64_e32 v[48:49], v[46:47]
	v_subbrev_co_u32_e32 v4, vcc, 0, v4, vcc
	v_cmp_neq_f64_e32 vcc, s[34:35], v[40:41]
	v_fma_f64 v[50:51], -v[46:47], v[48:49], 1.0
	v_fmac_f64_e32 v[48:49], v[50:51], v[48:49]
	v_fma_f64 v[50:51], -v[46:47], v[48:49], 1.0
	v_fmac_f64_e32 v[48:49], v[50:51], v[48:49]
	v_mul_f64 v[50:51], v[44:45], v[48:49]
	v_mul_f64 v[54:55], v[46:47], v[50:51]
	v_fma_f64 v[46:47], v[50:51], v[46:47], -v[54:55]
	v_fmac_f64_e32 v[46:47], v[50:51], v[42:43]
	v_add_f64 v[42:43], v[54:55], v[46:47]
	v_add_f64 v[56:57], v[44:45], -v[42:43]
	v_add_f64 v[54:55], v[42:43], -v[54:55]
	v_add_f64 v[44:45], v[44:45], -v[56:57]
	v_add_f64 v[42:43], v[44:45], -v[42:43]
	v_add_f64 v[44:45], v[54:55], -v[46:47]
	v_add_f64 v[42:43], v[44:45], v[42:43]
	v_add_f64 v[42:43], v[56:57], v[42:43]
	v_mul_f64 v[42:43], v[48:49], v[42:43]
	v_add_f64 v[44:45], v[50:51], v[42:43]
	v_add_f64 v[46:47], v[44:45], -v[50:51]
	v_add_f64 v[42:43], v[42:43], -v[46:47]
	v_mul_f64 v[46:47], v[44:45], v[44:45]
	v_fma_f64 v[48:49], s[2:3], v[46:47], v[14:15]
	v_fma_f64 v[48:49], v[46:47], v[48:49], s[4:5]
	;; [unrolled: 1-line block ×6, first 2 shown]
	v_ldexp_f64 v[50:51], v[44:45], 1
	v_mul_f64 v[44:45], v[44:45], v[46:47]
	v_mul_f64 v[44:45], v[44:45], v[48:49]
	v_add_f64 v[46:47], v[50:51], v[44:45]
	v_add_f64 v[48:49], v[46:47], -v[50:51]
	v_ldexp_f64 v[42:43], v[42:43], 1
	v_add_f64 v[44:45], v[44:45], -v[48:49]
	v_add_f64 v[42:43], v[42:43], v[44:45]
	v_add_f64 v[44:45], v[46:47], v[42:43]
	v_add_f64 v[46:47], v[44:45], -v[46:47]
	v_add_f64 v[42:43], v[42:43], -v[46:47]
	v_cvt_f64_i32_e32 v[46:47], v4
	v_mul_f64 v[48:49], v[46:47], s[24:25]
	v_fma_f64 v[50:51], v[46:47], s[24:25], -v[48:49]
	v_fmac_f64_e32 v[50:51], s[26:27], v[46:47]
	v_add_f64 v[46:47], v[48:49], v[50:51]
	v_add_f64 v[48:49], v[46:47], -v[48:49]
	v_add_f64 v[48:49], v[50:51], -v[48:49]
	v_mul_f64 v[50:51], v[44:45], s[28:29]
	v_fma_f64 v[54:55], v[44:45], s[28:29], -v[50:51]
	v_fmac_f64_e32 v[54:55], s[28:29], v[42:43]
	v_fmac_f64_e32 v[54:55], s[30:31], v[44:45]
	v_add_f64 v[42:43], v[50:51], v[54:55]
	v_add_f64 v[44:45], v[42:43], -v[50:51]
	v_add_f64 v[50:51], v[46:47], v[42:43]
	v_add_f64 v[44:45], v[54:55], -v[44:45]
	v_add_f64 v[54:55], v[50:51], -v[46:47]
	;; [unrolled: 1-line block ×5, first 2 shown]
	v_add_f64 v[42:43], v[42:43], v[46:47]
	v_add_f64 v[46:47], v[48:49], v[44:45]
	v_add_f64 v[54:55], v[46:47], -v[48:49]
	v_add_f64 v[56:57], v[46:47], -v[54:55]
	v_add_f64 v[42:43], v[46:47], v[42:43]
	v_add_f64 v[48:49], v[48:49], -v[56:57]
	v_add_f64 v[44:45], v[44:45], -v[54:55]
	v_add_f64 v[46:47], v[50:51], v[42:43]
	v_add_f64 v[44:45], v[44:45], v[48:49]
	v_add_f64 v[48:49], v[46:47], -v[50:51]
	v_add_f64 v[42:43], v[42:43], -v[48:49]
	v_add_f64 v[42:43], v[44:45], v[42:43]
	v_add_f64 v[42:43], v[46:47], v[42:43]
	v_cndmask_b32_e32 v41, v52, v43, vcc
	v_cndmask_b32_e32 v40, 0, v42, vcc
	v_mul_f64 v[42:43], v[2:3], s[0:1]
	v_mul_f64 v[44:45], v[42:43], s[62:63]
	v_rndne_f64_e32 v[44:45], v[44:45]
	v_fma_f64 v[46:47], s[58:59], v[44:45], v[42:43]
	v_fmac_f64_e32 v[46:47], s[60:61], v[44:45]
	v_fma_f64 v[48:49], s[36:37], v[46:47], v[16:17]
	v_fma_f64 v[48:49], v[46:47], v[48:49], s[38:39]
	;; [unrolled: 1-line block ×9, first 2 shown]
	v_fma_f64 v[48:49], v[46:47], v[48:49], 1.0
	v_fma_f64 v[46:47], v[46:47], v[48:49], 1.0
	v_cvt_i32_f64_e32 v4, v[44:45]
	s_mov_b32 s0, 0x8b439581
	v_ldexp_f64 v[44:45], v[46:47], v4
	s_mov_b32 s1, 0x3fcbe76c
	v_mul_f64 v[44:45], v[44:45], s[0:1]
	v_cmp_nlt_f64_e32 vcc, s[54:55], v[42:43]
	v_cmp_ngt_f64_e64 s[0:1], s[56:57], v[42:43]
	s_nop 0
	v_cndmask_b32_e32 v4, v52, v45, vcc
	s_and_b64 vcc, s[0:1], vcc
	v_cndmask_b32_e64 v43, 0, v4, s[0:1]
	s_mov_b32 s0, 0x60b57f60
	s_mov_b32 s1, 0xbf389c1e
	v_cndmask_b32_e32 v42, 0, v44, vcc
	v_mul_f64 v[44:45], v[2:3], s[0:1]
	v_mul_f64 v[46:47], v[44:45], s[62:63]
	v_rndne_f64_e32 v[46:47], v[46:47]
	v_fma_f64 v[48:49], s[58:59], v[46:47], v[44:45]
	v_fmac_f64_e32 v[48:49], s[60:61], v[46:47]
	v_fma_f64 v[50:51], s[36:37], v[48:49], v[16:17]
	v_fma_f64 v[50:51], v[48:49], v[50:51], s[38:39]
	;; [unrolled: 1-line block ×9, first 2 shown]
	v_fma_f64 v[50:51], v[48:49], v[50:51], 1.0
	v_fma_f64 v[48:49], v[48:49], v[50:51], 1.0
	v_cvt_i32_f64_e32 v4, v[46:47]
	s_mov_b32 s0, 0xdd2f1aa0
	v_ldexp_f64 v[46:47], v[48:49], v4
	s_mov_b32 s1, 0x3fe90624
	v_mul_f64 v[46:47], v[46:47], s[0:1]
	v_cmp_nlt_f64_e32 vcc, s[54:55], v[44:45]
	v_cmp_ngt_f64_e64 s[0:1], s[56:57], v[44:45]
	s_nop 0
	v_cndmask_b32_e32 v4, v52, v47, vcc
	s_and_b64 vcc, s[0:1], vcc
	v_cndmask_b32_e64 v45, 0, v4, s[0:1]
	s_mov_b32 s0, 0
	v_cndmask_b32_e32 v44, 0, v46, vcc
	s_mov_b32 s1, 0xc0b7cf00
	v_add_f64 v[42:43], v[42:43], v[44:45]
	v_mul_f64 v[44:45], v[22:23], s[0:1]
	v_mul_f64 v[46:47], v[44:45], s[62:63]
	v_rndne_f64_e32 v[46:47], v[46:47]
	v_fma_f64 v[48:49], s[58:59], v[46:47], v[44:45]
	v_fmac_f64_e32 v[48:49], s[60:61], v[46:47]
	v_fma_f64 v[50:51], s[36:37], v[48:49], v[16:17]
	v_fma_f64 v[50:51], v[48:49], v[50:51], s[38:39]
	v_fma_f64 v[50:51], v[48:49], v[50:51], s[40:41]
	v_fma_f64 v[50:51], v[48:49], v[50:51], s[42:43]
	v_fma_f64 v[50:51], v[48:49], v[50:51], s[44:45]
	v_fma_f64 v[50:51], v[48:49], v[50:51], s[46:47]
	v_fma_f64 v[50:51], v[48:49], v[50:51], s[48:49]
	v_fma_f64 v[50:51], v[48:49], v[50:51], s[50:51]
	v_fma_f64 v[50:51], v[48:49], v[50:51], s[52:53]
	v_fma_f64 v[50:51], v[48:49], v[50:51], 1.0
	v_fma_f64 v[48:49], v[48:49], v[50:51], 1.0
	v_cvt_i32_f64_e32 v4, v[46:47]
	v_ldexp_f64 v[46:47], v[48:49], v4
	v_cmp_nlt_f64_e32 vcc, s[54:55], v[44:45]
	v_cmp_ngt_f64_e64 s[0:1], s[56:57], v[44:45]
	s_nop 0
	v_cndmask_b32_e32 v4, v52, v47, vcc
	s_and_b64 vcc, s[0:1], vcc
	v_cndmask_b32_e32 v44, 0, v46, vcc
	v_cndmask_b32_e64 v45, 0, v4, s[0:1]
	v_add_f64 v[42:43], v[44:45], v[42:43]
	v_max_f64 v[42:43], v[42:43], s[18:19]
	v_frexp_mant_f64_e32 v[44:45], v[42:43]
	v_cmp_gt_f64_e32 vcc, s[20:21], v[44:45]
	v_frexp_exp_i32_f64_e32 v4, v[42:43]
	s_nop 0
	v_cndmask_b32_e64 v31, 0, 1, vcc
	v_ldexp_f64 v[44:45], v[44:45], v31
	v_add_f64 v[48:49], v[44:45], 1.0
	v_add_f64 v[50:51], v[48:49], -1.0
	v_add_f64 v[46:47], v[44:45], -1.0
	v_add_f64 v[44:45], v[44:45], -v[50:51]
	v_rcp_f64_e32 v[50:51], v[48:49]
	v_subbrev_co_u32_e32 v4, vcc, 0, v4, vcc
	v_cmp_neq_f64_e32 vcc, s[34:35], v[42:43]
	v_fma_f64 v[54:55], -v[48:49], v[50:51], 1.0
	v_fmac_f64_e32 v[50:51], v[54:55], v[50:51]
	v_fma_f64 v[54:55], -v[48:49], v[50:51], 1.0
	v_fmac_f64_e32 v[50:51], v[54:55], v[50:51]
	v_mul_f64 v[54:55], v[46:47], v[50:51]
	v_mul_f64 v[56:57], v[48:49], v[54:55]
	v_fma_f64 v[48:49], v[54:55], v[48:49], -v[56:57]
	v_fmac_f64_e32 v[48:49], v[54:55], v[44:45]
	v_add_f64 v[44:45], v[56:57], v[48:49]
	v_add_f64 v[58:59], v[46:47], -v[44:45]
	v_add_f64 v[56:57], v[44:45], -v[56:57]
	;; [unrolled: 1-line block ×5, first 2 shown]
	v_add_f64 v[44:45], v[46:47], v[44:45]
	v_add_f64 v[44:45], v[58:59], v[44:45]
	v_mul_f64 v[44:45], v[50:51], v[44:45]
	v_add_f64 v[46:47], v[54:55], v[44:45]
	v_add_f64 v[48:49], v[46:47], -v[54:55]
	v_add_f64 v[44:45], v[44:45], -v[48:49]
	v_mul_f64 v[48:49], v[46:47], v[46:47]
	v_fma_f64 v[50:51], s[2:3], v[48:49], v[14:15]
	v_fma_f64 v[50:51], v[48:49], v[50:51], s[4:5]
	v_fma_f64 v[50:51], v[48:49], v[50:51], s[6:7]
	v_fma_f64 v[50:51], v[48:49], v[50:51], s[14:15]
	v_fma_f64 v[50:51], v[48:49], v[50:51], s[16:17]
	v_fma_f64 v[50:51], v[48:49], v[50:51], s[22:23]
	v_ldexp_f64 v[54:55], v[46:47], 1
	v_mul_f64 v[46:47], v[46:47], v[48:49]
	v_mul_f64 v[46:47], v[46:47], v[50:51]
	v_add_f64 v[48:49], v[54:55], v[46:47]
	v_add_f64 v[50:51], v[48:49], -v[54:55]
	v_ldexp_f64 v[44:45], v[44:45], 1
	v_add_f64 v[46:47], v[46:47], -v[50:51]
	v_add_f64 v[46:47], v[44:45], v[46:47]
	v_add_f64 v[44:45], v[48:49], v[46:47]
	v_add_f64 v[48:49], v[44:45], -v[48:49]
	v_add_f64 v[46:47], v[46:47], -v[48:49]
	v_cvt_f64_i32_e32 v[48:49], v4
	v_mul_f64 v[54:55], v[48:49], s[24:25]
	v_fma_f64 v[56:57], v[48:49], s[24:25], -v[54:55]
	v_fmac_f64_e32 v[56:57], s[26:27], v[48:49]
	v_add_f64 v[50:51], v[54:55], v[56:57]
	v_add_f64 v[48:49], v[50:51], -v[54:55]
	v_mul_f64 v[54:55], v[44:45], s[28:29]
	v_add_f64 v[48:49], v[56:57], -v[48:49]
	v_fma_f64 v[56:57], v[44:45], s[28:29], -v[54:55]
	v_fmac_f64_e32 v[56:57], s[28:29], v[46:47]
	v_fmac_f64_e32 v[56:57], s[30:31], v[44:45]
	v_add_f64 v[44:45], v[54:55], v[56:57]
	v_add_f64 v[46:47], v[44:45], -v[54:55]
	v_add_f64 v[54:55], v[50:51], v[44:45]
	v_add_f64 v[46:47], v[56:57], -v[46:47]
	v_add_f64 v[56:57], v[54:55], -v[50:51]
	;; [unrolled: 1-line block ×5, first 2 shown]
	v_add_f64 v[44:45], v[44:45], v[50:51]
	v_add_f64 v[50:51], v[48:49], v[46:47]
	v_add_f64 v[56:57], v[50:51], -v[48:49]
	v_add_f64 v[58:59], v[50:51], -v[56:57]
	;; [unrolled: 1-line block ×4, first 2 shown]
	v_add_f64 v[44:45], v[50:51], v[44:45]
	v_add_f64 v[46:47], v[46:47], v[48:49]
	;; [unrolled: 1-line block ×3, first 2 shown]
	v_add_f64 v[50:51], v[48:49], -v[54:55]
	v_add_f64 v[44:45], v[44:45], -v[50:51]
	v_add_f64 v[44:45], v[46:47], v[44:45]
	v_add_f64 v[44:45], v[48:49], v[44:45]
	v_cndmask_b32_e32 v43, v52, v45, vcc
	v_cndmask_b32_e32 v42, 0, v44, vcc
	v_fma_f64 v[46:47], s[70:71], v[42:43], v[24:25]
	v_fma_f64 v[44:45], s[68:69], v[42:43], v[0:1]
	v_add_f64 v[40:41], v[40:41], -v[46:47]
	v_fmac_f64_e32 v[44:45], s[72:73], v[40:41]
	v_div_scale_f64 v[46:47], s[0:1], v[44:45], v[44:45], 1.0
	v_rcp_f64_e32 v[48:49], v[46:47]
	s_nop 0
	v_fma_f64 v[50:51], -v[46:47], v[48:49], 1.0
	v_fmac_f64_e32 v[48:49], v[48:49], v[50:51]
	v_fma_f64 v[50:51], -v[46:47], v[48:49], 1.0
	v_fmac_f64_e32 v[48:49], v[48:49], v[50:51]
	v_div_scale_f64 v[50:51], vcc, 1.0, v[44:45], 1.0
	v_mul_f64 v[54:55], v[50:51], v[48:49]
	v_fma_f64 v[46:47], -v[46:47], v[54:55], v[50:51]
	s_nop 1
	v_div_fmas_f64 v[46:47], v[46:47], v[48:49], v[54:55]
	v_div_fixup_f64 v[44:45], v[46:47], v[44:45], 1.0
	v_mul_f64 v[40:41], v[40:41], v[44:45]
	v_fma_f64 v[40:41], v[40:41], v[40:41], 1.0
	v_div_scale_f64 v[44:45], s[0:1], v[40:41], v[40:41], 1.0
	v_rcp_f64_e32 v[46:47], v[44:45]
	s_nop 0
	v_fma_f64 v[48:49], -v[44:45], v[46:47], 1.0
	v_fmac_f64_e32 v[46:47], v[46:47], v[48:49]
	v_fma_f64 v[48:49], -v[44:45], v[46:47], 1.0
	v_fmac_f64_e32 v[46:47], v[46:47], v[48:49]
	v_div_scale_f64 v[48:49], vcc, 1.0, v[40:41], 1.0
	v_mul_f64 v[50:51], v[48:49], v[46:47]
	v_fma_f64 v[44:45], -v[44:45], v[50:51], v[48:49]
	s_nop 1
	v_div_fmas_f64 v[44:45], v[44:45], v[46:47], v[50:51]
	v_div_fixup_f64 v[40:41], v[44:45], v[40:41], 1.0
	v_mul_f64 v[40:41], v[42:43], v[40:41]
	v_mul_f64 v[42:43], v[40:41], s[74:75]
	v_rndne_f64_e32 v[42:43], v[42:43]
	v_fma_f64 v[44:45], s[76:77], v[42:43], v[40:41]
	v_fmac_f64_e32 v[44:45], s[78:79], v[42:43]
	v_mul_f64 v[46:47], v[44:45], s[80:81]
	v_fmac_f64_e32 v[46:47], s[82:83], v[44:45]
	v_fma_f64 v[44:45], s[36:37], v[46:47], v[16:17]
	v_fma_f64 v[44:45], v[46:47], v[44:45], s[38:39]
	;; [unrolled: 1-line block ×9, first 2 shown]
	v_fma_f64 v[44:45], v[46:47], v[44:45], 1.0
	v_fma_f64 v[44:45], v[46:47], v[44:45], 1.0
	v_cvt_i32_f64_e32 v4, v[42:43]
	v_ldexp_f64 v[42:43], v[44:45], v4
	v_cmp_nlt_f64_e32 vcc, s[54:55], v[40:41]
	v_cmp_ngt_f64_e64 s[0:1], s[56:57], v[40:41]
	s_nop 0
	v_cndmask_b32_e32 v4, v52, v43, vcc
	s_and_b64 vcc, s[0:1], vcc
	v_cndmask_b32_e32 v40, 0, v42, vcc
	v_cndmask_b32_e64 v41, 0, v4, s[0:1]
	v_mul_f64 v[38:39], v[38:39], v[40:41]
	v_mul_f64 v[36:37], v[36:37], v[38:39]
	global_store_dwordx2 v[34:35], v[36:37], off
	global_load_dwordx2 v[34:35], v[32:33], off
	s_waitcnt vmcnt(0)
	v_mul_f64 v[34:35], v[34:35], v[38:39]
	global_load_dwordx2 v[36:37], v[28:29], off
	v_mad_u64_u32 v[28:29], s[0:1], s33, 13, v[30:31]
	v_mov_b32_e32 v29, v5
	v_lshlrev_b64 v[30:31], 3, v[28:29]
	global_store_dwordx2 v[32:33], v[34:35], off
	v_lshl_add_u64 v[32:33], s[8:9], 0, v[30:31]
	global_load_dwordx2 v[34:35], v[32:33], off
	v_lshl_add_u64 v[30:31], s[10:11], 0, v[30:31]
	s_waitcnt vmcnt(0)
	v_div_scale_f64 v[38:39], s[0:1], v[34:35], v[34:35], 1.0
	v_rcp_f64_e32 v[40:41], v[38:39]
	s_nop 0
	v_fma_f64 v[42:43], -v[38:39], v[40:41], 1.0
	v_fmac_f64_e32 v[40:41], v[40:41], v[42:43]
	v_fma_f64 v[42:43], -v[38:39], v[40:41], 1.0
	v_fmac_f64_e32 v[40:41], v[40:41], v[42:43]
	v_div_scale_f64 v[42:43], vcc, 1.0, v[34:35], 1.0
	v_mul_f64 v[44:45], v[42:43], v[40:41]
	v_fma_f64 v[38:39], -v[38:39], v[44:45], v[42:43]
	s_nop 1
	v_div_fmas_f64 v[38:39], v[38:39], v[40:41], v[44:45]
	v_div_fixup_f64 v[38:39], v[38:39], v[34:35], 1.0
	v_mul_f64 v[38:39], v[10:11], v[38:39]
	v_mul_f64 v[40:41], v[36:37], v[38:39]
	v_fma_f64 v[36:37], v[36:37], v[38:39], 1.0
	v_div_scale_f64 v[38:39], s[0:1], v[36:37], v[36:37], 1.0
	v_rcp_f64_e32 v[42:43], v[38:39]
	s_mov_b32 s0, 0x79fc1abc
	s_mov_b32 s1, 0xbf48715a
	v_fma_f64 v[44:45], -v[38:39], v[42:43], 1.0
	v_fmac_f64_e32 v[42:43], v[42:43], v[44:45]
	v_fma_f64 v[44:45], -v[38:39], v[42:43], 1.0
	v_fmac_f64_e32 v[42:43], v[42:43], v[44:45]
	v_div_scale_f64 v[44:45], vcc, 1.0, v[36:37], 1.0
	v_mul_f64 v[46:47], v[44:45], v[42:43]
	v_fma_f64 v[38:39], -v[38:39], v[46:47], v[44:45]
	s_nop 1
	v_div_fmas_f64 v[38:39], v[38:39], v[42:43], v[46:47]
	v_div_fixup_f64 v[36:37], v[38:39], v[36:37], 1.0
	v_max_f64 v[38:39], v[40:41], s[18:19]
	v_mul_f64 v[36:37], v[40:41], v[36:37]
	v_frexp_mant_f64_e32 v[40:41], v[38:39]
	v_cmp_gt_f64_e32 vcc, s[20:21], v[40:41]
	v_frexp_exp_i32_f64_e32 v4, v[38:39]
	s_nop 0
	v_cndmask_b32_e64 v29, 0, 1, vcc
	v_ldexp_f64 v[40:41], v[40:41], v29
	v_add_f64 v[44:45], v[40:41], 1.0
	v_add_f64 v[46:47], v[44:45], -1.0
	v_add_f64 v[42:43], v[40:41], -1.0
	v_add_f64 v[40:41], v[40:41], -v[46:47]
	v_rcp_f64_e32 v[46:47], v[44:45]
	v_subbrev_co_u32_e32 v4, vcc, 0, v4, vcc
	v_cmp_neq_f64_e32 vcc, s[34:35], v[38:39]
	v_fma_f64 v[48:49], -v[44:45], v[46:47], 1.0
	v_fmac_f64_e32 v[46:47], v[48:49], v[46:47]
	v_fma_f64 v[48:49], -v[44:45], v[46:47], 1.0
	v_fmac_f64_e32 v[46:47], v[48:49], v[46:47]
	v_mul_f64 v[48:49], v[42:43], v[46:47]
	v_mul_f64 v[50:51], v[44:45], v[48:49]
	v_fma_f64 v[44:45], v[48:49], v[44:45], -v[50:51]
	v_fmac_f64_e32 v[44:45], v[48:49], v[40:41]
	v_add_f64 v[40:41], v[50:51], v[44:45]
	v_add_f64 v[54:55], v[42:43], -v[40:41]
	v_add_f64 v[50:51], v[40:41], -v[50:51]
	;; [unrolled: 1-line block ×5, first 2 shown]
	v_add_f64 v[40:41], v[42:43], v[40:41]
	v_add_f64 v[40:41], v[54:55], v[40:41]
	v_mul_f64 v[40:41], v[46:47], v[40:41]
	v_add_f64 v[42:43], v[48:49], v[40:41]
	v_add_f64 v[44:45], v[42:43], -v[48:49]
	v_add_f64 v[40:41], v[40:41], -v[44:45]
	v_mul_f64 v[44:45], v[42:43], v[42:43]
	v_fma_f64 v[46:47], s[2:3], v[44:45], v[14:15]
	v_fma_f64 v[46:47], v[44:45], v[46:47], s[4:5]
	;; [unrolled: 1-line block ×6, first 2 shown]
	v_ldexp_f64 v[48:49], v[42:43], 1
	v_mul_f64 v[42:43], v[42:43], v[44:45]
	v_mul_f64 v[42:43], v[42:43], v[46:47]
	v_add_f64 v[44:45], v[48:49], v[42:43]
	v_add_f64 v[46:47], v[44:45], -v[48:49]
	v_ldexp_f64 v[40:41], v[40:41], 1
	v_add_f64 v[42:43], v[42:43], -v[46:47]
	v_add_f64 v[40:41], v[40:41], v[42:43]
	v_add_f64 v[42:43], v[44:45], v[40:41]
	v_add_f64 v[44:45], v[42:43], -v[44:45]
	v_add_f64 v[40:41], v[40:41], -v[44:45]
	v_cvt_f64_i32_e32 v[44:45], v4
	v_mul_f64 v[46:47], v[44:45], s[24:25]
	v_fma_f64 v[48:49], v[44:45], s[24:25], -v[46:47]
	v_fmac_f64_e32 v[48:49], s[26:27], v[44:45]
	v_add_f64 v[44:45], v[46:47], v[48:49]
	v_add_f64 v[46:47], v[44:45], -v[46:47]
	v_add_f64 v[46:47], v[48:49], -v[46:47]
	v_mul_f64 v[48:49], v[42:43], s[28:29]
	v_fma_f64 v[50:51], v[42:43], s[28:29], -v[48:49]
	v_fmac_f64_e32 v[50:51], s[28:29], v[40:41]
	v_fmac_f64_e32 v[50:51], s[30:31], v[42:43]
	v_add_f64 v[40:41], v[48:49], v[50:51]
	v_add_f64 v[42:43], v[40:41], -v[48:49]
	v_add_f64 v[48:49], v[44:45], v[40:41]
	v_add_f64 v[42:43], v[50:51], -v[42:43]
	v_add_f64 v[50:51], v[48:49], -v[44:45]
	;; [unrolled: 1-line block ×5, first 2 shown]
	v_add_f64 v[40:41], v[40:41], v[44:45]
	v_add_f64 v[44:45], v[46:47], v[42:43]
	v_add_f64 v[50:51], v[44:45], -v[46:47]
	v_add_f64 v[54:55], v[44:45], -v[50:51]
	v_add_f64 v[40:41], v[44:45], v[40:41]
	v_add_f64 v[46:47], v[46:47], -v[54:55]
	v_add_f64 v[42:43], v[42:43], -v[50:51]
	v_add_f64 v[44:45], v[48:49], v[40:41]
	v_add_f64 v[42:43], v[42:43], v[46:47]
	v_add_f64 v[46:47], v[44:45], -v[48:49]
	v_add_f64 v[40:41], v[40:41], -v[46:47]
	v_add_f64 v[40:41], v[42:43], v[40:41]
	v_add_f64 v[40:41], v[44:45], v[40:41]
	v_cndmask_b32_e32 v39, v52, v41, vcc
	v_cndmask_b32_e32 v38, 0, v40, vcc
	v_mul_f64 v[40:41], v[2:3], s[0:1]
	v_mul_f64 v[42:43], v[40:41], s[62:63]
	v_rndne_f64_e32 v[42:43], v[42:43]
	v_fma_f64 v[44:45], s[58:59], v[42:43], v[40:41]
	v_fmac_f64_e32 v[44:45], s[60:61], v[42:43]
	v_fma_f64 v[46:47], s[36:37], v[44:45], v[16:17]
	v_fma_f64 v[46:47], v[44:45], v[46:47], s[38:39]
	;; [unrolled: 1-line block ×9, first 2 shown]
	v_fma_f64 v[46:47], v[44:45], v[46:47], 1.0
	v_fma_f64 v[44:45], v[44:45], v[46:47], 1.0
	v_cvt_i32_f64_e32 v4, v[42:43]
	v_ldexp_f64 v[42:43], v[44:45], v4
	v_mul_f64 v[42:43], v[42:43], s[84:85]
	v_cmp_nlt_f64_e32 vcc, s[54:55], v[40:41]
	v_cmp_ngt_f64_e64 s[0:1], s[56:57], v[40:41]
	s_mov_b32 s85, 0x3fc66666
	v_cndmask_b32_e32 v4, v52, v43, vcc
	s_and_b64 vcc, s[0:1], vcc
	v_cndmask_b32_e64 v41, 0, v4, s[0:1]
	s_mov_b32 s0, 0x9cbd821e
	s_mov_b32 s1, 0xbef179ec
	v_cndmask_b32_e32 v40, 0, v42, vcc
	v_mul_f64 v[42:43], v[2:3], s[0:1]
	v_mul_f64 v[44:45], v[42:43], s[62:63]
	v_rndne_f64_e32 v[44:45], v[44:45]
	v_fma_f64 v[46:47], s[58:59], v[44:45], v[42:43]
	v_fmac_f64_e32 v[46:47], s[60:61], v[44:45]
	v_fma_f64 v[48:49], s[36:37], v[46:47], v[16:17]
	v_fma_f64 v[48:49], v[46:47], v[48:49], s[38:39]
	;; [unrolled: 1-line block ×9, first 2 shown]
	v_fma_f64 v[48:49], v[46:47], v[48:49], 1.0
	v_fma_f64 v[46:47], v[46:47], v[48:49], 1.0
	v_cvt_i32_f64_e32 v4, v[44:45]
	v_ldexp_f64 v[44:45], v[46:47], v4
	v_mul_f64 v[44:45], v[44:45], s[84:85]
	v_cmp_nlt_f64_e32 vcc, s[54:55], v[42:43]
	v_cmp_ngt_f64_e64 s[0:1], s[56:57], v[42:43]
	s_mov_b32 s85, 0xc0c3cde6
	v_cndmask_b32_e32 v4, v52, v45, vcc
	s_and_b64 vcc, s[0:1], vcc
	v_cndmask_b32_e32 v42, 0, v44, vcc
	v_cndmask_b32_e64 v43, 0, v4, s[0:1]
	v_add_f64 v[40:41], v[40:41], v[42:43]
	v_mul_f64 v[42:43], v[22:23], s[84:85]
	v_mul_f64 v[44:45], v[42:43], s[62:63]
	v_rndne_f64_e32 v[44:45], v[44:45]
	v_fma_f64 v[46:47], s[58:59], v[44:45], v[42:43]
	v_fmac_f64_e32 v[46:47], s[60:61], v[44:45]
	v_fma_f64 v[48:49], s[36:37], v[46:47], v[16:17]
	v_fma_f64 v[48:49], v[46:47], v[48:49], s[38:39]
	;; [unrolled: 1-line block ×9, first 2 shown]
	v_fma_f64 v[48:49], v[46:47], v[48:49], 1.0
	v_fma_f64 v[46:47], v[46:47], v[48:49], 1.0
	v_cvt_i32_f64_e32 v4, v[44:45]
	v_ldexp_f64 v[44:45], v[46:47], v4
	v_cmp_nlt_f64_e32 vcc, s[54:55], v[42:43]
	v_cmp_ngt_f64_e64 s[0:1], s[56:57], v[42:43]
	s_nop 0
	v_cndmask_b32_e32 v4, v52, v45, vcc
	s_and_b64 vcc, s[0:1], vcc
	v_cndmask_b32_e32 v42, 0, v44, vcc
	v_cndmask_b32_e64 v43, 0, v4, s[0:1]
	v_add_f64 v[40:41], v[42:43], v[40:41]
	v_max_f64 v[40:41], v[40:41], s[18:19]
	v_frexp_mant_f64_e32 v[42:43], v[40:41]
	v_cmp_gt_f64_e32 vcc, s[20:21], v[42:43]
	v_frexp_exp_i32_f64_e32 v4, v[40:41]
	s_nop 0
	v_cndmask_b32_e64 v29, 0, 1, vcc
	v_ldexp_f64 v[44:45], v[42:43], v29
	v_add_f64 v[46:47], v[44:45], 1.0
	v_add_f64 v[48:49], v[46:47], -1.0
	v_add_f64 v[42:43], v[44:45], -1.0
	v_add_f64 v[48:49], v[44:45], -v[48:49]
	v_rcp_f64_e32 v[44:45], v[46:47]
	v_subbrev_co_u32_e32 v4, vcc, 0, v4, vcc
	v_cmp_neq_f64_e32 vcc, s[34:35], v[40:41]
	v_fma_f64 v[50:51], -v[46:47], v[44:45], 1.0
	v_fmac_f64_e32 v[44:45], v[50:51], v[44:45]
	v_fma_f64 v[50:51], -v[46:47], v[44:45], 1.0
	v_fmac_f64_e32 v[44:45], v[50:51], v[44:45]
	v_mul_f64 v[50:51], v[42:43], v[44:45]
	v_mul_f64 v[54:55], v[46:47], v[50:51]
	v_fma_f64 v[46:47], v[50:51], v[46:47], -v[54:55]
	v_fmac_f64_e32 v[46:47], v[50:51], v[48:49]
	v_add_f64 v[48:49], v[54:55], v[46:47]
	v_add_f64 v[56:57], v[42:43], -v[48:49]
	v_add_f64 v[54:55], v[48:49], -v[54:55]
	;; [unrolled: 1-line block ×5, first 2 shown]
	v_add_f64 v[42:43], v[46:47], v[42:43]
	v_add_f64 v[42:43], v[56:57], v[42:43]
	v_mul_f64 v[42:43], v[44:45], v[42:43]
	v_add_f64 v[44:45], v[50:51], v[42:43]
	v_add_f64 v[46:47], v[44:45], -v[50:51]
	v_add_f64 v[42:43], v[42:43], -v[46:47]
	v_mul_f64 v[46:47], v[44:45], v[44:45]
	v_fma_f64 v[48:49], s[2:3], v[46:47], v[14:15]
	v_fma_f64 v[48:49], v[46:47], v[48:49], s[4:5]
	;; [unrolled: 1-line block ×6, first 2 shown]
	v_ldexp_f64 v[50:51], v[44:45], 1
	v_mul_f64 v[44:45], v[44:45], v[46:47]
	v_mul_f64 v[44:45], v[44:45], v[48:49]
	v_add_f64 v[46:47], v[50:51], v[44:45]
	v_add_f64 v[48:49], v[46:47], -v[50:51]
	v_ldexp_f64 v[42:43], v[42:43], 1
	v_add_f64 v[44:45], v[44:45], -v[48:49]
	v_add_f64 v[42:43], v[42:43], v[44:45]
	v_add_f64 v[44:45], v[46:47], v[42:43]
	v_add_f64 v[46:47], v[44:45], -v[46:47]
	v_add_f64 v[42:43], v[42:43], -v[46:47]
	v_cvt_f64_i32_e32 v[46:47], v4
	v_mul_f64 v[48:49], v[46:47], s[24:25]
	v_fma_f64 v[50:51], v[46:47], s[24:25], -v[48:49]
	v_fmac_f64_e32 v[50:51], s[26:27], v[46:47]
	v_add_f64 v[46:47], v[48:49], v[50:51]
	v_add_f64 v[48:49], v[46:47], -v[48:49]
	v_add_f64 v[48:49], v[50:51], -v[48:49]
	v_mul_f64 v[50:51], v[44:45], s[28:29]
	v_fma_f64 v[54:55], v[44:45], s[28:29], -v[50:51]
	v_fmac_f64_e32 v[54:55], s[28:29], v[42:43]
	v_fmac_f64_e32 v[54:55], s[30:31], v[44:45]
	v_add_f64 v[42:43], v[50:51], v[54:55]
	v_add_f64 v[44:45], v[42:43], -v[50:51]
	v_add_f64 v[50:51], v[46:47], v[42:43]
	v_add_f64 v[44:45], v[54:55], -v[44:45]
	v_add_f64 v[54:55], v[50:51], -v[46:47]
	;; [unrolled: 1-line block ×5, first 2 shown]
	v_add_f64 v[42:43], v[42:43], v[46:47]
	v_add_f64 v[46:47], v[48:49], v[44:45]
	v_add_f64 v[54:55], v[46:47], -v[48:49]
	v_add_f64 v[56:57], v[46:47], -v[54:55]
	v_add_f64 v[42:43], v[46:47], v[42:43]
	v_add_f64 v[48:49], v[48:49], -v[56:57]
	v_add_f64 v[44:45], v[44:45], -v[54:55]
	v_add_f64 v[46:47], v[50:51], v[42:43]
	v_add_f64 v[44:45], v[44:45], v[48:49]
	v_add_f64 v[48:49], v[46:47], -v[50:51]
	v_add_f64 v[42:43], v[42:43], -v[48:49]
	v_add_f64 v[42:43], v[44:45], v[42:43]
	v_add_f64 v[42:43], v[46:47], v[42:43]
	v_cndmask_b32_e32 v41, v52, v43, vcc
	v_cndmask_b32_e32 v40, 0, v42, vcc
	v_fma_f64 v[44:45], s[70:71], v[40:41], v[24:25]
	v_fma_f64 v[42:43], s[68:69], v[40:41], v[0:1]
	v_add_f64 v[38:39], v[38:39], -v[44:45]
	v_fmac_f64_e32 v[42:43], s[72:73], v[38:39]
	v_div_scale_f64 v[44:45], s[0:1], v[42:43], v[42:43], 1.0
	v_rcp_f64_e32 v[46:47], v[44:45]
	s_nop 0
	v_fma_f64 v[48:49], -v[44:45], v[46:47], 1.0
	v_fmac_f64_e32 v[46:47], v[46:47], v[48:49]
	v_fma_f64 v[48:49], -v[44:45], v[46:47], 1.0
	v_fmac_f64_e32 v[46:47], v[46:47], v[48:49]
	v_div_scale_f64 v[48:49], vcc, 1.0, v[42:43], 1.0
	v_mul_f64 v[50:51], v[48:49], v[46:47]
	v_fma_f64 v[44:45], -v[44:45], v[50:51], v[48:49]
	s_nop 1
	v_div_fmas_f64 v[44:45], v[44:45], v[46:47], v[50:51]
	v_div_fixup_f64 v[42:43], v[44:45], v[42:43], 1.0
	v_mul_f64 v[38:39], v[38:39], v[42:43]
	v_fma_f64 v[38:39], v[38:39], v[38:39], 1.0
	v_div_scale_f64 v[42:43], s[0:1], v[38:39], v[38:39], 1.0
	v_rcp_f64_e32 v[44:45], v[42:43]
	s_nop 0
	v_fma_f64 v[46:47], -v[42:43], v[44:45], 1.0
	v_fmac_f64_e32 v[44:45], v[44:45], v[46:47]
	v_fma_f64 v[46:47], -v[42:43], v[44:45], 1.0
	v_fmac_f64_e32 v[44:45], v[44:45], v[46:47]
	v_div_scale_f64 v[46:47], vcc, 1.0, v[38:39], 1.0
	v_mul_f64 v[48:49], v[46:47], v[44:45]
	v_fma_f64 v[42:43], -v[42:43], v[48:49], v[46:47]
	s_nop 1
	v_div_fmas_f64 v[42:43], v[42:43], v[44:45], v[48:49]
	v_div_fixup_f64 v[38:39], v[42:43], v[38:39], 1.0
	v_mul_f64 v[38:39], v[40:41], v[38:39]
	v_mul_f64 v[40:41], v[38:39], s[74:75]
	v_rndne_f64_e32 v[40:41], v[40:41]
	v_fma_f64 v[42:43], s[76:77], v[40:41], v[38:39]
	v_fmac_f64_e32 v[42:43], s[78:79], v[40:41]
	v_mul_f64 v[44:45], v[42:43], s[80:81]
	v_fmac_f64_e32 v[44:45], s[82:83], v[42:43]
	v_fma_f64 v[42:43], s[36:37], v[44:45], v[16:17]
	v_fma_f64 v[42:43], v[44:45], v[42:43], s[38:39]
	;; [unrolled: 1-line block ×9, first 2 shown]
	v_fma_f64 v[42:43], v[44:45], v[42:43], 1.0
	v_fma_f64 v[42:43], v[44:45], v[42:43], 1.0
	v_cvt_i32_f64_e32 v4, v[40:41]
	v_ldexp_f64 v[40:41], v[42:43], v4
	v_cmp_nlt_f64_e32 vcc, s[54:55], v[38:39]
	v_cmp_ngt_f64_e64 s[0:1], s[56:57], v[38:39]
	s_nop 0
	v_cndmask_b32_e32 v4, v52, v41, vcc
	s_and_b64 vcc, s[0:1], vcc
	v_cndmask_b32_e32 v38, 0, v40, vcc
	v_cndmask_b32_e64 v39, 0, v4, s[0:1]
	v_mul_f64 v[36:37], v[36:37], v[38:39]
	v_mul_f64 v[34:35], v[34:35], v[36:37]
	global_store_dwordx2 v[32:33], v[34:35], off
	global_load_dwordx2 v[32:33], v[30:31], off
	s_waitcnt vmcnt(0)
	v_mul_f64 v[32:33], v[32:33], v[36:37]
	global_load_dwordx2 v[34:35], v[26:27], off
	v_mad_u64_u32 v[26:27], s[0:1], s33, 3, v[28:29]
	v_mov_b32_e32 v27, v5
	v_lshlrev_b64 v[28:29], 3, v[26:27]
	global_store_dwordx2 v[30:31], v[32:33], off
	v_lshl_add_u64 v[30:31], s[8:9], 0, v[28:29]
	global_load_dwordx2 v[32:33], v[30:31], off
	v_lshl_add_u64 v[28:29], s[10:11], 0, v[28:29]
	s_waitcnt vmcnt(0)
	v_div_scale_f64 v[36:37], s[0:1], v[32:33], v[32:33], 1.0
	v_rcp_f64_e32 v[38:39], v[36:37]
	s_nop 0
	v_fma_f64 v[40:41], -v[36:37], v[38:39], 1.0
	v_fmac_f64_e32 v[38:39], v[38:39], v[40:41]
	v_fma_f64 v[40:41], -v[36:37], v[38:39], 1.0
	v_fmac_f64_e32 v[38:39], v[38:39], v[40:41]
	v_div_scale_f64 v[40:41], vcc, 1.0, v[32:33], 1.0
	v_mul_f64 v[42:43], v[40:41], v[38:39]
	v_fma_f64 v[36:37], -v[36:37], v[42:43], v[40:41]
	s_nop 1
	v_div_fmas_f64 v[36:37], v[36:37], v[38:39], v[42:43]
	v_div_fixup_f64 v[36:37], v[36:37], v[32:33], 1.0
	v_mul_f64 v[36:37], v[10:11], v[36:37]
	v_mul_f64 v[38:39], v[34:35], v[36:37]
	v_fma_f64 v[34:35], v[34:35], v[36:37], 1.0
	v_div_scale_f64 v[36:37], s[0:1], v[34:35], v[34:35], 1.0
	v_rcp_f64_e32 v[40:41], v[36:37]
	s_mov_b32 s0, 0x6156683e
	s_mov_b32 s1, 0xbf1d7452
	v_fma_f64 v[42:43], -v[36:37], v[40:41], 1.0
	v_fmac_f64_e32 v[40:41], v[40:41], v[42:43]
	v_fma_f64 v[42:43], -v[36:37], v[40:41], 1.0
	v_fmac_f64_e32 v[40:41], v[40:41], v[42:43]
	v_div_scale_f64 v[42:43], vcc, 1.0, v[34:35], 1.0
	v_mul_f64 v[44:45], v[42:43], v[40:41]
	v_fma_f64 v[36:37], -v[36:37], v[44:45], v[42:43]
	s_nop 1
	v_div_fmas_f64 v[36:37], v[36:37], v[40:41], v[44:45]
	v_div_fixup_f64 v[34:35], v[36:37], v[34:35], 1.0
	v_max_f64 v[36:37], v[38:39], s[18:19]
	v_mul_f64 v[34:35], v[38:39], v[34:35]
	v_frexp_mant_f64_e32 v[38:39], v[36:37]
	v_cmp_gt_f64_e32 vcc, s[20:21], v[38:39]
	v_frexp_exp_i32_f64_e32 v4, v[36:37]
	s_nop 0
	v_cndmask_b32_e64 v27, 0, 1, vcc
	v_ldexp_f64 v[38:39], v[38:39], v27
	v_add_f64 v[42:43], v[38:39], 1.0
	v_add_f64 v[44:45], v[42:43], -1.0
	v_add_f64 v[40:41], v[38:39], -1.0
	v_add_f64 v[38:39], v[38:39], -v[44:45]
	v_rcp_f64_e32 v[44:45], v[42:43]
	v_subbrev_co_u32_e32 v4, vcc, 0, v4, vcc
	v_cmp_neq_f64_e32 vcc, s[34:35], v[36:37]
	v_fma_f64 v[46:47], -v[42:43], v[44:45], 1.0
	v_fmac_f64_e32 v[44:45], v[46:47], v[44:45]
	v_fma_f64 v[46:47], -v[42:43], v[44:45], 1.0
	v_fmac_f64_e32 v[44:45], v[46:47], v[44:45]
	v_mul_f64 v[46:47], v[40:41], v[44:45]
	v_mul_f64 v[48:49], v[42:43], v[46:47]
	v_fma_f64 v[42:43], v[46:47], v[42:43], -v[48:49]
	v_fmac_f64_e32 v[42:43], v[46:47], v[38:39]
	v_add_f64 v[38:39], v[48:49], v[42:43]
	v_add_f64 v[50:51], v[40:41], -v[38:39]
	v_add_f64 v[48:49], v[38:39], -v[48:49]
	;; [unrolled: 1-line block ×5, first 2 shown]
	v_add_f64 v[38:39], v[40:41], v[38:39]
	v_add_f64 v[38:39], v[50:51], v[38:39]
	v_mul_f64 v[38:39], v[44:45], v[38:39]
	v_add_f64 v[40:41], v[46:47], v[38:39]
	v_add_f64 v[42:43], v[40:41], -v[46:47]
	v_add_f64 v[38:39], v[38:39], -v[42:43]
	v_mul_f64 v[42:43], v[40:41], v[40:41]
	v_fma_f64 v[44:45], s[2:3], v[42:43], v[14:15]
	v_fma_f64 v[44:45], v[42:43], v[44:45], s[4:5]
	;; [unrolled: 1-line block ×6, first 2 shown]
	v_ldexp_f64 v[46:47], v[40:41], 1
	v_mul_f64 v[40:41], v[40:41], v[42:43]
	v_mul_f64 v[40:41], v[40:41], v[44:45]
	v_add_f64 v[42:43], v[46:47], v[40:41]
	v_add_f64 v[44:45], v[42:43], -v[46:47]
	v_ldexp_f64 v[38:39], v[38:39], 1
	v_add_f64 v[40:41], v[40:41], -v[44:45]
	v_add_f64 v[38:39], v[38:39], v[40:41]
	v_add_f64 v[40:41], v[42:43], v[38:39]
	v_add_f64 v[42:43], v[40:41], -v[42:43]
	v_add_f64 v[38:39], v[38:39], -v[42:43]
	v_cvt_f64_i32_e32 v[42:43], v4
	v_mul_f64 v[44:45], v[42:43], s[24:25]
	v_fma_f64 v[46:47], v[42:43], s[24:25], -v[44:45]
	v_fmac_f64_e32 v[46:47], s[26:27], v[42:43]
	v_add_f64 v[42:43], v[44:45], v[46:47]
	v_add_f64 v[44:45], v[42:43], -v[44:45]
	v_add_f64 v[44:45], v[46:47], -v[44:45]
	v_mul_f64 v[46:47], v[40:41], s[28:29]
	v_fma_f64 v[48:49], v[40:41], s[28:29], -v[46:47]
	v_fmac_f64_e32 v[48:49], s[28:29], v[38:39]
	v_fmac_f64_e32 v[48:49], s[30:31], v[40:41]
	v_add_f64 v[38:39], v[46:47], v[48:49]
	v_add_f64 v[40:41], v[38:39], -v[46:47]
	v_add_f64 v[46:47], v[42:43], v[38:39]
	v_add_f64 v[40:41], v[48:49], -v[40:41]
	v_add_f64 v[48:49], v[46:47], -v[42:43]
	;; [unrolled: 1-line block ×5, first 2 shown]
	v_add_f64 v[38:39], v[38:39], v[42:43]
	v_add_f64 v[42:43], v[44:45], v[40:41]
	v_add_f64 v[48:49], v[42:43], -v[44:45]
	v_add_f64 v[50:51], v[42:43], -v[48:49]
	v_add_f64 v[38:39], v[42:43], v[38:39]
	v_add_f64 v[44:45], v[44:45], -v[50:51]
	v_add_f64 v[40:41], v[40:41], -v[48:49]
	v_add_f64 v[42:43], v[46:47], v[38:39]
	v_add_f64 v[40:41], v[40:41], v[44:45]
	v_add_f64 v[44:45], v[42:43], -v[46:47]
	v_add_f64 v[38:39], v[38:39], -v[44:45]
	v_add_f64 v[38:39], v[40:41], v[38:39]
	v_add_f64 v[38:39], v[42:43], v[38:39]
	v_cndmask_b32_e32 v37, v52, v39, vcc
	v_cndmask_b32_e32 v36, 0, v38, vcc
	v_mul_f64 v[38:39], v[2:3], s[0:1]
	v_mul_f64 v[40:41], v[38:39], s[62:63]
	v_rndne_f64_e32 v[40:41], v[40:41]
	v_fma_f64 v[42:43], s[58:59], v[40:41], v[38:39]
	v_fmac_f64_e32 v[42:43], s[60:61], v[40:41]
	v_fma_f64 v[44:45], s[36:37], v[42:43], v[16:17]
	v_fma_f64 v[44:45], v[42:43], v[44:45], s[38:39]
	;; [unrolled: 1-line block ×9, first 2 shown]
	v_fma_f64 v[44:45], v[42:43], v[44:45], 1.0
	v_fma_f64 v[42:43], v[42:43], v[44:45], 1.0
	v_cvt_i32_f64_e32 v4, v[40:41]
	v_ldexp_f64 v[40:41], v[42:43], v4
	v_mul_f64 v[40:41], v[40:41], s[66:67]
	v_cmp_nlt_f64_e32 vcc, s[54:55], v[38:39]
	v_cmp_ngt_f64_e64 s[0:1], s[56:57], v[38:39]
	s_mov_b32 s67, 0xbf80624d
	v_cndmask_b32_e32 v4, v52, v41, vcc
	s_and_b64 vcc, s[0:1], vcc
	v_cndmask_b32_e64 v39, 0, v4, s[0:1]
	s_mov_b32 s0, 0x9b7bb433
	s_mov_b32 s1, 0xbf2e21a9
	v_cndmask_b32_e32 v38, 0, v40, vcc
	v_mul_f64 v[40:41], v[2:3], s[0:1]
	v_mul_f64 v[42:43], v[40:41], s[62:63]
	v_rndne_f64_e32 v[42:43], v[42:43]
	v_fma_f64 v[44:45], s[58:59], v[42:43], v[40:41]
	v_fmac_f64_e32 v[44:45], s[60:61], v[42:43]
	v_fma_f64 v[46:47], s[36:37], v[44:45], v[16:17]
	v_fma_f64 v[46:47], v[44:45], v[46:47], s[38:39]
	;; [unrolled: 1-line block ×9, first 2 shown]
	v_fma_f64 v[46:47], v[44:45], v[46:47], 1.0
	v_fma_f64 v[44:45], v[44:45], v[46:47], 1.0
	v_cvt_i32_f64_e32 v4, v[42:43]
	v_ldexp_f64 v[42:43], v[44:45], v4
	v_mul_f64 v[42:43], v[42:43], s[86:87]
	v_cmp_nlt_f64_e32 vcc, s[54:55], v[40:41]
	v_cmp_ngt_f64_e64 s[0:1], s[56:57], v[40:41]
	s_mov_b32 s66, 0xd2f1a9fc
	v_cndmask_b32_e32 v4, v52, v43, vcc
	s_and_b64 vcc, s[0:1], vcc
	v_cndmask_b32_e64 v41, 0, v4, s[0:1]
	s_mov_b32 s0, 0
	v_cndmask_b32_e32 v40, 0, v42, vcc
	s_mov_b32 s1, 0xc0bc4c00
	v_add_f64 v[38:39], v[38:39], v[40:41]
	v_mul_f64 v[40:41], v[22:23], s[0:1]
	v_mul_f64 v[42:43], v[40:41], s[62:63]
	v_rndne_f64_e32 v[42:43], v[42:43]
	v_fma_f64 v[44:45], s[58:59], v[42:43], v[40:41]
	v_fmac_f64_e32 v[44:45], s[60:61], v[42:43]
	v_fma_f64 v[46:47], s[36:37], v[44:45], v[16:17]
	v_fma_f64 v[46:47], v[44:45], v[46:47], s[38:39]
	;; [unrolled: 1-line block ×9, first 2 shown]
	v_fma_f64 v[46:47], v[44:45], v[46:47], 1.0
	v_fma_f64 v[44:45], v[44:45], v[46:47], 1.0
	v_cvt_i32_f64_e32 v4, v[42:43]
	v_ldexp_f64 v[42:43], v[44:45], v4
	v_cmp_nlt_f64_e32 vcc, s[54:55], v[40:41]
	v_cmp_ngt_f64_e64 s[0:1], s[56:57], v[40:41]
	s_nop 0
	v_cndmask_b32_e32 v4, v52, v43, vcc
	s_and_b64 vcc, s[0:1], vcc
	v_cndmask_b32_e32 v40, 0, v42, vcc
	v_cndmask_b32_e64 v41, 0, v4, s[0:1]
	v_add_f64 v[38:39], v[40:41], v[38:39]
	v_max_f64 v[38:39], v[38:39], s[18:19]
	v_frexp_mant_f64_e32 v[40:41], v[38:39]
	v_cmp_gt_f64_e32 vcc, s[20:21], v[40:41]
	v_frexp_exp_i32_f64_e32 v4, v[38:39]
	s_nop 0
	v_cndmask_b32_e64 v27, 0, 1, vcc
	v_ldexp_f64 v[40:41], v[40:41], v27
	v_add_f64 v[44:45], v[40:41], 1.0
	v_add_f64 v[46:47], v[44:45], -1.0
	v_add_f64 v[42:43], v[40:41], -1.0
	v_add_f64 v[40:41], v[40:41], -v[46:47]
	v_rcp_f64_e32 v[46:47], v[44:45]
	v_subbrev_co_u32_e32 v4, vcc, 0, v4, vcc
	v_cmp_neq_f64_e32 vcc, s[34:35], v[38:39]
	v_fma_f64 v[48:49], -v[44:45], v[46:47], 1.0
	v_fmac_f64_e32 v[46:47], v[48:49], v[46:47]
	v_fma_f64 v[48:49], -v[44:45], v[46:47], 1.0
	v_fmac_f64_e32 v[46:47], v[48:49], v[46:47]
	v_mul_f64 v[48:49], v[42:43], v[46:47]
	v_mul_f64 v[50:51], v[44:45], v[48:49]
	v_fma_f64 v[44:45], v[48:49], v[44:45], -v[50:51]
	v_fmac_f64_e32 v[44:45], v[48:49], v[40:41]
	v_add_f64 v[40:41], v[50:51], v[44:45]
	v_add_f64 v[54:55], v[42:43], -v[40:41]
	v_add_f64 v[50:51], v[40:41], -v[50:51]
	;; [unrolled: 1-line block ×5, first 2 shown]
	v_add_f64 v[40:41], v[42:43], v[40:41]
	v_add_f64 v[40:41], v[54:55], v[40:41]
	v_mul_f64 v[40:41], v[46:47], v[40:41]
	v_add_f64 v[42:43], v[48:49], v[40:41]
	v_add_f64 v[44:45], v[42:43], -v[48:49]
	v_add_f64 v[40:41], v[40:41], -v[44:45]
	v_mul_f64 v[44:45], v[42:43], v[42:43]
	v_fma_f64 v[46:47], s[2:3], v[44:45], v[14:15]
	v_fma_f64 v[46:47], v[44:45], v[46:47], s[4:5]
	v_fma_f64 v[46:47], v[44:45], v[46:47], s[6:7]
	v_fma_f64 v[46:47], v[44:45], v[46:47], s[14:15]
	v_fma_f64 v[46:47], v[44:45], v[46:47], s[16:17]
	v_fma_f64 v[46:47], v[44:45], v[46:47], s[22:23]
	v_ldexp_f64 v[48:49], v[42:43], 1
	v_mul_f64 v[42:43], v[42:43], v[44:45]
	v_mul_f64 v[42:43], v[42:43], v[46:47]
	v_add_f64 v[44:45], v[48:49], v[42:43]
	v_add_f64 v[46:47], v[44:45], -v[48:49]
	v_ldexp_f64 v[40:41], v[40:41], 1
	v_add_f64 v[42:43], v[42:43], -v[46:47]
	v_add_f64 v[40:41], v[40:41], v[42:43]
	v_add_f64 v[42:43], v[44:45], v[40:41]
	v_add_f64 v[44:45], v[42:43], -v[44:45]
	v_add_f64 v[40:41], v[40:41], -v[44:45]
	v_cvt_f64_i32_e32 v[44:45], v4
	v_mul_f64 v[46:47], v[44:45], s[24:25]
	v_fma_f64 v[48:49], v[44:45], s[24:25], -v[46:47]
	v_fmac_f64_e32 v[48:49], s[26:27], v[44:45]
	v_add_f64 v[44:45], v[46:47], v[48:49]
	v_add_f64 v[46:47], v[44:45], -v[46:47]
	v_add_f64 v[46:47], v[48:49], -v[46:47]
	v_mul_f64 v[48:49], v[42:43], s[28:29]
	v_fma_f64 v[50:51], v[42:43], s[28:29], -v[48:49]
	v_fmac_f64_e32 v[50:51], s[28:29], v[40:41]
	v_fmac_f64_e32 v[50:51], s[30:31], v[42:43]
	v_add_f64 v[40:41], v[48:49], v[50:51]
	v_add_f64 v[42:43], v[40:41], -v[48:49]
	v_add_f64 v[48:49], v[44:45], v[40:41]
	v_add_f64 v[42:43], v[50:51], -v[42:43]
	v_add_f64 v[50:51], v[48:49], -v[44:45]
	;; [unrolled: 1-line block ×5, first 2 shown]
	v_add_f64 v[40:41], v[40:41], v[44:45]
	v_add_f64 v[44:45], v[46:47], v[42:43]
	v_add_f64 v[50:51], v[44:45], -v[46:47]
	v_add_f64 v[54:55], v[44:45], -v[50:51]
	v_add_f64 v[40:41], v[44:45], v[40:41]
	v_add_f64 v[46:47], v[46:47], -v[54:55]
	v_add_f64 v[42:43], v[42:43], -v[50:51]
	v_add_f64 v[44:45], v[48:49], v[40:41]
	v_add_f64 v[42:43], v[42:43], v[46:47]
	v_add_f64 v[46:47], v[44:45], -v[48:49]
	v_add_f64 v[40:41], v[40:41], -v[46:47]
	v_add_f64 v[40:41], v[42:43], v[40:41]
	v_add_f64 v[40:41], v[44:45], v[40:41]
	v_cndmask_b32_e32 v39, v52, v41, vcc
	v_cndmask_b32_e32 v38, 0, v40, vcc
	v_fma_f64 v[42:43], s[70:71], v[38:39], v[24:25]
	v_fma_f64 v[40:41], s[68:69], v[38:39], v[0:1]
	v_add_f64 v[36:37], v[36:37], -v[42:43]
	v_fmac_f64_e32 v[40:41], s[72:73], v[36:37]
	v_div_scale_f64 v[42:43], s[0:1], v[40:41], v[40:41], 1.0
	v_rcp_f64_e32 v[44:45], v[42:43]
	s_nop 0
	v_fma_f64 v[46:47], -v[42:43], v[44:45], 1.0
	v_fmac_f64_e32 v[44:45], v[44:45], v[46:47]
	v_fma_f64 v[46:47], -v[42:43], v[44:45], 1.0
	v_fmac_f64_e32 v[44:45], v[44:45], v[46:47]
	v_div_scale_f64 v[46:47], vcc, 1.0, v[40:41], 1.0
	v_mul_f64 v[48:49], v[46:47], v[44:45]
	v_fma_f64 v[42:43], -v[42:43], v[48:49], v[46:47]
	s_nop 1
	v_div_fmas_f64 v[42:43], v[42:43], v[44:45], v[48:49]
	v_div_fixup_f64 v[40:41], v[42:43], v[40:41], 1.0
	v_mul_f64 v[36:37], v[36:37], v[40:41]
	v_fma_f64 v[36:37], v[36:37], v[36:37], 1.0
	v_div_scale_f64 v[40:41], s[0:1], v[36:37], v[36:37], 1.0
	v_rcp_f64_e32 v[42:43], v[40:41]
	s_nop 0
	v_fma_f64 v[44:45], -v[40:41], v[42:43], 1.0
	v_fmac_f64_e32 v[42:43], v[42:43], v[44:45]
	v_fma_f64 v[44:45], -v[40:41], v[42:43], 1.0
	v_fmac_f64_e32 v[42:43], v[42:43], v[44:45]
	v_div_scale_f64 v[44:45], vcc, 1.0, v[36:37], 1.0
	v_mul_f64 v[46:47], v[44:45], v[42:43]
	v_fma_f64 v[40:41], -v[40:41], v[46:47], v[44:45]
	s_nop 1
	v_div_fmas_f64 v[40:41], v[40:41], v[42:43], v[46:47]
	v_div_fixup_f64 v[36:37], v[40:41], v[36:37], 1.0
	v_mul_f64 v[36:37], v[38:39], v[36:37]
	v_mul_f64 v[38:39], v[36:37], s[74:75]
	v_rndne_f64_e32 v[38:39], v[38:39]
	v_fma_f64 v[40:41], s[76:77], v[38:39], v[36:37]
	v_fmac_f64_e32 v[40:41], s[78:79], v[38:39]
	v_mul_f64 v[42:43], v[40:41], s[80:81]
	v_fmac_f64_e32 v[42:43], s[82:83], v[40:41]
	v_fma_f64 v[40:41], s[36:37], v[42:43], v[16:17]
	v_fma_f64 v[40:41], v[42:43], v[40:41], s[38:39]
	;; [unrolled: 1-line block ×9, first 2 shown]
	v_fma_f64 v[40:41], v[42:43], v[40:41], 1.0
	v_fma_f64 v[40:41], v[42:43], v[40:41], 1.0
	v_cvt_i32_f64_e32 v4, v[38:39]
	v_ldexp_f64 v[38:39], v[40:41], v4
	v_cmp_nlt_f64_e32 vcc, s[54:55], v[36:37]
	v_cmp_ngt_f64_e64 s[0:1], s[56:57], v[36:37]
	s_nop 0
	v_cndmask_b32_e32 v4, v52, v39, vcc
	s_and_b64 vcc, s[0:1], vcc
	v_cndmask_b32_e32 v36, 0, v38, vcc
	v_cndmask_b32_e64 v37, 0, v4, s[0:1]
	v_mul_f64 v[34:35], v[34:35], v[36:37]
	v_mul_f64 v[32:33], v[32:33], v[34:35]
	global_store_dwordx2 v[30:31], v[32:33], off
	global_load_dwordx2 v[30:31], v[28:29], off
	s_mul_i32 s0, s33, 0xffffff7d
	v_add_u32_e32 v4, s0, v26
	s_mul_i32 s0, s33, 0x8a
	v_lshl_add_u64 v[26:27], v[4:5], 3, s[12:13]
	v_add_u32_e32 v4, s0, v4
	global_load_dwordx2 v[32:33], v[26:27], off
	v_lshlrev_b64 v[26:27], 3, v[4:5]
	v_add_u32_e32 v4, s33, v4
	s_waitcnt vmcnt(1)
	v_mul_f64 v[30:31], v[30:31], v[34:35]
	global_store_dwordx2 v[28:29], v[30:31], off
	v_lshl_add_u64 v[28:29], s[8:9], 0, v[26:27]
	global_load_dwordx2 v[30:31], v[28:29], off
	v_lshl_add_u64 v[26:27], s[10:11], 0, v[26:27]
	s_waitcnt vmcnt(0)
	v_div_scale_f64 v[34:35], s[0:1], v[30:31], v[30:31], 1.0
	v_rcp_f64_e32 v[36:37], v[34:35]
	s_nop 0
	v_fma_f64 v[38:39], -v[34:35], v[36:37], 1.0
	v_fmac_f64_e32 v[36:37], v[36:37], v[38:39]
	v_fma_f64 v[38:39], -v[34:35], v[36:37], 1.0
	v_fmac_f64_e32 v[36:37], v[36:37], v[38:39]
	v_div_scale_f64 v[38:39], vcc, 1.0, v[30:31], 1.0
	v_mul_f64 v[40:41], v[38:39], v[36:37]
	v_fma_f64 v[34:35], -v[34:35], v[40:41], v[38:39]
	s_nop 1
	v_div_fmas_f64 v[34:35], v[34:35], v[36:37], v[40:41]
	v_div_fixup_f64 v[34:35], v[34:35], v[30:31], 1.0
	v_mul_f64 v[34:35], v[10:11], v[34:35]
	v_mul_f64 v[36:37], v[32:33], v[34:35]
	v_fma_f64 v[32:33], v[32:33], v[34:35], 1.0
	v_div_scale_f64 v[34:35], s[0:1], v[32:33], v[32:33], 1.0
	v_rcp_f64_e32 v[38:39], v[34:35]
	s_mov_b32 s0, 0x16c16c17
	s_mov_b32 s1, 0xbf76c16c
	v_fma_f64 v[40:41], -v[34:35], v[38:39], 1.0
	v_fmac_f64_e32 v[38:39], v[38:39], v[40:41]
	v_fma_f64 v[40:41], -v[34:35], v[38:39], 1.0
	v_fmac_f64_e32 v[38:39], v[38:39], v[40:41]
	v_div_scale_f64 v[40:41], vcc, 1.0, v[32:33], 1.0
	v_mul_f64 v[42:43], v[40:41], v[38:39]
	v_fma_f64 v[34:35], -v[34:35], v[42:43], v[40:41]
	s_nop 1
	v_div_fmas_f64 v[34:35], v[34:35], v[38:39], v[42:43]
	v_div_fixup_f64 v[32:33], v[34:35], v[32:33], 1.0
	v_max_f64 v[34:35], v[36:37], s[18:19]
	v_mul_f64 v[32:33], v[36:37], v[32:33]
	v_frexp_mant_f64_e32 v[36:37], v[34:35]
	v_cmp_gt_f64_e32 vcc, s[20:21], v[36:37]
	v_frexp_exp_i32_f64_e32 v38, v[34:35]
	s_nop 0
	v_cndmask_b32_e64 v39, 0, 1, vcc
	v_ldexp_f64 v[36:37], v[36:37], v39
	v_add_f64 v[40:41], v[36:37], 1.0
	v_add_f64 v[42:43], v[40:41], -1.0
	v_subbrev_co_u32_e32 v50, vcc, 0, v38, vcc
	v_add_f64 v[38:39], v[36:37], -1.0
	v_add_f64 v[36:37], v[36:37], -v[42:43]
	v_rcp_f64_e32 v[42:43], v[40:41]
	v_cmp_neq_f64_e32 vcc, s[34:35], v[34:35]
	v_fma_f64 v[44:45], -v[40:41], v[42:43], 1.0
	v_fmac_f64_e32 v[42:43], v[44:45], v[42:43]
	v_fma_f64 v[44:45], -v[40:41], v[42:43], 1.0
	v_fmac_f64_e32 v[42:43], v[44:45], v[42:43]
	v_mul_f64 v[44:45], v[38:39], v[42:43]
	v_mul_f64 v[46:47], v[40:41], v[44:45]
	v_fma_f64 v[40:41], v[44:45], v[40:41], -v[46:47]
	v_fmac_f64_e32 v[40:41], v[44:45], v[36:37]
	v_add_f64 v[36:37], v[46:47], v[40:41]
	v_add_f64 v[48:49], v[38:39], -v[36:37]
	v_add_f64 v[46:47], v[36:37], -v[46:47]
	v_add_f64 v[38:39], v[38:39], -v[48:49]
	v_add_f64 v[36:37], v[38:39], -v[36:37]
	v_add_f64 v[38:39], v[46:47], -v[40:41]
	v_add_f64 v[36:37], v[38:39], v[36:37]
	v_add_f64 v[36:37], v[48:49], v[36:37]
	v_mul_f64 v[36:37], v[42:43], v[36:37]
	v_add_f64 v[38:39], v[44:45], v[36:37]
	v_add_f64 v[40:41], v[38:39], -v[44:45]
	v_add_f64 v[36:37], v[36:37], -v[40:41]
	v_mul_f64 v[40:41], v[38:39], v[38:39]
	v_fma_f64 v[42:43], s[2:3], v[40:41], v[14:15]
	v_fma_f64 v[42:43], v[40:41], v[42:43], s[4:5]
	;; [unrolled: 1-line block ×6, first 2 shown]
	v_ldexp_f64 v[44:45], v[38:39], 1
	v_mul_f64 v[38:39], v[38:39], v[40:41]
	v_mul_f64 v[38:39], v[38:39], v[42:43]
	v_add_f64 v[40:41], v[44:45], v[38:39]
	v_add_f64 v[42:43], v[40:41], -v[44:45]
	v_ldexp_f64 v[36:37], v[36:37], 1
	v_add_f64 v[38:39], v[38:39], -v[42:43]
	v_add_f64 v[36:37], v[36:37], v[38:39]
	v_add_f64 v[38:39], v[40:41], v[36:37]
	v_add_f64 v[40:41], v[38:39], -v[40:41]
	v_add_f64 v[36:37], v[36:37], -v[40:41]
	v_cvt_f64_i32_e32 v[40:41], v50
	v_mul_f64 v[42:43], v[40:41], s[24:25]
	v_fma_f64 v[44:45], v[40:41], s[24:25], -v[42:43]
	v_fmac_f64_e32 v[44:45], s[26:27], v[40:41]
	v_add_f64 v[40:41], v[42:43], v[44:45]
	v_add_f64 v[42:43], v[40:41], -v[42:43]
	v_add_f64 v[42:43], v[44:45], -v[42:43]
	v_mul_f64 v[44:45], v[38:39], s[28:29]
	v_fma_f64 v[46:47], v[38:39], s[28:29], -v[44:45]
	v_fmac_f64_e32 v[46:47], s[28:29], v[36:37]
	v_fmac_f64_e32 v[46:47], s[30:31], v[38:39]
	v_add_f64 v[36:37], v[44:45], v[46:47]
	v_add_f64 v[38:39], v[36:37], -v[44:45]
	v_add_f64 v[44:45], v[40:41], v[36:37]
	v_add_f64 v[38:39], v[46:47], -v[38:39]
	v_add_f64 v[46:47], v[44:45], -v[40:41]
	;; [unrolled: 1-line block ×5, first 2 shown]
	v_add_f64 v[36:37], v[36:37], v[40:41]
	v_add_f64 v[40:41], v[42:43], v[38:39]
	v_add_f64 v[46:47], v[40:41], -v[42:43]
	v_add_f64 v[48:49], v[40:41], -v[46:47]
	v_add_f64 v[36:37], v[40:41], v[36:37]
	v_add_f64 v[42:43], v[42:43], -v[48:49]
	v_add_f64 v[38:39], v[38:39], -v[46:47]
	v_add_f64 v[40:41], v[44:45], v[36:37]
	v_add_f64 v[38:39], v[38:39], v[42:43]
	v_add_f64 v[42:43], v[40:41], -v[44:45]
	v_add_f64 v[36:37], v[36:37], -v[42:43]
	v_add_f64 v[36:37], v[38:39], v[36:37]
	v_add_f64 v[36:37], v[40:41], v[36:37]
	v_cndmask_b32_e32 v35, v52, v37, vcc
	v_cndmask_b32_e32 v34, 0, v36, vcc
	v_mul_f64 v[36:37], v[2:3], s[0:1]
	v_mul_f64 v[38:39], v[36:37], s[62:63]
	v_rndne_f64_e32 v[38:39], v[38:39]
	v_fma_f64 v[40:41], s[58:59], v[38:39], v[36:37]
	v_fmac_f64_e32 v[40:41], s[60:61], v[38:39]
	v_fma_f64 v[42:43], s[36:37], v[40:41], v[16:17]
	v_fma_f64 v[42:43], v[40:41], v[42:43], s[38:39]
	v_fma_f64 v[42:43], v[40:41], v[42:43], s[40:41]
	v_fma_f64 v[42:43], v[40:41], v[42:43], s[42:43]
	v_fma_f64 v[42:43], v[40:41], v[42:43], s[44:45]
	v_fma_f64 v[42:43], v[40:41], v[42:43], s[46:47]
	v_fma_f64 v[42:43], v[40:41], v[42:43], s[48:49]
	v_fma_f64 v[42:43], v[40:41], v[42:43], s[50:51]
	v_fma_f64 v[42:43], v[40:41], v[42:43], s[52:53]
	v_fma_f64 v[42:43], v[40:41], v[42:43], 1.0
	v_fma_f64 v[40:41], v[40:41], v[42:43], 1.0
	v_cvt_i32_f64_e32 v38, v[38:39]
	s_mov_b32 s0, 0xb645a1cb
	v_ldexp_f64 v[38:39], v[40:41], v38
	s_mov_b32 s1, 0x3fd0fdf3
	v_mul_f64 v[38:39], v[38:39], s[0:1]
	v_cmp_nlt_f64_e32 vcc, s[54:55], v[36:37]
	v_cmp_ngt_f64_e64 s[0:1], s[56:57], v[36:37]
	s_nop 0
	v_cndmask_b32_e32 v39, v52, v39, vcc
	s_and_b64 vcc, s[0:1], vcc
	v_cndmask_b32_e64 v37, 0, v39, s[0:1]
	s_mov_b32 s0, 0x6d92aca5
	s_mov_b32 s1, 0xbf4fa8ef
	v_cndmask_b32_e32 v36, 0, v38, vcc
	v_mul_f64 v[38:39], v[2:3], s[0:1]
	v_mul_f64 v[40:41], v[38:39], s[62:63]
	v_rndne_f64_e32 v[40:41], v[40:41]
	v_fma_f64 v[42:43], s[58:59], v[40:41], v[38:39]
	v_fmac_f64_e32 v[42:43], s[60:61], v[40:41]
	v_fma_f64 v[44:45], s[36:37], v[42:43], v[16:17]
	v_fma_f64 v[44:45], v[42:43], v[44:45], s[38:39]
	;; [unrolled: 1-line block ×9, first 2 shown]
	v_fma_f64 v[44:45], v[42:43], v[44:45], 1.0
	v_fma_f64 v[42:43], v[42:43], v[44:45], 1.0
	v_cvt_i32_f64_e32 v40, v[40:41]
	s_mov_b32 s0, 0x24dd2f1b
	v_ldexp_f64 v[40:41], v[42:43], v40
	s_mov_b32 s1, 0x3fe78106
	v_mul_f64 v[40:41], v[40:41], s[0:1]
	v_cmp_nlt_f64_e32 vcc, s[54:55], v[38:39]
	v_cmp_ngt_f64_e64 s[0:1], s[56:57], v[38:39]
	s_nop 0
	v_cndmask_b32_e32 v41, v52, v41, vcc
	s_and_b64 vcc, s[0:1], vcc
	v_cndmask_b32_e64 v39, 0, v41, s[0:1]
	s_mov_b32 s0, 0
	v_cndmask_b32_e32 v38, 0, v40, vcc
	s_mov_b32 s1, 0xc0b52900
	v_add_f64 v[36:37], v[36:37], v[38:39]
	v_mul_f64 v[38:39], v[22:23], s[0:1]
	v_mul_f64 v[40:41], v[38:39], s[62:63]
	v_rndne_f64_e32 v[40:41], v[40:41]
	v_fma_f64 v[42:43], s[58:59], v[40:41], v[38:39]
	v_fmac_f64_e32 v[42:43], s[60:61], v[40:41]
	v_fma_f64 v[44:45], s[36:37], v[42:43], v[16:17]
	v_fma_f64 v[44:45], v[42:43], v[44:45], s[38:39]
	;; [unrolled: 1-line block ×9, first 2 shown]
	v_fma_f64 v[44:45], v[42:43], v[44:45], 1.0
	v_fma_f64 v[42:43], v[42:43], v[44:45], 1.0
	v_cvt_i32_f64_e32 v40, v[40:41]
	v_ldexp_f64 v[40:41], v[42:43], v40
	v_cmp_nlt_f64_e32 vcc, s[54:55], v[38:39]
	v_cmp_ngt_f64_e64 s[0:1], s[56:57], v[38:39]
	s_nop 0
	v_cndmask_b32_e32 v41, v52, v41, vcc
	s_and_b64 vcc, s[0:1], vcc
	v_cndmask_b32_e32 v38, 0, v40, vcc
	v_cndmask_b32_e64 v39, 0, v41, s[0:1]
	v_add_f64 v[36:37], v[38:39], v[36:37]
	v_max_f64 v[36:37], v[36:37], s[18:19]
	v_frexp_mant_f64_e32 v[38:39], v[36:37]
	v_cmp_gt_f64_e32 vcc, s[20:21], v[38:39]
	v_frexp_exp_i32_f64_e32 v40, v[36:37]
	s_nop 0
	v_cndmask_b32_e64 v41, 0, 1, vcc
	v_ldexp_f64 v[38:39], v[38:39], v41
	v_add_f64 v[42:43], v[38:39], 1.0
	v_add_f64 v[44:45], v[42:43], -1.0
	v_subbrev_co_u32_e32 v53, vcc, 0, v40, vcc
	v_add_f64 v[40:41], v[38:39], -1.0
	v_add_f64 v[38:39], v[38:39], -v[44:45]
	v_rcp_f64_e32 v[44:45], v[42:43]
	v_cmp_neq_f64_e32 vcc, s[34:35], v[36:37]
	v_fma_f64 v[46:47], -v[42:43], v[44:45], 1.0
	v_fmac_f64_e32 v[44:45], v[46:47], v[44:45]
	v_fma_f64 v[46:47], -v[42:43], v[44:45], 1.0
	v_fmac_f64_e32 v[44:45], v[46:47], v[44:45]
	v_mul_f64 v[46:47], v[40:41], v[44:45]
	v_mul_f64 v[48:49], v[42:43], v[46:47]
	v_fma_f64 v[42:43], v[46:47], v[42:43], -v[48:49]
	v_fmac_f64_e32 v[42:43], v[46:47], v[38:39]
	v_add_f64 v[38:39], v[48:49], v[42:43]
	v_add_f64 v[50:51], v[40:41], -v[38:39]
	v_add_f64 v[48:49], v[38:39], -v[48:49]
	;; [unrolled: 1-line block ×5, first 2 shown]
	v_add_f64 v[38:39], v[40:41], v[38:39]
	v_add_f64 v[38:39], v[50:51], v[38:39]
	v_mul_f64 v[38:39], v[44:45], v[38:39]
	v_add_f64 v[40:41], v[46:47], v[38:39]
	v_add_f64 v[42:43], v[40:41], -v[46:47]
	v_add_f64 v[38:39], v[38:39], -v[42:43]
	v_mul_f64 v[42:43], v[40:41], v[40:41]
	v_fma_f64 v[44:45], s[2:3], v[42:43], v[14:15]
	v_fma_f64 v[44:45], v[42:43], v[44:45], s[4:5]
	;; [unrolled: 1-line block ×6, first 2 shown]
	v_ldexp_f64 v[46:47], v[40:41], 1
	v_mul_f64 v[40:41], v[40:41], v[42:43]
	v_mul_f64 v[40:41], v[40:41], v[44:45]
	v_add_f64 v[42:43], v[46:47], v[40:41]
	v_add_f64 v[44:45], v[42:43], -v[46:47]
	v_ldexp_f64 v[38:39], v[38:39], 1
	v_add_f64 v[40:41], v[40:41], -v[44:45]
	v_add_f64 v[38:39], v[38:39], v[40:41]
	v_add_f64 v[40:41], v[42:43], v[38:39]
	v_add_f64 v[42:43], v[40:41], -v[42:43]
	v_add_f64 v[38:39], v[38:39], -v[42:43]
	v_cvt_f64_i32_e32 v[42:43], v53
	v_mul_f64 v[44:45], v[42:43], s[24:25]
	v_fma_f64 v[46:47], v[42:43], s[24:25], -v[44:45]
	v_fmac_f64_e32 v[46:47], s[26:27], v[42:43]
	v_add_f64 v[42:43], v[44:45], v[46:47]
	v_add_f64 v[44:45], v[42:43], -v[44:45]
	v_add_f64 v[44:45], v[46:47], -v[44:45]
	v_mul_f64 v[46:47], v[40:41], s[28:29]
	v_fma_f64 v[48:49], v[40:41], s[28:29], -v[46:47]
	v_fmac_f64_e32 v[48:49], s[28:29], v[38:39]
	v_fmac_f64_e32 v[48:49], s[30:31], v[40:41]
	v_add_f64 v[38:39], v[46:47], v[48:49]
	v_add_f64 v[40:41], v[38:39], -v[46:47]
	v_add_f64 v[46:47], v[42:43], v[38:39]
	v_add_f64 v[40:41], v[48:49], -v[40:41]
	v_add_f64 v[48:49], v[46:47], -v[42:43]
	;; [unrolled: 1-line block ×5, first 2 shown]
	v_add_f64 v[38:39], v[38:39], v[42:43]
	v_add_f64 v[42:43], v[44:45], v[40:41]
	v_add_f64 v[48:49], v[42:43], -v[44:45]
	v_add_f64 v[50:51], v[42:43], -v[48:49]
	v_add_f64 v[38:39], v[42:43], v[38:39]
	v_add_f64 v[44:45], v[44:45], -v[50:51]
	v_add_f64 v[40:41], v[40:41], -v[48:49]
	v_add_f64 v[42:43], v[46:47], v[38:39]
	v_add_f64 v[40:41], v[40:41], v[44:45]
	v_add_f64 v[44:45], v[42:43], -v[46:47]
	v_add_f64 v[38:39], v[38:39], -v[44:45]
	v_add_f64 v[38:39], v[40:41], v[38:39]
	v_add_f64 v[38:39], v[42:43], v[38:39]
	v_cndmask_b32_e32 v37, v52, v39, vcc
	v_cndmask_b32_e32 v36, 0, v38, vcc
	v_fma_f64 v[40:41], s[70:71], v[36:37], v[24:25]
	v_fma_f64 v[38:39], s[68:69], v[36:37], v[0:1]
	v_add_f64 v[34:35], v[34:35], -v[40:41]
	v_fmac_f64_e32 v[38:39], s[72:73], v[34:35]
	v_div_scale_f64 v[40:41], s[0:1], v[38:39], v[38:39], 1.0
	v_rcp_f64_e32 v[42:43], v[40:41]
	s_nop 0
	v_fma_f64 v[44:45], -v[40:41], v[42:43], 1.0
	v_fmac_f64_e32 v[42:43], v[42:43], v[44:45]
	v_fma_f64 v[44:45], -v[40:41], v[42:43], 1.0
	v_fmac_f64_e32 v[42:43], v[42:43], v[44:45]
	v_div_scale_f64 v[44:45], vcc, 1.0, v[38:39], 1.0
	v_mul_f64 v[46:47], v[44:45], v[42:43]
	v_fma_f64 v[40:41], -v[40:41], v[46:47], v[44:45]
	s_nop 1
	v_div_fmas_f64 v[40:41], v[40:41], v[42:43], v[46:47]
	v_div_fixup_f64 v[38:39], v[40:41], v[38:39], 1.0
	v_mul_f64 v[34:35], v[34:35], v[38:39]
	v_fma_f64 v[34:35], v[34:35], v[34:35], 1.0
	v_div_scale_f64 v[38:39], s[0:1], v[34:35], v[34:35], 1.0
	v_rcp_f64_e32 v[40:41], v[38:39]
	s_nop 0
	v_fma_f64 v[42:43], -v[38:39], v[40:41], 1.0
	v_fmac_f64_e32 v[40:41], v[40:41], v[42:43]
	v_fma_f64 v[42:43], -v[38:39], v[40:41], 1.0
	v_fmac_f64_e32 v[40:41], v[40:41], v[42:43]
	v_div_scale_f64 v[42:43], vcc, 1.0, v[34:35], 1.0
	v_mul_f64 v[44:45], v[42:43], v[40:41]
	v_fma_f64 v[38:39], -v[38:39], v[44:45], v[42:43]
	s_nop 1
	v_div_fmas_f64 v[38:39], v[38:39], v[40:41], v[44:45]
	v_div_fixup_f64 v[34:35], v[38:39], v[34:35], 1.0
	v_mul_f64 v[34:35], v[36:37], v[34:35]
	v_mul_f64 v[36:37], v[34:35], s[74:75]
	v_rndne_f64_e32 v[36:37], v[36:37]
	v_fma_f64 v[38:39], s[76:77], v[36:37], v[34:35]
	v_fmac_f64_e32 v[38:39], s[78:79], v[36:37]
	v_mul_f64 v[40:41], v[38:39], s[80:81]
	v_fmac_f64_e32 v[40:41], s[82:83], v[38:39]
	v_fma_f64 v[38:39], s[36:37], v[40:41], v[16:17]
	v_fma_f64 v[38:39], v[40:41], v[38:39], s[38:39]
	;; [unrolled: 1-line block ×9, first 2 shown]
	v_fma_f64 v[38:39], v[40:41], v[38:39], 1.0
	v_fma_f64 v[38:39], v[40:41], v[38:39], 1.0
	v_cvt_i32_f64_e32 v36, v[36:37]
	v_ldexp_f64 v[36:37], v[38:39], v36
	v_cmp_nlt_f64_e32 vcc, s[54:55], v[34:35]
	v_cmp_ngt_f64_e64 s[0:1], s[56:57], v[34:35]
	s_nop 0
	v_cndmask_b32_e32 v37, v52, v37, vcc
	s_and_b64 vcc, s[0:1], vcc
	v_cndmask_b32_e32 v34, 0, v36, vcc
	v_cndmask_b32_e64 v35, 0, v37, s[0:1]
	v_mul_f64 v[32:33], v[32:33], v[34:35]
	v_mul_f64 v[30:31], v[30:31], v[32:33]
	global_store_dwordx2 v[28:29], v[30:31], off
	global_load_dwordx2 v[28:29], v[26:27], off
	s_waitcnt vmcnt(0)
	v_mul_f64 v[28:29], v[28:29], v[32:33]
	global_load_dwordx2 v[30:31], v[20:21], off
	v_lshlrev_b64 v[20:21], 3, v[4:5]
	global_store_dwordx2 v[26:27], v[28:29], off
	v_lshl_add_u64 v[26:27], s[8:9], 0, v[20:21]
	global_load_dwordx2 v[28:29], v[26:27], off
	v_lshl_add_u64 v[20:21], s[10:11], 0, v[20:21]
	s_waitcnt vmcnt(0)
	v_div_scale_f64 v[32:33], s[0:1], v[28:29], v[28:29], 1.0
	v_rcp_f64_e32 v[34:35], v[32:33]
	s_nop 0
	v_fma_f64 v[36:37], -v[32:33], v[34:35], 1.0
	v_fmac_f64_e32 v[34:35], v[34:35], v[36:37]
	v_fma_f64 v[36:37], -v[32:33], v[34:35], 1.0
	v_fmac_f64_e32 v[34:35], v[34:35], v[36:37]
	v_div_scale_f64 v[36:37], vcc, 1.0, v[28:29], 1.0
	v_mul_f64 v[38:39], v[36:37], v[34:35]
	v_fma_f64 v[32:33], -v[32:33], v[38:39], v[36:37]
	s_nop 1
	v_div_fmas_f64 v[32:33], v[32:33], v[34:35], v[38:39]
	v_div_fixup_f64 v[32:33], v[32:33], v[28:29], 1.0
	v_mul_f64 v[32:33], v[10:11], v[32:33]
	v_mul_f64 v[34:35], v[30:31], v[32:33]
	v_fma_f64 v[30:31], v[30:31], v[32:33], 1.0
	v_div_scale_f64 v[32:33], s[0:1], v[30:31], v[30:31], 1.0
	v_rcp_f64_e32 v[36:37], v[32:33]
	s_mov_b32 s0, 0x13813814
	s_mov_b32 s1, 0xbf738138
	v_fma_f64 v[38:39], -v[32:33], v[36:37], 1.0
	v_fmac_f64_e32 v[36:37], v[36:37], v[38:39]
	v_fma_f64 v[38:39], -v[32:33], v[36:37], 1.0
	v_fmac_f64_e32 v[36:37], v[36:37], v[38:39]
	v_div_scale_f64 v[38:39], vcc, 1.0, v[30:31], 1.0
	v_mul_f64 v[40:41], v[38:39], v[36:37]
	v_fma_f64 v[32:33], -v[32:33], v[40:41], v[38:39]
	s_nop 1
	v_div_fmas_f64 v[32:33], v[32:33], v[36:37], v[40:41]
	v_div_fixup_f64 v[30:31], v[32:33], v[30:31], 1.0
	v_max_f64 v[32:33], v[34:35], s[18:19]
	v_mul_f64 v[30:31], v[34:35], v[30:31]
	v_frexp_mant_f64_e32 v[34:35], v[32:33]
	v_cmp_gt_f64_e32 vcc, s[20:21], v[34:35]
	v_frexp_exp_i32_f64_e32 v36, v[32:33]
	s_nop 0
	v_cndmask_b32_e64 v37, 0, 1, vcc
	v_ldexp_f64 v[34:35], v[34:35], v37
	v_add_f64 v[38:39], v[34:35], 1.0
	v_add_f64 v[40:41], v[38:39], -1.0
	v_subbrev_co_u32_e32 v48, vcc, 0, v36, vcc
	v_add_f64 v[36:37], v[34:35], -1.0
	v_add_f64 v[34:35], v[34:35], -v[40:41]
	v_rcp_f64_e32 v[40:41], v[38:39]
	v_cmp_neq_f64_e32 vcc, s[34:35], v[32:33]
	v_fma_f64 v[42:43], -v[38:39], v[40:41], 1.0
	v_fmac_f64_e32 v[40:41], v[42:43], v[40:41]
	v_fma_f64 v[42:43], -v[38:39], v[40:41], 1.0
	v_fmac_f64_e32 v[40:41], v[42:43], v[40:41]
	v_mul_f64 v[42:43], v[36:37], v[40:41]
	v_mul_f64 v[44:45], v[38:39], v[42:43]
	v_fma_f64 v[38:39], v[42:43], v[38:39], -v[44:45]
	v_fmac_f64_e32 v[38:39], v[42:43], v[34:35]
	v_add_f64 v[34:35], v[44:45], v[38:39]
	v_add_f64 v[46:47], v[36:37], -v[34:35]
	v_add_f64 v[44:45], v[34:35], -v[44:45]
	;; [unrolled: 1-line block ×5, first 2 shown]
	v_add_f64 v[34:35], v[36:37], v[34:35]
	v_add_f64 v[34:35], v[46:47], v[34:35]
	v_mul_f64 v[34:35], v[40:41], v[34:35]
	v_add_f64 v[36:37], v[42:43], v[34:35]
	v_add_f64 v[38:39], v[36:37], -v[42:43]
	v_add_f64 v[34:35], v[34:35], -v[38:39]
	v_mul_f64 v[38:39], v[36:37], v[36:37]
	v_fma_f64 v[40:41], s[2:3], v[38:39], v[14:15]
	v_fma_f64 v[40:41], v[38:39], v[40:41], s[4:5]
	;; [unrolled: 1-line block ×6, first 2 shown]
	v_ldexp_f64 v[42:43], v[36:37], 1
	v_mul_f64 v[36:37], v[36:37], v[38:39]
	v_mul_f64 v[36:37], v[36:37], v[40:41]
	v_add_f64 v[38:39], v[42:43], v[36:37]
	v_add_f64 v[40:41], v[38:39], -v[42:43]
	v_ldexp_f64 v[34:35], v[34:35], 1
	v_add_f64 v[36:37], v[36:37], -v[40:41]
	v_add_f64 v[34:35], v[34:35], v[36:37]
	v_add_f64 v[36:37], v[38:39], v[34:35]
	v_add_f64 v[38:39], v[36:37], -v[38:39]
	v_add_f64 v[34:35], v[34:35], -v[38:39]
	v_cvt_f64_i32_e32 v[38:39], v48
	v_mul_f64 v[40:41], v[38:39], s[24:25]
	v_fma_f64 v[42:43], v[38:39], s[24:25], -v[40:41]
	v_fmac_f64_e32 v[42:43], s[26:27], v[38:39]
	v_add_f64 v[38:39], v[40:41], v[42:43]
	v_add_f64 v[40:41], v[38:39], -v[40:41]
	v_add_f64 v[40:41], v[42:43], -v[40:41]
	v_mul_f64 v[42:43], v[36:37], s[28:29]
	v_fma_f64 v[44:45], v[36:37], s[28:29], -v[42:43]
	v_fmac_f64_e32 v[44:45], s[28:29], v[34:35]
	v_fmac_f64_e32 v[44:45], s[30:31], v[36:37]
	v_add_f64 v[34:35], v[42:43], v[44:45]
	v_add_f64 v[36:37], v[34:35], -v[42:43]
	v_add_f64 v[42:43], v[38:39], v[34:35]
	v_add_f64 v[36:37], v[44:45], -v[36:37]
	v_add_f64 v[44:45], v[42:43], -v[38:39]
	;; [unrolled: 1-line block ×5, first 2 shown]
	v_add_f64 v[34:35], v[34:35], v[38:39]
	v_add_f64 v[38:39], v[40:41], v[36:37]
	v_add_f64 v[44:45], v[38:39], -v[40:41]
	v_add_f64 v[46:47], v[38:39], -v[44:45]
	v_add_f64 v[34:35], v[38:39], v[34:35]
	v_add_f64 v[40:41], v[40:41], -v[46:47]
	v_add_f64 v[36:37], v[36:37], -v[44:45]
	v_add_f64 v[38:39], v[42:43], v[34:35]
	v_add_f64 v[36:37], v[36:37], v[40:41]
	v_add_f64 v[40:41], v[38:39], -v[42:43]
	v_add_f64 v[34:35], v[34:35], -v[40:41]
	v_add_f64 v[34:35], v[36:37], v[34:35]
	v_add_f64 v[34:35], v[38:39], v[34:35]
	v_cndmask_b32_e32 v33, v52, v35, vcc
	v_cndmask_b32_e32 v32, 0, v34, vcc
	v_mul_f64 v[34:35], v[2:3], s[0:1]
	v_mul_f64 v[36:37], v[34:35], s[62:63]
	v_rndne_f64_e32 v[36:37], v[36:37]
	v_fma_f64 v[38:39], s[58:59], v[36:37], v[34:35]
	v_fmac_f64_e32 v[38:39], s[60:61], v[36:37]
	v_fma_f64 v[40:41], s[36:37], v[38:39], v[16:17]
	v_fma_f64 v[40:41], v[38:39], v[40:41], s[38:39]
	;; [unrolled: 1-line block ×9, first 2 shown]
	v_fma_f64 v[40:41], v[38:39], v[40:41], 1.0
	v_fma_f64 v[38:39], v[38:39], v[40:41], 1.0
	v_cvt_i32_f64_e32 v36, v[36:37]
	s_mov_b32 s0, 0xf0d844d0
	v_ldexp_f64 v[36:37], v[38:39], v36
	s_mov_b32 s1, 0x3f994af4
	v_mul_f64 v[36:37], v[36:37], s[0:1]
	v_cmp_nlt_f64_e32 vcc, s[54:55], v[34:35]
	v_cmp_ngt_f64_e64 s[0:1], s[56:57], v[34:35]
	s_nop 0
	v_cndmask_b32_e32 v37, v52, v37, vcc
	s_and_b64 vcc, s[0:1], vcc
	v_cndmask_b32_e64 v35, 0, v37, s[0:1]
	s_mov_b32 s0, 0xa6810a7
	s_mov_b32 s1, 0xbf50a681
	v_cndmask_b32_e32 v34, 0, v36, vcc
	v_mul_f64 v[36:37], v[2:3], s[0:1]
	v_mul_f64 v[38:39], v[36:37], s[62:63]
	v_rndne_f64_e32 v[38:39], v[38:39]
	v_fma_f64 v[40:41], s[58:59], v[38:39], v[36:37]
	v_fmac_f64_e32 v[40:41], s[60:61], v[38:39]
	v_fma_f64 v[42:43], s[36:37], v[40:41], v[16:17]
	v_fma_f64 v[42:43], v[40:41], v[42:43], s[38:39]
	;; [unrolled: 1-line block ×9, first 2 shown]
	v_fma_f64 v[42:43], v[40:41], v[42:43], 1.0
	v_fma_f64 v[40:41], v[40:41], v[42:43], 1.0
	v_cvt_i32_f64_e32 v38, v[38:39]
	s_mov_b32 s0, 0x58793dd9
	v_ldexp_f64 v[38:39], v[40:41], v38
	s_mov_b32 s1, 0x3fef35a8
	v_mul_f64 v[38:39], v[38:39], s[0:1]
	v_cmp_nlt_f64_e32 vcc, s[54:55], v[36:37]
	v_cmp_ngt_f64_e64 s[0:1], s[56:57], v[36:37]
	s_nop 0
	v_cndmask_b32_e32 v39, v52, v39, vcc
	s_and_b64 vcc, s[0:1], vcc
	v_cndmask_b32_e64 v37, 0, v39, s[0:1]
	s_mov_b32 s0, 0
	v_cndmask_b32_e32 v36, 0, v38, vcc
	s_mov_b32 s1, 0xc0b11600
	v_add_f64 v[34:35], v[34:35], v[36:37]
	v_mul_f64 v[36:37], v[22:23], s[0:1]
	v_mul_f64 v[38:39], v[36:37], s[62:63]
	v_rndne_f64_e32 v[38:39], v[38:39]
	v_fma_f64 v[40:41], s[58:59], v[38:39], v[36:37]
	v_fmac_f64_e32 v[40:41], s[60:61], v[38:39]
	v_fma_f64 v[42:43], s[36:37], v[40:41], v[16:17]
	v_fma_f64 v[42:43], v[40:41], v[42:43], s[38:39]
	;; [unrolled: 1-line block ×9, first 2 shown]
	v_fma_f64 v[42:43], v[40:41], v[42:43], 1.0
	v_fma_f64 v[40:41], v[40:41], v[42:43], 1.0
	v_cvt_i32_f64_e32 v38, v[38:39]
	v_ldexp_f64 v[38:39], v[40:41], v38
	v_cmp_nlt_f64_e32 vcc, s[54:55], v[36:37]
	v_cmp_ngt_f64_e64 s[0:1], s[56:57], v[36:37]
	s_nop 0
	v_cndmask_b32_e32 v39, v52, v39, vcc
	s_and_b64 vcc, s[0:1], vcc
	v_cndmask_b32_e32 v36, 0, v38, vcc
	v_cndmask_b32_e64 v37, 0, v39, s[0:1]
	v_add_f64 v[34:35], v[36:37], v[34:35]
	v_max_f64 v[34:35], v[34:35], s[18:19]
	v_frexp_mant_f64_e32 v[36:37], v[34:35]
	v_cmp_gt_f64_e32 vcc, s[20:21], v[36:37]
	v_frexp_exp_i32_f64_e32 v38, v[34:35]
	s_nop 0
	v_cndmask_b32_e64 v39, 0, 1, vcc
	v_ldexp_f64 v[36:37], v[36:37], v39
	v_add_f64 v[40:41], v[36:37], 1.0
	v_add_f64 v[42:43], v[40:41], -1.0
	v_subbrev_co_u32_e32 v50, vcc, 0, v38, vcc
	v_add_f64 v[38:39], v[36:37], -1.0
	v_add_f64 v[36:37], v[36:37], -v[42:43]
	v_rcp_f64_e32 v[42:43], v[40:41]
	v_cmp_neq_f64_e32 vcc, s[34:35], v[34:35]
	v_fma_f64 v[44:45], -v[40:41], v[42:43], 1.0
	v_fmac_f64_e32 v[42:43], v[44:45], v[42:43]
	v_fma_f64 v[44:45], -v[40:41], v[42:43], 1.0
	v_fmac_f64_e32 v[42:43], v[44:45], v[42:43]
	v_mul_f64 v[44:45], v[38:39], v[42:43]
	v_mul_f64 v[46:47], v[40:41], v[44:45]
	v_fma_f64 v[40:41], v[44:45], v[40:41], -v[46:47]
	v_fmac_f64_e32 v[40:41], v[44:45], v[36:37]
	v_add_f64 v[36:37], v[46:47], v[40:41]
	v_add_f64 v[48:49], v[38:39], -v[36:37]
	v_add_f64 v[46:47], v[36:37], -v[46:47]
	;; [unrolled: 1-line block ×5, first 2 shown]
	v_add_f64 v[36:37], v[38:39], v[36:37]
	v_add_f64 v[36:37], v[48:49], v[36:37]
	v_mul_f64 v[36:37], v[42:43], v[36:37]
	v_add_f64 v[38:39], v[44:45], v[36:37]
	v_add_f64 v[40:41], v[38:39], -v[44:45]
	v_add_f64 v[36:37], v[36:37], -v[40:41]
	v_mul_f64 v[40:41], v[38:39], v[38:39]
	v_fma_f64 v[42:43], s[2:3], v[40:41], v[14:15]
	v_fma_f64 v[42:43], v[40:41], v[42:43], s[4:5]
	;; [unrolled: 1-line block ×6, first 2 shown]
	v_ldexp_f64 v[44:45], v[38:39], 1
	v_mul_f64 v[38:39], v[38:39], v[40:41]
	v_mul_f64 v[38:39], v[38:39], v[42:43]
	v_add_f64 v[40:41], v[44:45], v[38:39]
	v_add_f64 v[42:43], v[40:41], -v[44:45]
	v_ldexp_f64 v[36:37], v[36:37], 1
	v_add_f64 v[38:39], v[38:39], -v[42:43]
	v_add_f64 v[36:37], v[36:37], v[38:39]
	v_add_f64 v[38:39], v[40:41], v[36:37]
	v_add_f64 v[40:41], v[38:39], -v[40:41]
	v_add_f64 v[36:37], v[36:37], -v[40:41]
	v_cvt_f64_i32_e32 v[40:41], v50
	v_mul_f64 v[42:43], v[40:41], s[24:25]
	v_fma_f64 v[44:45], v[40:41], s[24:25], -v[42:43]
	v_fmac_f64_e32 v[44:45], s[26:27], v[40:41]
	v_add_f64 v[40:41], v[42:43], v[44:45]
	v_add_f64 v[42:43], v[40:41], -v[42:43]
	v_add_f64 v[42:43], v[44:45], -v[42:43]
	v_mul_f64 v[44:45], v[38:39], s[28:29]
	v_fma_f64 v[46:47], v[38:39], s[28:29], -v[44:45]
	v_fmac_f64_e32 v[46:47], s[28:29], v[36:37]
	v_fmac_f64_e32 v[46:47], s[30:31], v[38:39]
	v_add_f64 v[36:37], v[44:45], v[46:47]
	v_add_f64 v[38:39], v[36:37], -v[44:45]
	v_add_f64 v[44:45], v[40:41], v[36:37]
	v_add_f64 v[38:39], v[46:47], -v[38:39]
	v_add_f64 v[46:47], v[44:45], -v[40:41]
	;; [unrolled: 1-line block ×5, first 2 shown]
	v_add_f64 v[36:37], v[36:37], v[40:41]
	v_add_f64 v[40:41], v[42:43], v[38:39]
	v_add_f64 v[46:47], v[40:41], -v[42:43]
	v_add_f64 v[48:49], v[40:41], -v[46:47]
	v_add_f64 v[36:37], v[40:41], v[36:37]
	v_add_f64 v[42:43], v[42:43], -v[48:49]
	v_add_f64 v[38:39], v[38:39], -v[46:47]
	v_add_f64 v[40:41], v[44:45], v[36:37]
	v_add_f64 v[38:39], v[38:39], v[42:43]
	v_add_f64 v[42:43], v[40:41], -v[44:45]
	v_add_f64 v[36:37], v[36:37], -v[42:43]
	v_add_f64 v[36:37], v[38:39], v[36:37]
	v_add_f64 v[36:37], v[40:41], v[36:37]
	v_cndmask_b32_e32 v35, v52, v37, vcc
	v_cndmask_b32_e32 v34, 0, v36, vcc
	v_fma_f64 v[38:39], s[70:71], v[34:35], v[24:25]
	v_fma_f64 v[36:37], s[68:69], v[34:35], v[0:1]
	v_add_f64 v[32:33], v[32:33], -v[38:39]
	v_fmac_f64_e32 v[36:37], s[72:73], v[32:33]
	v_div_scale_f64 v[38:39], s[0:1], v[36:37], v[36:37], 1.0
	v_rcp_f64_e32 v[40:41], v[38:39]
	s_nop 0
	v_fma_f64 v[42:43], -v[38:39], v[40:41], 1.0
	v_fmac_f64_e32 v[40:41], v[40:41], v[42:43]
	v_fma_f64 v[42:43], -v[38:39], v[40:41], 1.0
	v_fmac_f64_e32 v[40:41], v[40:41], v[42:43]
	v_div_scale_f64 v[42:43], vcc, 1.0, v[36:37], 1.0
	v_mul_f64 v[44:45], v[42:43], v[40:41]
	v_fma_f64 v[38:39], -v[38:39], v[44:45], v[42:43]
	s_nop 1
	v_div_fmas_f64 v[38:39], v[38:39], v[40:41], v[44:45]
	v_div_fixup_f64 v[36:37], v[38:39], v[36:37], 1.0
	v_mul_f64 v[32:33], v[32:33], v[36:37]
	v_fma_f64 v[32:33], v[32:33], v[32:33], 1.0
	v_div_scale_f64 v[36:37], s[0:1], v[32:33], v[32:33], 1.0
	v_rcp_f64_e32 v[38:39], v[36:37]
	s_nop 0
	v_fma_f64 v[40:41], -v[36:37], v[38:39], 1.0
	v_fmac_f64_e32 v[38:39], v[38:39], v[40:41]
	v_fma_f64 v[40:41], -v[36:37], v[38:39], 1.0
	v_fmac_f64_e32 v[38:39], v[38:39], v[40:41]
	v_div_scale_f64 v[40:41], vcc, 1.0, v[32:33], 1.0
	v_mul_f64 v[42:43], v[40:41], v[38:39]
	v_fma_f64 v[36:37], -v[36:37], v[42:43], v[40:41]
	s_nop 1
	v_div_fmas_f64 v[36:37], v[36:37], v[38:39], v[42:43]
	v_div_fixup_f64 v[32:33], v[36:37], v[32:33], 1.0
	v_mul_f64 v[32:33], v[34:35], v[32:33]
	v_mul_f64 v[34:35], v[32:33], s[74:75]
	v_rndne_f64_e32 v[34:35], v[34:35]
	v_fma_f64 v[36:37], s[76:77], v[34:35], v[32:33]
	v_fmac_f64_e32 v[36:37], s[78:79], v[34:35]
	v_mul_f64 v[38:39], v[36:37], s[80:81]
	v_fmac_f64_e32 v[38:39], s[82:83], v[36:37]
	v_fma_f64 v[36:37], s[36:37], v[38:39], v[16:17]
	v_fma_f64 v[36:37], v[38:39], v[36:37], s[38:39]
	;; [unrolled: 1-line block ×9, first 2 shown]
	v_fma_f64 v[36:37], v[38:39], v[36:37], 1.0
	v_fma_f64 v[36:37], v[38:39], v[36:37], 1.0
	v_cvt_i32_f64_e32 v34, v[34:35]
	v_ldexp_f64 v[34:35], v[36:37], v34
	v_cmp_nlt_f64_e32 vcc, s[54:55], v[32:33]
	v_cmp_ngt_f64_e64 s[0:1], s[56:57], v[32:33]
	s_nop 0
	v_cndmask_b32_e32 v35, v52, v35, vcc
	s_and_b64 vcc, s[0:1], vcc
	v_cndmask_b32_e32 v32, 0, v34, vcc
	v_cndmask_b32_e64 v33, 0, v35, s[0:1]
	v_mul_f64 v[30:31], v[30:31], v[32:33]
	v_mul_f64 v[28:29], v[28:29], v[30:31]
	global_store_dwordx2 v[26:27], v[28:29], off
	global_load_dwordx2 v[26:27], v[20:21], off
	s_waitcnt vmcnt(0)
	v_mul_f64 v[26:27], v[26:27], v[30:31]
	global_load_dwordx2 v[30:31], v[18:19], off
	v_mad_u64_u32 v[18:19], s[0:1], s33, 14, v[4:5]
	v_mov_b32_e32 v19, v5
	global_store_dwordx2 v[20:21], v[26:27], off
	v_lshlrev_b64 v[20:21], 3, v[18:19]
	v_lshl_add_u64 v[26:27], s[8:9], 0, v[20:21]
	global_load_dwordx2 v[28:29], v[26:27], off
	v_lshl_add_u64 v[20:21], s[10:11], 0, v[20:21]
	s_waitcnt vmcnt(0)
	v_div_scale_f64 v[32:33], s[0:1], v[28:29], v[28:29], 1.0
	v_rcp_f64_e32 v[34:35], v[32:33]
	s_nop 0
	v_fma_f64 v[36:37], -v[32:33], v[34:35], 1.0
	v_fmac_f64_e32 v[34:35], v[34:35], v[36:37]
	v_fma_f64 v[36:37], -v[32:33], v[34:35], 1.0
	v_fmac_f64_e32 v[34:35], v[34:35], v[36:37]
	v_div_scale_f64 v[36:37], vcc, 1.0, v[28:29], 1.0
	v_mul_f64 v[38:39], v[36:37], v[34:35]
	v_fma_f64 v[32:33], -v[32:33], v[38:39], v[36:37]
	s_nop 1
	v_div_fmas_f64 v[32:33], v[32:33], v[34:35], v[38:39]
	v_div_fixup_f64 v[32:33], v[32:33], v[28:29], 1.0
	v_mul_f64 v[32:33], v[10:11], v[32:33]
	v_mul_f64 v[34:35], v[30:31], v[32:33]
	v_fma_f64 v[30:31], v[30:31], v[32:33], 1.0
	v_div_scale_f64 v[32:33], s[0:1], v[30:31], v[30:31], 1.0
	v_rcp_f64_e32 v[36:37], v[32:33]
	s_mov_b32 s0, 0x57a786c2
	s_mov_b32 s1, 0x3fc432ca
	v_fma_f64 v[38:39], -v[32:33], v[36:37], 1.0
	v_fmac_f64_e32 v[36:37], v[36:37], v[38:39]
	v_fma_f64 v[38:39], -v[32:33], v[36:37], 1.0
	v_fmac_f64_e32 v[36:37], v[36:37], v[38:39]
	v_div_scale_f64 v[38:39], vcc, 1.0, v[30:31], 1.0
	v_mul_f64 v[40:41], v[38:39], v[36:37]
	v_fma_f64 v[32:33], -v[32:33], v[40:41], v[38:39]
	s_nop 1
	v_div_fmas_f64 v[32:33], v[32:33], v[36:37], v[40:41]
	v_div_fixup_f64 v[30:31], v[32:33], v[30:31], 1.0
	v_max_f64 v[32:33], v[34:35], s[18:19]
	v_mul_f64 v[30:31], v[34:35], v[30:31]
	v_frexp_mant_f64_e32 v[34:35], v[32:33]
	v_cmp_gt_f64_e32 vcc, s[20:21], v[34:35]
	v_frexp_exp_i32_f64_e32 v4, v[32:33]
	s_nop 0
	v_cndmask_b32_e64 v19, 0, 1, vcc
	v_ldexp_f64 v[34:35], v[34:35], v19
	v_add_f64 v[38:39], v[34:35], 1.0
	v_add_f64 v[40:41], v[38:39], -1.0
	v_add_f64 v[36:37], v[34:35], -1.0
	v_add_f64 v[34:35], v[34:35], -v[40:41]
	v_rcp_f64_e32 v[40:41], v[38:39]
	v_subbrev_co_u32_e32 v4, vcc, 0, v4, vcc
	v_cmp_neq_f64_e32 vcc, s[34:35], v[32:33]
	v_fma_f64 v[42:43], -v[38:39], v[40:41], 1.0
	v_fmac_f64_e32 v[40:41], v[42:43], v[40:41]
	v_fma_f64 v[42:43], -v[38:39], v[40:41], 1.0
	v_fmac_f64_e32 v[40:41], v[42:43], v[40:41]
	v_mul_f64 v[42:43], v[36:37], v[40:41]
	v_mul_f64 v[44:45], v[38:39], v[42:43]
	v_fma_f64 v[38:39], v[42:43], v[38:39], -v[44:45]
	v_fmac_f64_e32 v[38:39], v[42:43], v[34:35]
	v_add_f64 v[34:35], v[44:45], v[38:39]
	v_add_f64 v[46:47], v[36:37], -v[34:35]
	v_add_f64 v[44:45], v[34:35], -v[44:45]
	;; [unrolled: 1-line block ×5, first 2 shown]
	v_add_f64 v[34:35], v[36:37], v[34:35]
	v_add_f64 v[34:35], v[46:47], v[34:35]
	v_mul_f64 v[34:35], v[40:41], v[34:35]
	v_add_f64 v[36:37], v[42:43], v[34:35]
	v_add_f64 v[38:39], v[36:37], -v[42:43]
	v_add_f64 v[34:35], v[34:35], -v[38:39]
	v_mul_f64 v[38:39], v[36:37], v[36:37]
	v_fma_f64 v[40:41], s[2:3], v[38:39], v[14:15]
	v_fma_f64 v[40:41], v[38:39], v[40:41], s[4:5]
	;; [unrolled: 1-line block ×6, first 2 shown]
	v_ldexp_f64 v[42:43], v[36:37], 1
	v_mul_f64 v[36:37], v[36:37], v[38:39]
	v_mul_f64 v[36:37], v[36:37], v[40:41]
	v_add_f64 v[38:39], v[42:43], v[36:37]
	v_add_f64 v[40:41], v[38:39], -v[42:43]
	v_ldexp_f64 v[34:35], v[34:35], 1
	v_add_f64 v[36:37], v[36:37], -v[40:41]
	v_add_f64 v[34:35], v[34:35], v[36:37]
	v_add_f64 v[36:37], v[38:39], v[34:35]
	v_add_f64 v[38:39], v[36:37], -v[38:39]
	v_add_f64 v[34:35], v[34:35], -v[38:39]
	v_cvt_f64_i32_e32 v[38:39], v4
	v_mul_f64 v[40:41], v[38:39], s[24:25]
	v_fma_f64 v[42:43], v[38:39], s[24:25], -v[40:41]
	v_fmac_f64_e32 v[42:43], s[26:27], v[38:39]
	v_add_f64 v[38:39], v[40:41], v[42:43]
	v_add_f64 v[40:41], v[38:39], -v[40:41]
	v_add_f64 v[40:41], v[42:43], -v[40:41]
	v_mul_f64 v[42:43], v[36:37], s[28:29]
	v_fma_f64 v[44:45], v[36:37], s[28:29], -v[42:43]
	v_fmac_f64_e32 v[44:45], s[28:29], v[34:35]
	v_fmac_f64_e32 v[44:45], s[30:31], v[36:37]
	v_add_f64 v[34:35], v[42:43], v[44:45]
	v_add_f64 v[36:37], v[34:35], -v[42:43]
	v_add_f64 v[42:43], v[38:39], v[34:35]
	v_add_f64 v[36:37], v[44:45], -v[36:37]
	v_add_f64 v[44:45], v[42:43], -v[38:39]
	;; [unrolled: 1-line block ×5, first 2 shown]
	v_add_f64 v[34:35], v[34:35], v[38:39]
	v_add_f64 v[38:39], v[40:41], v[36:37]
	v_add_f64 v[44:45], v[38:39], -v[40:41]
	v_add_f64 v[46:47], v[38:39], -v[44:45]
	v_add_f64 v[34:35], v[38:39], v[34:35]
	v_add_f64 v[40:41], v[40:41], -v[46:47]
	v_add_f64 v[36:37], v[36:37], -v[44:45]
	v_add_f64 v[38:39], v[42:43], v[34:35]
	v_add_f64 v[36:37], v[36:37], v[40:41]
	v_add_f64 v[40:41], v[38:39], -v[42:43]
	v_add_f64 v[34:35], v[34:35], -v[40:41]
	v_add_f64 v[34:35], v[36:37], v[34:35]
	v_add_f64 v[34:35], v[38:39], v[34:35]
	v_cndmask_b32_e32 v33, v52, v35, vcc
	v_cndmask_b32_e32 v32, 0, v34, vcc
	v_mul_f64 v[34:35], v[2:3], s[66:67]
	v_mul_f64 v[36:37], v[34:35], s[62:63]
	v_rndne_f64_e32 v[36:37], v[36:37]
	v_fma_f64 v[38:39], s[58:59], v[36:37], v[34:35]
	v_fmac_f64_e32 v[38:39], s[60:61], v[36:37]
	v_fma_f64 v[40:41], s[36:37], v[38:39], v[16:17]
	v_fma_f64 v[40:41], v[38:39], v[40:41], s[38:39]
	;; [unrolled: 1-line block ×9, first 2 shown]
	v_fma_f64 v[40:41], v[38:39], v[40:41], 1.0
	v_fma_f64 v[38:39], v[38:39], v[40:41], 1.0
	v_cvt_i32_f64_e32 v4, v[36:37]
	v_ldexp_f64 v[36:37], v[38:39], v4
	v_mul_f64 v[36:37], v[36:37], s[0:1]
	v_cmp_nlt_f64_e32 vcc, s[54:55], v[34:35]
	v_cmp_ngt_f64_e64 s[0:1], s[56:57], v[34:35]
	s_mov_b32 s67, 0xbf50624d
	v_cndmask_b32_e32 v4, v52, v37, vcc
	s_and_b64 vcc, s[0:1], vcc
	v_cndmask_b32_e64 v35, 0, v4, s[0:1]
	s_mov_b32 s0, 0xd19f527d
	s_mov_b32 s1, 0xbf3d88b5
	v_cndmask_b32_e32 v34, 0, v36, vcc
	v_mul_f64 v[36:37], v[2:3], s[0:1]
	v_mul_f64 v[38:39], v[36:37], s[62:63]
	v_rndne_f64_e32 v[38:39], v[38:39]
	v_fma_f64 v[40:41], s[58:59], v[38:39], v[36:37]
	v_fmac_f64_e32 v[40:41], s[60:61], v[38:39]
	v_fma_f64 v[42:43], s[36:37], v[40:41], v[16:17]
	v_fma_f64 v[42:43], v[40:41], v[42:43], s[38:39]
	;; [unrolled: 1-line block ×9, first 2 shown]
	v_fma_f64 v[42:43], v[40:41], v[42:43], 1.0
	v_fma_f64 v[40:41], v[40:41], v[42:43], 1.0
	v_cvt_i32_f64_e32 v4, v[38:39]
	s_mov_b32 s0, 0x6a161e4f
	v_ldexp_f64 v[38:39], v[40:41], v4
	s_mov_b32 s1, 0x3feaf34d
	v_mul_f64 v[38:39], v[38:39], s[0:1]
	v_cmp_nlt_f64_e32 vcc, s[54:55], v[36:37]
	v_cmp_ngt_f64_e64 s[0:1], s[56:57], v[36:37]
	s_nop 0
	v_cndmask_b32_e32 v4, v52, v39, vcc
	s_and_b64 vcc, s[0:1], vcc
	v_cndmask_b32_e64 v37, 0, v4, s[0:1]
	s_mov_b32 s0, 0
	v_cndmask_b32_e32 v36, 0, v38, vcc
	s_mov_b32 s1, 0xc0bae200
	v_add_f64 v[34:35], v[34:35], v[36:37]
	v_mul_f64 v[36:37], v[22:23], s[0:1]
	v_mul_f64 v[38:39], v[36:37], s[62:63]
	v_rndne_f64_e32 v[38:39], v[38:39]
	v_fma_f64 v[40:41], s[58:59], v[38:39], v[36:37]
	v_fmac_f64_e32 v[40:41], s[60:61], v[38:39]
	v_fma_f64 v[42:43], s[36:37], v[40:41], v[16:17]
	v_fma_f64 v[42:43], v[40:41], v[42:43], s[38:39]
	;; [unrolled: 1-line block ×9, first 2 shown]
	v_fma_f64 v[42:43], v[40:41], v[42:43], 1.0
	v_fma_f64 v[40:41], v[40:41], v[42:43], 1.0
	v_cvt_i32_f64_e32 v4, v[38:39]
	v_ldexp_f64 v[38:39], v[40:41], v4
	v_cmp_nlt_f64_e32 vcc, s[54:55], v[36:37]
	v_cmp_ngt_f64_e64 s[0:1], s[56:57], v[36:37]
	s_nop 0
	v_cndmask_b32_e32 v4, v52, v39, vcc
	s_and_b64 vcc, s[0:1], vcc
	v_cndmask_b32_e32 v36, 0, v38, vcc
	v_cndmask_b32_e64 v37, 0, v4, s[0:1]
	v_add_f64 v[34:35], v[36:37], v[34:35]
	v_max_f64 v[34:35], v[34:35], s[18:19]
	v_frexp_mant_f64_e32 v[36:37], v[34:35]
	v_cmp_gt_f64_e32 vcc, s[20:21], v[36:37]
	v_frexp_exp_i32_f64_e32 v4, v[34:35]
	s_nop 0
	v_cndmask_b32_e64 v19, 0, 1, vcc
	v_ldexp_f64 v[36:37], v[36:37], v19
	v_add_f64 v[40:41], v[36:37], 1.0
	v_add_f64 v[42:43], v[40:41], -1.0
	v_add_f64 v[38:39], v[36:37], -1.0
	v_add_f64 v[36:37], v[36:37], -v[42:43]
	v_rcp_f64_e32 v[42:43], v[40:41]
	v_subbrev_co_u32_e32 v4, vcc, 0, v4, vcc
	v_cmp_neq_f64_e32 vcc, s[34:35], v[34:35]
	v_fma_f64 v[44:45], -v[40:41], v[42:43], 1.0
	v_fmac_f64_e32 v[42:43], v[44:45], v[42:43]
	v_fma_f64 v[44:45], -v[40:41], v[42:43], 1.0
	v_fmac_f64_e32 v[42:43], v[44:45], v[42:43]
	v_mul_f64 v[44:45], v[38:39], v[42:43]
	v_mul_f64 v[46:47], v[40:41], v[44:45]
	v_fma_f64 v[40:41], v[44:45], v[40:41], -v[46:47]
	v_fmac_f64_e32 v[40:41], v[44:45], v[36:37]
	v_add_f64 v[36:37], v[46:47], v[40:41]
	v_add_f64 v[48:49], v[38:39], -v[36:37]
	v_add_f64 v[46:47], v[36:37], -v[46:47]
	v_add_f64 v[38:39], v[38:39], -v[48:49]
	v_add_f64 v[36:37], v[38:39], -v[36:37]
	v_add_f64 v[38:39], v[46:47], -v[40:41]
	v_add_f64 v[36:37], v[38:39], v[36:37]
	v_add_f64 v[36:37], v[48:49], v[36:37]
	v_mul_f64 v[36:37], v[42:43], v[36:37]
	v_add_f64 v[38:39], v[44:45], v[36:37]
	v_add_f64 v[40:41], v[38:39], -v[44:45]
	v_add_f64 v[36:37], v[36:37], -v[40:41]
	v_mul_f64 v[40:41], v[38:39], v[38:39]
	v_fma_f64 v[42:43], s[2:3], v[40:41], v[14:15]
	v_fma_f64 v[42:43], v[40:41], v[42:43], s[4:5]
	;; [unrolled: 1-line block ×6, first 2 shown]
	v_ldexp_f64 v[44:45], v[38:39], 1
	v_mul_f64 v[38:39], v[38:39], v[40:41]
	v_mul_f64 v[38:39], v[38:39], v[42:43]
	v_add_f64 v[40:41], v[44:45], v[38:39]
	v_add_f64 v[42:43], v[40:41], -v[44:45]
	v_ldexp_f64 v[36:37], v[36:37], 1
	v_add_f64 v[38:39], v[38:39], -v[42:43]
	v_add_f64 v[36:37], v[36:37], v[38:39]
	v_add_f64 v[38:39], v[40:41], v[36:37]
	v_add_f64 v[40:41], v[38:39], -v[40:41]
	v_add_f64 v[36:37], v[36:37], -v[40:41]
	v_cvt_f64_i32_e32 v[40:41], v4
	v_mul_f64 v[42:43], v[40:41], s[24:25]
	v_fma_f64 v[44:45], v[40:41], s[24:25], -v[42:43]
	v_fmac_f64_e32 v[44:45], s[26:27], v[40:41]
	v_add_f64 v[40:41], v[42:43], v[44:45]
	v_add_f64 v[42:43], v[40:41], -v[42:43]
	v_add_f64 v[42:43], v[44:45], -v[42:43]
	v_mul_f64 v[44:45], v[38:39], s[28:29]
	v_fma_f64 v[46:47], v[38:39], s[28:29], -v[44:45]
	v_fmac_f64_e32 v[46:47], s[28:29], v[36:37]
	v_fmac_f64_e32 v[46:47], s[30:31], v[38:39]
	v_add_f64 v[36:37], v[44:45], v[46:47]
	v_add_f64 v[38:39], v[36:37], -v[44:45]
	v_add_f64 v[44:45], v[40:41], v[36:37]
	v_add_f64 v[38:39], v[46:47], -v[38:39]
	v_add_f64 v[46:47], v[44:45], -v[40:41]
	;; [unrolled: 1-line block ×5, first 2 shown]
	v_add_f64 v[36:37], v[36:37], v[40:41]
	v_add_f64 v[40:41], v[42:43], v[38:39]
	v_add_f64 v[46:47], v[40:41], -v[42:43]
	v_add_f64 v[48:49], v[40:41], -v[46:47]
	v_add_f64 v[36:37], v[40:41], v[36:37]
	v_add_f64 v[42:43], v[42:43], -v[48:49]
	v_add_f64 v[38:39], v[38:39], -v[46:47]
	v_add_f64 v[40:41], v[44:45], v[36:37]
	v_add_f64 v[38:39], v[38:39], v[42:43]
	v_add_f64 v[42:43], v[40:41], -v[44:45]
	v_add_f64 v[36:37], v[36:37], -v[42:43]
	v_add_f64 v[36:37], v[38:39], v[36:37]
	v_add_f64 v[36:37], v[40:41], v[36:37]
	v_cndmask_b32_e32 v35, v52, v37, vcc
	v_cndmask_b32_e32 v34, 0, v36, vcc
	v_fma_f64 v[38:39], s[70:71], v[34:35], v[24:25]
	v_fma_f64 v[36:37], s[68:69], v[34:35], v[0:1]
	v_add_f64 v[32:33], v[32:33], -v[38:39]
	v_fmac_f64_e32 v[36:37], s[72:73], v[32:33]
	v_div_scale_f64 v[38:39], s[0:1], v[36:37], v[36:37], 1.0
	v_rcp_f64_e32 v[40:41], v[38:39]
	s_nop 0
	v_fma_f64 v[42:43], -v[38:39], v[40:41], 1.0
	v_fmac_f64_e32 v[40:41], v[40:41], v[42:43]
	v_fma_f64 v[42:43], -v[38:39], v[40:41], 1.0
	v_fmac_f64_e32 v[40:41], v[40:41], v[42:43]
	v_div_scale_f64 v[42:43], vcc, 1.0, v[36:37], 1.0
	v_mul_f64 v[44:45], v[42:43], v[40:41]
	v_fma_f64 v[38:39], -v[38:39], v[44:45], v[42:43]
	s_nop 1
	v_div_fmas_f64 v[38:39], v[38:39], v[40:41], v[44:45]
	v_div_fixup_f64 v[36:37], v[38:39], v[36:37], 1.0
	v_mul_f64 v[32:33], v[32:33], v[36:37]
	v_fma_f64 v[32:33], v[32:33], v[32:33], 1.0
	v_div_scale_f64 v[36:37], s[0:1], v[32:33], v[32:33], 1.0
	v_rcp_f64_e32 v[38:39], v[36:37]
	s_nop 0
	v_fma_f64 v[40:41], -v[36:37], v[38:39], 1.0
	v_fmac_f64_e32 v[38:39], v[38:39], v[40:41]
	v_fma_f64 v[40:41], -v[36:37], v[38:39], 1.0
	v_fmac_f64_e32 v[38:39], v[38:39], v[40:41]
	v_div_scale_f64 v[40:41], vcc, 1.0, v[32:33], 1.0
	v_mul_f64 v[42:43], v[40:41], v[38:39]
	v_fma_f64 v[36:37], -v[36:37], v[42:43], v[40:41]
	s_nop 1
	v_div_fmas_f64 v[36:37], v[36:37], v[38:39], v[42:43]
	v_div_fixup_f64 v[32:33], v[36:37], v[32:33], 1.0
	v_mul_f64 v[32:33], v[34:35], v[32:33]
	v_mul_f64 v[34:35], v[32:33], s[74:75]
	v_rndne_f64_e32 v[34:35], v[34:35]
	v_fma_f64 v[36:37], s[76:77], v[34:35], v[32:33]
	v_fmac_f64_e32 v[36:37], s[78:79], v[34:35]
	v_mul_f64 v[38:39], v[36:37], s[80:81]
	v_fmac_f64_e32 v[38:39], s[82:83], v[36:37]
	v_fma_f64 v[36:37], s[36:37], v[38:39], v[16:17]
	v_fma_f64 v[36:37], v[38:39], v[36:37], s[38:39]
	;; [unrolled: 1-line block ×9, first 2 shown]
	v_fma_f64 v[36:37], v[38:39], v[36:37], 1.0
	v_fma_f64 v[36:37], v[38:39], v[36:37], 1.0
	v_cvt_i32_f64_e32 v4, v[34:35]
	v_ldexp_f64 v[34:35], v[36:37], v4
	v_cmp_nlt_f64_e32 vcc, s[54:55], v[32:33]
	v_cmp_ngt_f64_e64 s[0:1], s[56:57], v[32:33]
	s_nop 0
	v_cndmask_b32_e32 v4, v52, v35, vcc
	s_and_b64 vcc, s[0:1], vcc
	v_cndmask_b32_e32 v32, 0, v34, vcc
	v_cndmask_b32_e64 v33, 0, v4, s[0:1]
	v_mul_f64 v[30:31], v[30:31], v[32:33]
	v_mul_f64 v[28:29], v[28:29], v[30:31]
	global_store_dwordx2 v[26:27], v[28:29], off
	global_load_dwordx2 v[26:27], v[20:21], off
	s_waitcnt vmcnt(0)
	v_mul_f64 v[26:27], v[26:27], v[30:31]
	global_load_dwordx2 v[28:29], v[12:13], off
	v_mad_u64_u32 v[12:13], s[0:1], s33, 15, v[18:19]
	v_mov_b32_e32 v13, v5
	v_lshlrev_b64 v[18:19], 3, v[12:13]
	global_store_dwordx2 v[20:21], v[26:27], off
	v_lshl_add_u64 v[20:21], s[8:9], 0, v[18:19]
	global_load_dwordx2 v[26:27], v[20:21], off
	v_lshl_add_u64 v[18:19], s[10:11], 0, v[18:19]
	s_waitcnt vmcnt(0)
	v_div_scale_f64 v[30:31], s[0:1], v[26:27], v[26:27], 1.0
	v_rcp_f64_e32 v[32:33], v[30:31]
	s_nop 0
	v_fma_f64 v[34:35], -v[30:31], v[32:33], 1.0
	v_fmac_f64_e32 v[32:33], v[32:33], v[34:35]
	v_fma_f64 v[34:35], -v[30:31], v[32:33], 1.0
	v_fmac_f64_e32 v[32:33], v[32:33], v[34:35]
	v_div_scale_f64 v[34:35], vcc, 1.0, v[26:27], 1.0
	v_mul_f64 v[36:37], v[34:35], v[32:33]
	v_fma_f64 v[30:31], -v[30:31], v[36:37], v[34:35]
	s_nop 1
	v_div_fmas_f64 v[30:31], v[30:31], v[32:33], v[36:37]
	v_div_fixup_f64 v[30:31], v[30:31], v[26:27], 1.0
	v_mul_f64 v[10:11], v[10:11], v[30:31]
	v_mul_f64 v[30:31], v[28:29], v[10:11]
	v_fma_f64 v[10:11], v[28:29], v[10:11], 1.0
	v_div_scale_f64 v[28:29], s[0:1], v[10:11], v[10:11], 1.0
	v_rcp_f64_e32 v[32:33], v[28:29]
	s_mov_b32 s0, 0xd2922395
	s_mov_b32 s1, 0xbf4de1a6
	v_fma_f64 v[34:35], -v[28:29], v[32:33], 1.0
	v_fmac_f64_e32 v[32:33], v[32:33], v[34:35]
	v_fma_f64 v[34:35], -v[28:29], v[32:33], 1.0
	v_fmac_f64_e32 v[32:33], v[32:33], v[34:35]
	v_div_scale_f64 v[34:35], vcc, 1.0, v[10:11], 1.0
	v_mul_f64 v[36:37], v[34:35], v[32:33]
	v_fma_f64 v[28:29], -v[28:29], v[36:37], v[34:35]
	s_nop 1
	v_div_fmas_f64 v[28:29], v[28:29], v[32:33], v[36:37]
	v_div_fixup_f64 v[10:11], v[28:29], v[10:11], 1.0
	v_max_f64 v[28:29], v[30:31], s[18:19]
	v_mul_f64 v[10:11], v[30:31], v[10:11]
	v_frexp_mant_f64_e32 v[30:31], v[28:29]
	v_cmp_gt_f64_e32 vcc, s[20:21], v[30:31]
	v_frexp_exp_i32_f64_e32 v4, v[28:29]
	s_nop 0
	v_cndmask_b32_e64 v13, 0, 1, vcc
	v_ldexp_f64 v[30:31], v[30:31], v13
	v_add_f64 v[34:35], v[30:31], 1.0
	v_add_f64 v[36:37], v[34:35], -1.0
	v_add_f64 v[32:33], v[30:31], -1.0
	v_add_f64 v[30:31], v[30:31], -v[36:37]
	v_rcp_f64_e32 v[36:37], v[34:35]
	v_subbrev_co_u32_e32 v4, vcc, 0, v4, vcc
	v_cmp_neq_f64_e32 vcc, s[34:35], v[28:29]
	v_fma_f64 v[38:39], -v[34:35], v[36:37], 1.0
	v_fmac_f64_e32 v[36:37], v[38:39], v[36:37]
	v_fma_f64 v[38:39], -v[34:35], v[36:37], 1.0
	v_fmac_f64_e32 v[36:37], v[38:39], v[36:37]
	v_mul_f64 v[38:39], v[32:33], v[36:37]
	v_mul_f64 v[40:41], v[34:35], v[38:39]
	v_fma_f64 v[34:35], v[38:39], v[34:35], -v[40:41]
	v_fmac_f64_e32 v[34:35], v[38:39], v[30:31]
	v_add_f64 v[30:31], v[40:41], v[34:35]
	v_add_f64 v[42:43], v[32:33], -v[30:31]
	v_add_f64 v[40:41], v[30:31], -v[40:41]
	;; [unrolled: 1-line block ×5, first 2 shown]
	v_add_f64 v[30:31], v[32:33], v[30:31]
	v_add_f64 v[30:31], v[42:43], v[30:31]
	v_mul_f64 v[30:31], v[36:37], v[30:31]
	v_add_f64 v[32:33], v[38:39], v[30:31]
	v_add_f64 v[34:35], v[32:33], -v[38:39]
	v_add_f64 v[30:31], v[30:31], -v[34:35]
	v_mul_f64 v[34:35], v[32:33], v[32:33]
	v_fma_f64 v[36:37], s[2:3], v[34:35], v[14:15]
	v_fma_f64 v[36:37], v[34:35], v[36:37], s[4:5]
	;; [unrolled: 1-line block ×6, first 2 shown]
	v_ldexp_f64 v[38:39], v[32:33], 1
	v_mul_f64 v[32:33], v[32:33], v[34:35]
	v_mul_f64 v[32:33], v[32:33], v[36:37]
	v_add_f64 v[34:35], v[38:39], v[32:33]
	v_add_f64 v[36:37], v[34:35], -v[38:39]
	v_ldexp_f64 v[30:31], v[30:31], 1
	v_add_f64 v[32:33], v[32:33], -v[36:37]
	v_add_f64 v[30:31], v[30:31], v[32:33]
	v_add_f64 v[32:33], v[34:35], v[30:31]
	v_add_f64 v[34:35], v[32:33], -v[34:35]
	v_add_f64 v[30:31], v[30:31], -v[34:35]
	v_cvt_f64_i32_e32 v[34:35], v4
	v_mul_f64 v[36:37], v[34:35], s[24:25]
	v_fma_f64 v[38:39], v[34:35], s[24:25], -v[36:37]
	v_fmac_f64_e32 v[38:39], s[26:27], v[34:35]
	v_add_f64 v[34:35], v[36:37], v[38:39]
	v_add_f64 v[36:37], v[34:35], -v[36:37]
	v_add_f64 v[36:37], v[38:39], -v[36:37]
	v_mul_f64 v[38:39], v[32:33], s[28:29]
	v_fma_f64 v[40:41], v[32:33], s[28:29], -v[38:39]
	v_fmac_f64_e32 v[40:41], s[28:29], v[30:31]
	v_fmac_f64_e32 v[40:41], s[30:31], v[32:33]
	v_add_f64 v[30:31], v[38:39], v[40:41]
	v_add_f64 v[32:33], v[30:31], -v[38:39]
	v_add_f64 v[38:39], v[34:35], v[30:31]
	v_add_f64 v[32:33], v[40:41], -v[32:33]
	v_add_f64 v[40:41], v[38:39], -v[34:35]
	;; [unrolled: 1-line block ×5, first 2 shown]
	v_add_f64 v[30:31], v[30:31], v[34:35]
	v_add_f64 v[34:35], v[36:37], v[32:33]
	v_add_f64 v[40:41], v[34:35], -v[36:37]
	v_add_f64 v[42:43], v[34:35], -v[40:41]
	v_add_f64 v[30:31], v[34:35], v[30:31]
	v_add_f64 v[36:37], v[36:37], -v[42:43]
	v_add_f64 v[32:33], v[32:33], -v[40:41]
	v_add_f64 v[34:35], v[38:39], v[30:31]
	v_add_f64 v[32:33], v[32:33], v[36:37]
	v_add_f64 v[36:37], v[34:35], -v[38:39]
	v_add_f64 v[30:31], v[30:31], -v[36:37]
	v_add_f64 v[30:31], v[32:33], v[30:31]
	v_add_f64 v[30:31], v[34:35], v[30:31]
	v_cndmask_b32_e32 v29, v52, v31, vcc
	v_cndmask_b32_e32 v28, 0, v30, vcc
	v_mul_f64 v[30:31], v[2:3], s[0:1]
	v_mul_f64 v[32:33], v[30:31], s[62:63]
	v_rndne_f64_e32 v[32:33], v[32:33]
	v_fma_f64 v[34:35], s[58:59], v[32:33], v[30:31]
	v_fmac_f64_e32 v[34:35], s[60:61], v[32:33]
	v_fma_f64 v[36:37], s[36:37], v[34:35], v[16:17]
	v_fma_f64 v[36:37], v[34:35], v[36:37], s[38:39]
	;; [unrolled: 1-line block ×9, first 2 shown]
	v_fma_f64 v[36:37], v[34:35], v[36:37], 1.0
	v_fma_f64 v[34:35], v[34:35], v[36:37], 1.0
	v_cvt_i32_f64_e32 v4, v[32:33]
	v_ldexp_f64 v[32:33], v[34:35], v4
	v_cmp_nlt_f64_e32 vcc, s[54:55], v[30:31]
	v_cmp_ngt_f64_e64 s[0:1], s[56:57], v[30:31]
	s_nop 0
	v_cndmask_b32_e32 v4, v52, v33, vcc
	s_and_b64 vcc, s[0:1], vcc
	v_cndmask_b32_e32 v30, 0, v32, vcc
	v_cndmask_b32_e64 v31, 0, v4, s[0:1]
	s_mov_b32 s0, 0xf5c28f5c
	v_mul_f64 v[32:33], v[30:31], s[64:65]
	s_mov_b32 s1, 0x3fef5c28
	v_fmac_f64_e32 v[32:33], s[0:1], v[30:31]
	s_mov_b32 s0, 0
	s_mov_b32 s1, 0xc0bacb80
	v_mul_f64 v[30:31], v[22:23], s[0:1]
	v_mul_f64 v[34:35], v[30:31], s[62:63]
	v_rndne_f64_e32 v[34:35], v[34:35]
	v_fma_f64 v[36:37], s[58:59], v[34:35], v[30:31]
	v_fmac_f64_e32 v[36:37], s[60:61], v[34:35]
	v_fma_f64 v[38:39], s[36:37], v[36:37], v[16:17]
	v_fma_f64 v[38:39], v[36:37], v[38:39], s[38:39]
	;; [unrolled: 1-line block ×9, first 2 shown]
	v_fma_f64 v[38:39], v[36:37], v[38:39], 1.0
	v_fma_f64 v[36:37], v[36:37], v[38:39], 1.0
	v_cvt_i32_f64_e32 v4, v[34:35]
	v_ldexp_f64 v[34:35], v[36:37], v4
	v_cmp_nlt_f64_e32 vcc, s[54:55], v[30:31]
	v_cmp_ngt_f64_e64 s[0:1], s[56:57], v[30:31]
	s_nop 0
	v_cndmask_b32_e32 v4, v52, v35, vcc
	s_and_b64 vcc, s[0:1], vcc
	v_cndmask_b32_e32 v30, 0, v34, vcc
	v_cndmask_b32_e64 v31, 0, v4, s[0:1]
	v_add_f64 v[30:31], v[30:31], v[32:33]
	v_max_f64 v[30:31], v[30:31], s[18:19]
	v_frexp_mant_f64_e32 v[32:33], v[30:31]
	v_cmp_gt_f64_e32 vcc, s[20:21], v[32:33]
	v_frexp_exp_i32_f64_e32 v4, v[30:31]
	s_nop 0
	v_cndmask_b32_e64 v13, 0, 1, vcc
	v_ldexp_f64 v[32:33], v[32:33], v13
	v_add_f64 v[36:37], v[32:33], 1.0
	v_add_f64 v[38:39], v[36:37], -1.0
	v_add_f64 v[34:35], v[32:33], -1.0
	v_add_f64 v[32:33], v[32:33], -v[38:39]
	v_rcp_f64_e32 v[38:39], v[36:37]
	v_subbrev_co_u32_e32 v4, vcc, 0, v4, vcc
	v_cmp_neq_f64_e32 vcc, s[34:35], v[30:31]
	v_fma_f64 v[40:41], -v[36:37], v[38:39], 1.0
	v_fmac_f64_e32 v[38:39], v[40:41], v[38:39]
	v_fma_f64 v[40:41], -v[36:37], v[38:39], 1.0
	v_fmac_f64_e32 v[38:39], v[40:41], v[38:39]
	v_mul_f64 v[40:41], v[34:35], v[38:39]
	v_mul_f64 v[42:43], v[36:37], v[40:41]
	v_fma_f64 v[36:37], v[40:41], v[36:37], -v[42:43]
	v_fmac_f64_e32 v[36:37], v[40:41], v[32:33]
	v_add_f64 v[32:33], v[42:43], v[36:37]
	v_add_f64 v[44:45], v[34:35], -v[32:33]
	v_add_f64 v[42:43], v[32:33], -v[42:43]
	v_add_f64 v[34:35], v[34:35], -v[44:45]
	v_add_f64 v[32:33], v[34:35], -v[32:33]
	v_add_f64 v[34:35], v[42:43], -v[36:37]
	v_add_f64 v[32:33], v[34:35], v[32:33]
	v_add_f64 v[32:33], v[44:45], v[32:33]
	v_mul_f64 v[32:33], v[38:39], v[32:33]
	v_add_f64 v[34:35], v[40:41], v[32:33]
	v_add_f64 v[36:37], v[34:35], -v[40:41]
	v_add_f64 v[32:33], v[32:33], -v[36:37]
	v_mul_f64 v[36:37], v[34:35], v[34:35]
	v_fma_f64 v[38:39], s[2:3], v[36:37], v[14:15]
	v_fma_f64 v[38:39], v[36:37], v[38:39], s[4:5]
	;; [unrolled: 1-line block ×6, first 2 shown]
	v_ldexp_f64 v[40:41], v[34:35], 1
	v_mul_f64 v[34:35], v[34:35], v[36:37]
	v_mul_f64 v[34:35], v[34:35], v[38:39]
	v_add_f64 v[36:37], v[40:41], v[34:35]
	v_add_f64 v[38:39], v[36:37], -v[40:41]
	v_ldexp_f64 v[32:33], v[32:33], 1
	v_add_f64 v[34:35], v[34:35], -v[38:39]
	v_add_f64 v[32:33], v[32:33], v[34:35]
	v_add_f64 v[34:35], v[36:37], v[32:33]
	v_add_f64 v[36:37], v[34:35], -v[36:37]
	v_add_f64 v[32:33], v[32:33], -v[36:37]
	v_cvt_f64_i32_e32 v[36:37], v4
	v_mul_f64 v[38:39], v[36:37], s[24:25]
	v_fma_f64 v[40:41], v[36:37], s[24:25], -v[38:39]
	v_fmac_f64_e32 v[40:41], s[26:27], v[36:37]
	v_add_f64 v[36:37], v[38:39], v[40:41]
	v_add_f64 v[38:39], v[36:37], -v[38:39]
	v_add_f64 v[38:39], v[40:41], -v[38:39]
	v_mul_f64 v[40:41], v[34:35], s[28:29]
	v_fma_f64 v[42:43], v[34:35], s[28:29], -v[40:41]
	v_fmac_f64_e32 v[42:43], s[28:29], v[32:33]
	v_fmac_f64_e32 v[42:43], s[30:31], v[34:35]
	v_add_f64 v[32:33], v[40:41], v[42:43]
	v_add_f64 v[34:35], v[32:33], -v[40:41]
	v_add_f64 v[40:41], v[36:37], v[32:33]
	v_add_f64 v[34:35], v[42:43], -v[34:35]
	v_add_f64 v[42:43], v[40:41], -v[36:37]
	;; [unrolled: 1-line block ×5, first 2 shown]
	v_add_f64 v[32:33], v[32:33], v[36:37]
	v_add_f64 v[36:37], v[38:39], v[34:35]
	v_add_f64 v[42:43], v[36:37], -v[38:39]
	v_add_f64 v[44:45], v[36:37], -v[42:43]
	v_add_f64 v[32:33], v[36:37], v[32:33]
	v_add_f64 v[38:39], v[38:39], -v[44:45]
	v_add_f64 v[34:35], v[34:35], -v[42:43]
	v_add_f64 v[36:37], v[40:41], v[32:33]
	v_add_f64 v[34:35], v[34:35], v[38:39]
	v_add_f64 v[38:39], v[36:37], -v[40:41]
	v_add_f64 v[32:33], v[32:33], -v[38:39]
	v_add_f64 v[32:33], v[34:35], v[32:33]
	v_add_f64 v[32:33], v[36:37], v[32:33]
	v_cndmask_b32_e32 v31, v52, v33, vcc
	v_cndmask_b32_e32 v30, 0, v32, vcc
	v_fma_f64 v[34:35], s[70:71], v[30:31], v[24:25]
	v_fma_f64 v[32:33], s[68:69], v[30:31], v[0:1]
	v_add_f64 v[28:29], v[28:29], -v[34:35]
	v_fmac_f64_e32 v[32:33], s[72:73], v[28:29]
	v_div_scale_f64 v[34:35], s[0:1], v[32:33], v[32:33], 1.0
	v_rcp_f64_e32 v[36:37], v[34:35]
	s_nop 0
	v_fma_f64 v[38:39], -v[34:35], v[36:37], 1.0
	v_fmac_f64_e32 v[36:37], v[36:37], v[38:39]
	v_fma_f64 v[38:39], -v[34:35], v[36:37], 1.0
	v_fmac_f64_e32 v[36:37], v[36:37], v[38:39]
	v_div_scale_f64 v[38:39], vcc, 1.0, v[32:33], 1.0
	v_mul_f64 v[40:41], v[38:39], v[36:37]
	v_fma_f64 v[34:35], -v[34:35], v[40:41], v[38:39]
	s_nop 1
	v_div_fmas_f64 v[34:35], v[34:35], v[36:37], v[40:41]
	v_div_fixup_f64 v[32:33], v[34:35], v[32:33], 1.0
	v_mul_f64 v[28:29], v[28:29], v[32:33]
	v_fma_f64 v[28:29], v[28:29], v[28:29], 1.0
	v_div_scale_f64 v[32:33], s[0:1], v[28:29], v[28:29], 1.0
	v_rcp_f64_e32 v[34:35], v[32:33]
	s_nop 0
	v_fma_f64 v[36:37], -v[32:33], v[34:35], 1.0
	v_fmac_f64_e32 v[34:35], v[34:35], v[36:37]
	v_fma_f64 v[36:37], -v[32:33], v[34:35], 1.0
	v_fmac_f64_e32 v[34:35], v[34:35], v[36:37]
	v_div_scale_f64 v[36:37], vcc, 1.0, v[28:29], 1.0
	v_mul_f64 v[38:39], v[36:37], v[34:35]
	v_fma_f64 v[32:33], -v[32:33], v[38:39], v[36:37]
	s_nop 1
	v_div_fmas_f64 v[32:33], v[32:33], v[34:35], v[38:39]
	v_div_fixup_f64 v[28:29], v[32:33], v[28:29], 1.0
	v_mul_f64 v[28:29], v[30:31], v[28:29]
	v_mul_f64 v[30:31], v[28:29], s[74:75]
	v_rndne_f64_e32 v[30:31], v[30:31]
	v_fma_f64 v[32:33], s[76:77], v[30:31], v[28:29]
	v_fmac_f64_e32 v[32:33], s[78:79], v[30:31]
	v_mul_f64 v[34:35], v[32:33], s[80:81]
	v_fmac_f64_e32 v[34:35], s[82:83], v[32:33]
	v_fma_f64 v[32:33], s[36:37], v[34:35], v[16:17]
	v_fma_f64 v[32:33], v[34:35], v[32:33], s[38:39]
	;; [unrolled: 1-line block ×9, first 2 shown]
	v_fma_f64 v[32:33], v[34:35], v[32:33], 1.0
	v_fma_f64 v[32:33], v[34:35], v[32:33], 1.0
	v_cvt_i32_f64_e32 v4, v[30:31]
	v_ldexp_f64 v[30:31], v[32:33], v4
	v_cmp_nlt_f64_e32 vcc, s[54:55], v[28:29]
	v_cmp_ngt_f64_e64 s[0:1], s[56:57], v[28:29]
	s_nop 0
	v_cndmask_b32_e32 v4, v52, v31, vcc
	s_and_b64 vcc, s[0:1], vcc
	v_cndmask_b32_e32 v28, 0, v30, vcc
	v_cndmask_b32_e64 v29, 0, v4, s[0:1]
	v_mul_f64 v[10:11], v[10:11], v[28:29]
	v_mul_f64 v[26:27], v[26:27], v[10:11]
	global_store_dwordx2 v[20:21], v[26:27], off
	global_load_dwordx2 v[20:21], v[18:19], off
	v_add_u32_e32 v4, s88, v12
	v_lshlrev_b64 v[4:5], 3, v[4:5]
	s_waitcnt vmcnt(0)
	v_mul_f64 v[10:11], v[20:21], v[10:11]
	global_store_dwordx2 v[18:19], v[10:11], off
	global_load_dwordx2 v[18:19], v[8:9], off
	v_lshl_add_u64 v[8:9], s[8:9], 0, v[4:5]
	global_load_dwordx2 v[10:11], v[8:9], off
	s_waitcnt vmcnt(0)
	v_div_scale_f64 v[12:13], s[0:1], v[10:11], v[10:11], 1.0
	v_rcp_f64_e32 v[20:21], v[12:13]
	s_nop 0
	v_fma_f64 v[26:27], -v[12:13], v[20:21], 1.0
	v_fmac_f64_e32 v[20:21], v[20:21], v[26:27]
	v_fma_f64 v[26:27], -v[12:13], v[20:21], 1.0
	v_fmac_f64_e32 v[20:21], v[20:21], v[26:27]
	v_div_scale_f64 v[26:27], vcc, 1.0, v[10:11], 1.0
	v_mul_f64 v[28:29], v[26:27], v[20:21]
	v_fma_f64 v[12:13], -v[12:13], v[28:29], v[26:27]
	s_nop 1
	v_div_fmas_f64 v[12:13], v[12:13], v[20:21], v[28:29]
	v_div_fixup_f64 v[12:13], v[12:13], v[10:11], 1.0
	v_mul_f64 v[6:7], v[6:7], v[12:13]
	v_mul_f64 v[12:13], v[18:19], v[6:7]
	v_fma_f64 v[6:7], v[18:19], v[6:7], 1.0
	v_div_scale_f64 v[18:19], s[0:1], v[6:7], v[6:7], 1.0
	v_rcp_f64_e32 v[20:21], v[18:19]
	s_nop 0
	v_fma_f64 v[26:27], -v[18:19], v[20:21], 1.0
	v_fmac_f64_e32 v[20:21], v[20:21], v[26:27]
	v_fma_f64 v[26:27], -v[18:19], v[20:21], 1.0
	v_fmac_f64_e32 v[20:21], v[20:21], v[26:27]
	v_div_scale_f64 v[26:27], vcc, 1.0, v[6:7], 1.0
	v_mul_f64 v[28:29], v[26:27], v[20:21]
	v_fma_f64 v[18:19], -v[18:19], v[28:29], v[26:27]
	s_nop 1
	v_div_fmas_f64 v[18:19], v[18:19], v[20:21], v[28:29]
	v_div_fixup_f64 v[6:7], v[18:19], v[6:7], 1.0
	v_mul_f64 v[6:7], v[12:13], v[6:7]
	v_max_f64 v[12:13], v[12:13], s[18:19]
	v_frexp_mant_f64_e32 v[18:19], v[12:13]
	v_cmp_gt_f64_e32 vcc, s[20:21], v[18:19]
	v_frexp_exp_i32_f64_e32 v20, v[12:13]
	s_nop 0
	v_cndmask_b32_e64 v21, 0, 1, vcc
	v_ldexp_f64 v[18:19], v[18:19], v21
	v_add_f64 v[26:27], v[18:19], 1.0
	v_add_f64 v[28:29], v[26:27], -1.0
	v_subbrev_co_u32_e32 v36, vcc, 0, v20, vcc
	v_add_f64 v[20:21], v[18:19], -1.0
	v_add_f64 v[18:19], v[18:19], -v[28:29]
	v_rcp_f64_e32 v[28:29], v[26:27]
	v_cmp_neq_f64_e32 vcc, s[34:35], v[12:13]
	v_fma_f64 v[30:31], -v[26:27], v[28:29], 1.0
	v_fmac_f64_e32 v[28:29], v[30:31], v[28:29]
	v_fma_f64 v[30:31], -v[26:27], v[28:29], 1.0
	v_fmac_f64_e32 v[28:29], v[30:31], v[28:29]
	v_mul_f64 v[30:31], v[20:21], v[28:29]
	v_mul_f64 v[32:33], v[26:27], v[30:31]
	v_fma_f64 v[26:27], v[30:31], v[26:27], -v[32:33]
	v_fmac_f64_e32 v[26:27], v[30:31], v[18:19]
	v_add_f64 v[18:19], v[32:33], v[26:27]
	v_add_f64 v[34:35], v[20:21], -v[18:19]
	v_add_f64 v[32:33], v[18:19], -v[32:33]
	;; [unrolled: 1-line block ×5, first 2 shown]
	v_add_f64 v[18:19], v[20:21], v[18:19]
	v_add_f64 v[18:19], v[34:35], v[18:19]
	v_mul_f64 v[18:19], v[28:29], v[18:19]
	v_add_f64 v[20:21], v[30:31], v[18:19]
	v_add_f64 v[26:27], v[20:21], -v[30:31]
	v_add_f64 v[18:19], v[18:19], -v[26:27]
	v_mul_f64 v[26:27], v[20:21], v[20:21]
	v_fma_f64 v[28:29], s[2:3], v[26:27], v[14:15]
	v_fma_f64 v[28:29], v[26:27], v[28:29], s[4:5]
	;; [unrolled: 1-line block ×6, first 2 shown]
	v_ldexp_f64 v[30:31], v[20:21], 1
	v_mul_f64 v[20:21], v[20:21], v[26:27]
	v_mul_f64 v[20:21], v[20:21], v[28:29]
	v_add_f64 v[26:27], v[30:31], v[20:21]
	v_add_f64 v[28:29], v[26:27], -v[30:31]
	v_ldexp_f64 v[18:19], v[18:19], 1
	v_add_f64 v[20:21], v[20:21], -v[28:29]
	v_add_f64 v[18:19], v[18:19], v[20:21]
	v_add_f64 v[20:21], v[26:27], v[18:19]
	v_add_f64 v[26:27], v[20:21], -v[26:27]
	v_add_f64 v[18:19], v[18:19], -v[26:27]
	v_cvt_f64_i32_e32 v[26:27], v36
	v_mul_f64 v[28:29], v[26:27], s[24:25]
	v_fma_f64 v[30:31], v[26:27], s[24:25], -v[28:29]
	v_fmac_f64_e32 v[30:31], s[26:27], v[26:27]
	v_add_f64 v[26:27], v[28:29], v[30:31]
	v_add_f64 v[28:29], v[26:27], -v[28:29]
	v_add_f64 v[28:29], v[30:31], -v[28:29]
	v_mul_f64 v[30:31], v[20:21], s[28:29]
	v_fma_f64 v[32:33], v[20:21], s[28:29], -v[30:31]
	v_fmac_f64_e32 v[32:33], s[28:29], v[18:19]
	v_fmac_f64_e32 v[32:33], s[30:31], v[20:21]
	v_add_f64 v[18:19], v[30:31], v[32:33]
	v_add_f64 v[20:21], v[18:19], -v[30:31]
	v_add_f64 v[30:31], v[26:27], v[18:19]
	v_add_f64 v[20:21], v[32:33], -v[20:21]
	v_add_f64 v[32:33], v[30:31], -v[26:27]
	;; [unrolled: 1-line block ×5, first 2 shown]
	v_add_f64 v[18:19], v[18:19], v[26:27]
	v_add_f64 v[26:27], v[28:29], v[20:21]
	v_add_f64 v[32:33], v[26:27], -v[28:29]
	v_add_f64 v[34:35], v[26:27], -v[32:33]
	v_add_f64 v[18:19], v[26:27], v[18:19]
	v_add_f64 v[28:29], v[28:29], -v[34:35]
	v_add_f64 v[20:21], v[20:21], -v[32:33]
	v_add_f64 v[26:27], v[30:31], v[18:19]
	v_add_f64 v[20:21], v[20:21], v[28:29]
	v_add_f64 v[28:29], v[26:27], -v[30:31]
	v_add_f64 v[18:19], v[18:19], -v[28:29]
	v_add_f64 v[18:19], v[20:21], v[18:19]
	v_add_f64 v[18:19], v[26:27], v[18:19]
	v_cndmask_b32_e32 v13, v52, v19, vcc
	v_cndmask_b32_e32 v12, 0, v18, vcc
	v_mul_f64 v[18:19], v[2:3], s[66:67]
	v_mul_f64 v[20:21], v[18:19], s[62:63]
	v_rndne_f64_e32 v[20:21], v[20:21]
	v_fma_f64 v[26:27], s[58:59], v[20:21], v[18:19]
	v_fmac_f64_e32 v[26:27], s[60:61], v[20:21]
	v_fma_f64 v[28:29], s[36:37], v[26:27], v[16:17]
	v_fma_f64 v[28:29], v[26:27], v[28:29], s[38:39]
	;; [unrolled: 1-line block ×9, first 2 shown]
	v_fma_f64 v[28:29], v[26:27], v[28:29], 1.0
	v_fma_f64 v[26:27], v[26:27], v[28:29], 1.0
	v_cvt_i32_f64_e32 v20, v[20:21]
	v_ldexp_f64 v[20:21], v[26:27], v20
	v_mul_f64 v[20:21], v[20:21], 0
	v_cmp_nlt_f64_e32 vcc, s[54:55], v[18:19]
	v_mov_b32_e32 v26, 0x7ff80000
	v_cmp_ngt_f64_e64 s[0:1], s[56:57], v[18:19]
	v_cndmask_b32_e32 v21, v26, v21, vcc
	s_and_b64 vcc, s[0:1], vcc
	v_cndmask_b32_e64 v19, 0, v21, s[0:1]
	s_mov_b32 s0, 0x7ea1cec1
	s_mov_b32 s1, 0xbf490384
	v_mul_f64 v[2:3], v[2:3], s[0:1]
	v_cndmask_b32_e32 v18, 0, v20, vcc
	v_mul_f64 v[20:21], v[2:3], s[62:63]
	v_rndne_f64_e32 v[20:21], v[20:21]
	v_fma_f64 v[26:27], s[58:59], v[20:21], v[2:3]
	v_fmac_f64_e32 v[26:27], s[60:61], v[20:21]
	v_fma_f64 v[28:29], s[36:37], v[26:27], v[16:17]
	v_fma_f64 v[28:29], v[26:27], v[28:29], s[38:39]
	;; [unrolled: 1-line block ×9, first 2 shown]
	v_fma_f64 v[28:29], v[26:27], v[28:29], 1.0
	v_fma_f64 v[26:27], v[26:27], v[28:29], 1.0
	v_cvt_i32_f64_e32 v20, v[20:21]
	v_ldexp_f64 v[20:21], v[26:27], v20
	v_cmp_nlt_f64_e32 vcc, s[54:55], v[2:3]
	v_cmp_ngt_f64_e64 s[0:1], s[56:57], v[2:3]
	s_nop 0
	v_cndmask_b32_e32 v21, v52, v21, vcc
	s_and_b64 vcc, s[0:1], vcc
	v_cndmask_b32_e64 v3, 0, v21, s[0:1]
	s_mov_b32 s0, 0
	v_cndmask_b32_e32 v2, 0, v20, vcc
	s_mov_b32 s1, 0xc0e77c20
	v_add_f64 v[2:3], v[2:3], v[18:19]
	v_mul_f64 v[18:19], v[22:23], s[0:1]
	v_mul_f64 v[20:21], v[18:19], s[62:63]
	v_rndne_f64_e32 v[20:21], v[20:21]
	v_fma_f64 v[22:23], s[58:59], v[20:21], v[18:19]
	v_fmac_f64_e32 v[22:23], s[60:61], v[20:21]
	v_fma_f64 v[26:27], s[36:37], v[22:23], v[16:17]
	v_fma_f64 v[26:27], v[22:23], v[26:27], s[38:39]
	;; [unrolled: 1-line block ×9, first 2 shown]
	v_fma_f64 v[26:27], v[22:23], v[26:27], 1.0
	v_fma_f64 v[22:23], v[22:23], v[26:27], 1.0
	v_cvt_i32_f64_e32 v20, v[20:21]
	v_ldexp_f64 v[20:21], v[22:23], v20
	v_cmp_nlt_f64_e32 vcc, s[54:55], v[18:19]
	v_cmp_ngt_f64_e64 s[0:1], s[56:57], v[18:19]
	s_nop 0
	v_cndmask_b32_e32 v21, v52, v21, vcc
	s_and_b64 vcc, s[0:1], vcc
	v_cndmask_b32_e32 v18, 0, v20, vcc
	v_cndmask_b32_e64 v19, 0, v21, s[0:1]
	v_add_f64 v[2:3], v[18:19], v[2:3]
	v_max_f64 v[2:3], v[2:3], s[18:19]
	v_frexp_mant_f64_e32 v[18:19], v[2:3]
	v_cmp_gt_f64_e32 vcc, s[20:21], v[18:19]
	v_frexp_exp_i32_f64_e32 v20, v[2:3]
	s_nop 0
	v_cndmask_b32_e64 v21, 0, 1, vcc
	v_ldexp_f64 v[18:19], v[18:19], v21
	v_add_f64 v[22:23], v[18:19], 1.0
	v_add_f64 v[26:27], v[22:23], -1.0
	v_subbrev_co_u32_e32 v34, vcc, 0, v20, vcc
	v_add_f64 v[20:21], v[18:19], -1.0
	v_add_f64 v[18:19], v[18:19], -v[26:27]
	v_rcp_f64_e32 v[26:27], v[22:23]
	v_cmp_neq_f64_e32 vcc, s[34:35], v[2:3]
	v_fma_f64 v[28:29], -v[22:23], v[26:27], 1.0
	v_fmac_f64_e32 v[26:27], v[28:29], v[26:27]
	v_fma_f64 v[28:29], -v[22:23], v[26:27], 1.0
	v_fmac_f64_e32 v[26:27], v[28:29], v[26:27]
	v_mul_f64 v[28:29], v[20:21], v[26:27]
	v_mul_f64 v[30:31], v[22:23], v[28:29]
	v_fma_f64 v[22:23], v[28:29], v[22:23], -v[30:31]
	v_fmac_f64_e32 v[22:23], v[28:29], v[18:19]
	v_add_f64 v[18:19], v[30:31], v[22:23]
	v_add_f64 v[32:33], v[20:21], -v[18:19]
	v_add_f64 v[30:31], v[18:19], -v[30:31]
	;; [unrolled: 1-line block ×5, first 2 shown]
	v_add_f64 v[18:19], v[20:21], v[18:19]
	v_add_f64 v[18:19], v[32:33], v[18:19]
	v_mul_f64 v[18:19], v[26:27], v[18:19]
	v_add_f64 v[20:21], v[28:29], v[18:19]
	v_add_f64 v[22:23], v[20:21], -v[28:29]
	v_add_f64 v[18:19], v[18:19], -v[22:23]
	v_mul_f64 v[22:23], v[20:21], v[20:21]
	v_fmac_f64_e32 v[14:15], s[2:3], v[22:23]
	v_fma_f64 v[14:15], v[22:23], v[14:15], s[4:5]
	v_fma_f64 v[14:15], v[22:23], v[14:15], s[6:7]
	;; [unrolled: 1-line block ×5, first 2 shown]
	v_ldexp_f64 v[26:27], v[20:21], 1
	v_mul_f64 v[20:21], v[20:21], v[22:23]
	v_mul_f64 v[14:15], v[20:21], v[14:15]
	v_add_f64 v[20:21], v[26:27], v[14:15]
	v_add_f64 v[22:23], v[20:21], -v[26:27]
	v_ldexp_f64 v[18:19], v[18:19], 1
	v_add_f64 v[14:15], v[14:15], -v[22:23]
	v_add_f64 v[14:15], v[18:19], v[14:15]
	v_add_f64 v[18:19], v[20:21], v[14:15]
	v_add_f64 v[20:21], v[18:19], -v[20:21]
	v_add_f64 v[14:15], v[14:15], -v[20:21]
	v_cvt_f64_i32_e32 v[20:21], v34
	v_mul_f64 v[22:23], v[20:21], s[24:25]
	v_fma_f64 v[26:27], v[20:21], s[24:25], -v[22:23]
	v_fmac_f64_e32 v[26:27], s[26:27], v[20:21]
	v_add_f64 v[20:21], v[22:23], v[26:27]
	v_add_f64 v[22:23], v[20:21], -v[22:23]
	v_add_f64 v[22:23], v[26:27], -v[22:23]
	v_mul_f64 v[26:27], v[18:19], s[28:29]
	v_fma_f64 v[28:29], v[18:19], s[28:29], -v[26:27]
	v_fmac_f64_e32 v[28:29], s[28:29], v[14:15]
	v_fmac_f64_e32 v[28:29], s[30:31], v[18:19]
	v_add_f64 v[14:15], v[26:27], v[28:29]
	v_add_f64 v[18:19], v[14:15], -v[26:27]
	v_add_f64 v[26:27], v[20:21], v[14:15]
	v_add_f64 v[18:19], v[28:29], -v[18:19]
	v_add_f64 v[28:29], v[26:27], -v[20:21]
	v_add_f64 v[30:31], v[26:27], -v[28:29]
	v_add_f64 v[20:21], v[20:21], -v[30:31]
	v_add_f64 v[14:15], v[14:15], -v[28:29]
	v_add_f64 v[14:15], v[14:15], v[20:21]
	v_add_f64 v[20:21], v[22:23], v[18:19]
	v_add_f64 v[28:29], v[20:21], -v[22:23]
	v_add_f64 v[30:31], v[20:21], -v[28:29]
	v_add_f64 v[14:15], v[20:21], v[14:15]
	v_add_f64 v[22:23], v[22:23], -v[30:31]
	v_add_f64 v[18:19], v[18:19], -v[28:29]
	v_add_f64 v[20:21], v[26:27], v[14:15]
	v_add_f64 v[18:19], v[18:19], v[22:23]
	v_add_f64 v[22:23], v[20:21], -v[26:27]
	v_add_f64 v[14:15], v[14:15], -v[22:23]
	v_add_f64 v[14:15], v[18:19], v[14:15]
	v_add_f64 v[14:15], v[20:21], v[14:15]
	v_cndmask_b32_e32 v3, v52, v15, vcc
	v_cndmask_b32_e32 v2, 0, v14, vcc
	v_fmac_f64_e32 v[24:25], s[70:71], v[2:3]
	v_fmac_f64_e32 v[0:1], s[68:69], v[2:3]
	v_add_f64 v[12:13], v[12:13], -v[24:25]
	v_fmac_f64_e32 v[0:1], s[72:73], v[12:13]
	v_div_scale_f64 v[14:15], s[0:1], v[0:1], v[0:1], 1.0
	v_rcp_f64_e32 v[18:19], v[14:15]
	s_nop 0
	v_fma_f64 v[20:21], -v[14:15], v[18:19], 1.0
	v_fmac_f64_e32 v[18:19], v[18:19], v[20:21]
	v_fma_f64 v[20:21], -v[14:15], v[18:19], 1.0
	v_fmac_f64_e32 v[18:19], v[18:19], v[20:21]
	v_div_scale_f64 v[20:21], vcc, 1.0, v[0:1], 1.0
	v_mul_f64 v[22:23], v[20:21], v[18:19]
	v_fma_f64 v[14:15], -v[14:15], v[22:23], v[20:21]
	s_nop 1
	v_div_fmas_f64 v[14:15], v[14:15], v[18:19], v[22:23]
	v_div_fixup_f64 v[0:1], v[14:15], v[0:1], 1.0
	v_mul_f64 v[0:1], v[12:13], v[0:1]
	v_fma_f64 v[0:1], v[0:1], v[0:1], 1.0
	v_div_scale_f64 v[12:13], s[0:1], v[0:1], v[0:1], 1.0
	v_rcp_f64_e32 v[14:15], v[12:13]
	s_nop 0
	v_fma_f64 v[18:19], -v[12:13], v[14:15], 1.0
	v_fmac_f64_e32 v[14:15], v[14:15], v[18:19]
	v_fma_f64 v[18:19], -v[12:13], v[14:15], 1.0
	v_fmac_f64_e32 v[14:15], v[14:15], v[18:19]
	v_div_scale_f64 v[18:19], vcc, 1.0, v[0:1], 1.0
	v_mul_f64 v[20:21], v[18:19], v[14:15]
	v_fma_f64 v[12:13], -v[12:13], v[20:21], v[18:19]
	s_nop 1
	v_div_fmas_f64 v[12:13], v[12:13], v[14:15], v[20:21]
	v_div_fixup_f64 v[0:1], v[12:13], v[0:1], 1.0
	v_mul_f64 v[0:1], v[2:3], v[0:1]
	v_mul_f64 v[2:3], v[0:1], s[74:75]
	v_rndne_f64_e32 v[2:3], v[2:3]
	v_fma_f64 v[12:13], s[76:77], v[2:3], v[0:1]
	v_fmac_f64_e32 v[12:13], s[78:79], v[2:3]
	v_mul_f64 v[14:15], v[12:13], s[80:81]
	v_fmac_f64_e32 v[14:15], s[82:83], v[12:13]
	v_fmac_f64_e32 v[16:17], s[36:37], v[14:15]
	v_fma_f64 v[12:13], v[14:15], v[16:17], s[38:39]
	v_fma_f64 v[12:13], v[14:15], v[12:13], s[40:41]
	;; [unrolled: 1-line block ×8, first 2 shown]
	v_fma_f64 v[12:13], v[14:15], v[12:13], 1.0
	v_fma_f64 v[12:13], v[14:15], v[12:13], 1.0
	v_cvt_i32_f64_e32 v2, v[2:3]
	v_ldexp_f64 v[2:3], v[12:13], v2
	v_cmp_nlt_f64_e32 vcc, s[54:55], v[0:1]
	v_cmp_ngt_f64_e64 s[0:1], s[56:57], v[0:1]
	s_nop 0
	v_cndmask_b32_e32 v3, v52, v3, vcc
	s_and_b64 vcc, s[0:1], vcc
	v_cndmask_b32_e32 v0, 0, v2, vcc
	v_cndmask_b32_e64 v1, 0, v3, s[0:1]
	v_mul_f64 v[0:1], v[6:7], v[0:1]
	v_mul_f64 v[2:3], v[10:11], v[0:1]
	global_store_dwordx2 v[8:9], v[2:3], off
	v_lshl_add_u64 v[2:3], s[10:11], 0, v[4:5]
	global_load_dwordx2 v[4:5], v[2:3], off
	s_waitcnt vmcnt(0)
	v_mul_f64 v[0:1], v[4:5], v[0:1]
	global_store_dwordx2 v[2:3], v[0:1], off
	s_endpgm
	.section	.rodata,"a",@progbits
	.p2align	6, 0x0
	.amdhsa_kernel _Z12ratxb_kernelIdEvPKT_S2_PS0_S3_S2_S0_
		.amdhsa_group_segment_fixed_size 0
		.amdhsa_private_segment_fixed_size 0
		.amdhsa_kernarg_size 304
		.amdhsa_user_sgpr_count 2
		.amdhsa_user_sgpr_dispatch_ptr 0
		.amdhsa_user_sgpr_queue_ptr 0
		.amdhsa_user_sgpr_kernarg_segment_ptr 1
		.amdhsa_user_sgpr_dispatch_id 0
		.amdhsa_user_sgpr_kernarg_preload_length 0
		.amdhsa_user_sgpr_kernarg_preload_offset 0
		.amdhsa_user_sgpr_private_segment_size 0
		.amdhsa_uses_dynamic_stack 0
		.amdhsa_enable_private_segment 0
		.amdhsa_system_sgpr_workgroup_id_x 1
		.amdhsa_system_sgpr_workgroup_id_y 0
		.amdhsa_system_sgpr_workgroup_id_z 0
		.amdhsa_system_sgpr_workgroup_info 0
		.amdhsa_system_vgpr_workitem_id 0
		.amdhsa_next_free_vgpr 74
		.amdhsa_next_free_sgpr 89
		.amdhsa_accum_offset 76
		.amdhsa_reserve_vcc 1
		.amdhsa_float_round_mode_32 0
		.amdhsa_float_round_mode_16_64 0
		.amdhsa_float_denorm_mode_32 3
		.amdhsa_float_denorm_mode_16_64 3
		.amdhsa_dx10_clamp 1
		.amdhsa_ieee_mode 1
		.amdhsa_fp16_overflow 0
		.amdhsa_tg_split 0
		.amdhsa_exception_fp_ieee_invalid_op 0
		.amdhsa_exception_fp_denorm_src 0
		.amdhsa_exception_fp_ieee_div_zero 0
		.amdhsa_exception_fp_ieee_overflow 0
		.amdhsa_exception_fp_ieee_underflow 0
		.amdhsa_exception_fp_ieee_inexact 0
		.amdhsa_exception_int_div_zero 0
	.end_amdhsa_kernel
	.section	.text._Z12ratxb_kernelIdEvPKT_S2_PS0_S3_S2_S0_,"axG",@progbits,_Z12ratxb_kernelIdEvPKT_S2_PS0_S3_S2_S0_,comdat
.Lfunc_end40:
	.size	_Z12ratxb_kernelIdEvPKT_S2_PS0_S3_S2_S0_, .Lfunc_end40-_Z12ratxb_kernelIdEvPKT_S2_PS0_S3_S2_S0_
                                        ; -- End function
	.set _Z12ratxb_kernelIdEvPKT_S2_PS0_S3_S2_S0_.num_vgpr, 74
	.set _Z12ratxb_kernelIdEvPKT_S2_PS0_S3_S2_S0_.num_agpr, 0
	.set _Z12ratxb_kernelIdEvPKT_S2_PS0_S3_S2_S0_.numbered_sgpr, 89
	.set _Z12ratxb_kernelIdEvPKT_S2_PS0_S3_S2_S0_.num_named_barrier, 0
	.set _Z12ratxb_kernelIdEvPKT_S2_PS0_S3_S2_S0_.private_seg_size, 0
	.set _Z12ratxb_kernelIdEvPKT_S2_PS0_S3_S2_S0_.uses_vcc, 1
	.set _Z12ratxb_kernelIdEvPKT_S2_PS0_S3_S2_S0_.uses_flat_scratch, 0
	.set _Z12ratxb_kernelIdEvPKT_S2_PS0_S3_S2_S0_.has_dyn_sized_stack, 0
	.set _Z12ratxb_kernelIdEvPKT_S2_PS0_S3_S2_S0_.has_recursion, 0
	.set _Z12ratxb_kernelIdEvPKT_S2_PS0_S3_S2_S0_.has_indirect_call, 0
	.section	.AMDGPU.csdata,"",@progbits
; Kernel info:
; codeLenInByte = 25608
; TotalNumSgprs: 95
; NumVgprs: 74
; NumAgprs: 0
; TotalNumVgprs: 74
; ScratchSize: 0
; MemoryBound: 0
; FloatMode: 240
; IeeeMode: 1
; LDSByteSize: 0 bytes/workgroup (compile time only)
; SGPRBlocks: 11
; VGPRBlocks: 9
; NumSGPRsForWavesPerEU: 95
; NumVGPRsForWavesPerEU: 74
; AccumOffset: 76
; Occupancy: 6
; WaveLimiterHint : 0
; COMPUTE_PGM_RSRC2:SCRATCH_EN: 0
; COMPUTE_PGM_RSRC2:USER_SGPR: 2
; COMPUTE_PGM_RSRC2:TRAP_HANDLER: 0
; COMPUTE_PGM_RSRC2:TGID_X_EN: 1
; COMPUTE_PGM_RSRC2:TGID_Y_EN: 0
; COMPUTE_PGM_RSRC2:TGID_Z_EN: 0
; COMPUTE_PGM_RSRC2:TIDIG_COMP_CNT: 0
; COMPUTE_PGM_RSRC3_GFX90A:ACCUM_OFFSET: 18
; COMPUTE_PGM_RSRC3_GFX90A:TG_SPLIT: 0
	.section	.text._Z12ratx2_kernelIdEvPKT_PS0_S3_,"axG",@progbits,_Z12ratx2_kernelIdEvPKT_PS0_S3_,comdat
	.protected	_Z12ratx2_kernelIdEvPKT_PS0_S3_ ; -- Begin function _Z12ratx2_kernelIdEvPKT_PS0_S3_
	.globl	_Z12ratx2_kernelIdEvPKT_PS0_S3_
	.p2align	8
	.type	_Z12ratx2_kernelIdEvPKT_PS0_S3_,@function
_Z12ratx2_kernelIdEvPKT_PS0_S3_:        ; @_Z12ratx2_kernelIdEvPKT_PS0_S3_
; %bb.0:
	s_load_dword s3, s[0:1], 0x24
	s_load_dwordx4 s[4:7], s[0:1], 0x0
	s_load_dword s8, s[0:1], 0x18
	v_mov_b32_e32 v1, 0
	v_mov_b32_e32 v3, v1
	s_waitcnt lgkmcnt(0)
	s_and_b32 s0, s3, 0xffff
	s_mul_i32 s2, s2, s0
	v_add_u32_e32 v0, s2, v0
	s_mul_i32 s0, s8, s0
	v_add_u32_e32 v2, s0, v0
	s_lshl_b32 s1, s0, 1
	v_lshlrev_b64 v[4:5], 3, v[0:1]
	v_lshlrev_b64 v[10:11], 3, v[2:3]
	v_add_u32_e32 v2, s1, v2
	v_lshl_add_u64 v[16:17], s[6:7], 0, v[4:5]
	v_lshl_add_u64 v[6:7], s[4:5], 0, v[10:11]
	v_lshlrev_b64 v[14:15], 3, v[2:3]
	global_load_dwordx2 v[18:19], v[16:17], off
	global_load_dwordx2 v[8:9], v[6:7], off
	v_lshl_add_u64 v[2:3], s[4:5], 0, v[14:15]
	global_load_dwordx2 v[12:13], v[2:3], off
	v_add_u32_e32 v0, s1, v0
	v_lshlrev_b64 v[24:25], 3, v[0:1]
	v_lshl_add_u64 v[22:23], s[4:5], 0, v[4:5]
	v_lshl_add_u64 v[4:5], s[4:5], 0, v[24:25]
	;; [unrolled: 1-line block ×3, first 2 shown]
	global_load_dwordx2 v[10:11], v[4:5], off
	global_load_dwordx2 v[26:27], v[6:7], off
	global_load_dwordx2 v[28:29], v[6:7], off
	global_load_dwordx2 v[30:31], v[6:7], off
	global_load_dwordx2 v[34:35], v[2:3], off
	global_load_dwordx2 v[32:33], v[2:3], off
	global_load_dwordx2 v[36:37], v[6:7], off
	v_add_u32_e32 v0, s1, v0
	v_lshl_add_u64 v[24:25], s[6:7], 0, v[24:25]
	v_lshl_add_u64 v[14:15], s[6:7], 0, v[14:15]
	s_waitcnt vmcnt(8)
	v_mul_f64 v[18:19], v[18:19], v[8:9]
	s_waitcnt vmcnt(7)
	v_mul_f64 v[18:19], v[18:19], v[12:13]
	global_store_dwordx2 v[16:17], v[18:19], off
	global_load_dwordx2 v[18:19], v[20:21], off
	s_nop 0
	global_load_dwordx2 v[38:39], v[22:23], off
	v_lshl_add_u64 v[16:17], v[0:1], 3, s[4:5]
	global_load_dwordx2 v[68:69], v[22:23], off
	global_load_dwordx2 v[50:51], v[16:17], off
	;; [unrolled: 1-line block ×6, first 2 shown]
	v_add_u32_e32 v0, s0, v0
	s_waitcnt vmcnt(7)
	v_mul_f64 v[18:19], v[18:19], v[10:11]
	s_waitcnt vmcnt(6)
	v_mul_f64 v[18:19], v[18:19], v[38:39]
	global_store_dwordx2 v[20:21], v[18:19], off
	global_load_dwordx2 v[18:19], v[24:25], off
	v_lshlrev_b64 v[20:21], 3, v[0:1]
	v_lshl_add_u64 v[22:23], s[6:7], 0, v[20:21]
	v_add_u32_e32 v0, s0, v0
	v_lshl_add_u64 v[20:21], s[4:5], 0, v[20:21]
	s_waitcnt vmcnt(0)
	v_mul_f64 v[18:19], v[18:19], v[50:51]
	v_mul_f64 v[18:19], v[38:39], v[18:19]
	global_store_dwordx2 v[24:25], v[18:19], off
	global_load_dwordx2 v[18:19], v[14:15], off
	v_lshlrev_b64 v[24:25], 3, v[0:1]
	v_add_u32_e32 v0, s0, v0
	s_waitcnt vmcnt(0)
	v_mul_f64 v[18:19], v[50:51], v[18:19]
	v_mul_f64 v[18:19], v[50:51], v[18:19]
	global_store_dwordx2 v[14:15], v[18:19], off
	global_load_dwordx2 v[14:15], v[22:23], off
	v_lshl_add_u64 v[18:19], s[6:7], 0, v[24:25]
	s_waitcnt vmcnt(0)
	v_mul_f64 v[14:15], v[8:9], v[14:15]
	v_mul_f64 v[14:15], v[8:9], v[14:15]
	v_mul_f64 v[14:15], v[38:39], v[14:15]
	global_store_dwordx2 v[22:23], v[14:15], off
	global_load_dwordx2 v[14:15], v[18:19], off
	v_lshlrev_b64 v[38:39], 3, v[0:1]
	global_load_dwordx2 v[22:23], v[20:21], off
	v_lshl_add_u64 v[42:43], s[6:7], 0, v[38:39]
	global_load_dwordx2 v[74:75], v[20:21], off
	global_load_dwordx2 v[58:59], v[20:21], off
	v_lshl_add_u32 v0, s0, 2, v0
	v_lshl_add_u64 v[70:71], v[0:1], 3, s[4:5]
	v_add_u32_e32 v0, s0, v0
	v_lshlrev_b64 v[60:61], 3, v[0:1]
	v_lshl_add_u64 v[20:21], s[6:7], 0, v[60:61]
	v_add_u32_e32 v0, s0, v0
	s_waitcnt vmcnt(3)
	v_mul_f64 v[14:15], v[8:9], v[14:15]
	v_mul_f64 v[14:15], v[8:9], v[14:15]
	s_waitcnt vmcnt(2)
	v_mul_f64 v[14:15], v[22:23], v[14:15]
	global_store_dwordx2 v[18:19], v[14:15], off
	global_load_dwordx2 v[14:15], v[42:43], off
	s_waitcnt vmcnt(0)
	v_mul_f64 v[14:15], v[8:9], v[14:15]
	global_load_dwordx2 v[18:19], v[70:71], off
	v_mul_f64 v[14:15], v[8:9], v[14:15]
	s_waitcnt vmcnt(0)
	v_mul_f64 v[14:15], v[18:19], v[14:15]
	global_store_dwordx2 v[42:43], v[14:15], off
	global_load_dwordx2 v[14:15], v[20:21], off
	v_lshlrev_b64 v[42:43], 3, v[0:1]
	v_lshl_add_u64 v[44:45], s[6:7], 0, v[42:43]
	v_add_u32_e32 v0, s0, v0
	v_lshlrev_b64 v[18:19], 3, v[0:1]
	v_lshl_add_u64 v[46:47], s[6:7], 0, v[18:19]
	v_lshl_add_u64 v[42:43], s[4:5], 0, v[42:43]
	;; [unrolled: 1-line block ×3, first 2 shown]
	s_waitcnt vmcnt(0)
	v_mul_f64 v[14:15], v[8:9], v[14:15]
	v_mul_f64 v[14:15], v[12:13], v[14:15]
	;; [unrolled: 1-line block ×3, first 2 shown]
	global_store_dwordx2 v[20:21], v[14:15], off
	global_load_dwordx2 v[14:15], v[44:45], off
	v_mad_u64_u32 v[20:21], s[2:3], s0, 7, v[0:1]
	v_mov_b32_e32 v21, v1
	v_lshlrev_b64 v[54:55], 3, v[20:21]
	s_waitcnt vmcnt(0)
	v_mul_f64 v[14:15], v[8:9], v[14:15]
	v_mul_f64 v[14:15], v[12:13], v[14:15]
	;; [unrolled: 1-line block ×3, first 2 shown]
	global_store_dwordx2 v[44:45], v[14:15], off
	global_load_dwordx2 v[22:23], v[46:47], off
	v_lshl_add_u64 v[44:45], s[4:5], 0, v[54:55]
	global_load_dwordx2 v[62:63], v[44:45], off
	v_lshl_add_u64 v[14:15], s[4:5], 0, v[24:25]
	v_mad_u64_u32 v[24:25], s[2:3], s0, -6, v[20:21]
	v_mov_b32_e32 v25, v1
	v_lshlrev_b64 v[20:21], 3, v[24:25]
	global_load_dwordx2 v[76:77], v[14:15], off
	global_load_dwordx2 v[64:65], v[44:45], off
	v_lshl_add_u64 v[44:45], s[6:7], 0, v[20:21]
	v_add_u32_e32 v0, s0, v24
	v_lshl_add_u64 v[54:55], s[6:7], 0, v[54:55]
	s_mul_i32 s2, s0, 0xffffffed
	s_waitcnt vmcnt(3)
	v_mul_f64 v[22:23], v[8:9], v[22:23]
	v_mul_f64 v[12:13], v[12:13], v[22:23]
	s_waitcnt vmcnt(2)
	v_mul_f64 v[12:13], v[62:63], v[12:13]
	global_store_dwordx2 v[46:47], v[12:13], off
	global_load_dwordx2 v[12:13], v[44:45], off
	s_nop 0
	global_load_dwordx2 v[62:63], v[14:15], off
	v_lshlrev_b64 v[46:47], 3, v[0:1]
	v_lshl_add_u64 v[22:23], s[6:7], 0, v[46:47]
	v_add_u32_e32 v0, s0, v0
	v_lshl_add_u64 v[46:47], s[4:5], 0, v[46:47]
	s_waitcnt vmcnt(1)
	v_mul_f64 v[12:13], v[50:51], v[12:13]
	v_mul_f64 v[12:13], v[50:51], v[12:13]
	global_store_dwordx2 v[44:45], v[12:13], off
	global_load_dwordx2 v[12:13], v[22:23], off
	v_lshlrev_b64 v[44:45], 3, v[0:1]
	v_lshl_add_u64 v[24:25], s[6:7], 0, v[44:45]
	v_add_u32_e32 v0, s0, v0
	v_lshl_add_u64 v[66:67], v[0:1], 3, s[6:7]
	v_add_u32_e32 v0, s0, v0
	v_lshl_add_u64 v[44:45], s[4:5], 0, v[44:45]
	s_waitcnt vmcnt(0)
	v_mul_f64 v[12:13], v[12:13], v[62:63]
	v_mul_f64 v[12:13], v[8:9], v[12:13]
	global_store_dwordx2 v[22:23], v[12:13], off
	global_load_dwordx2 v[12:13], v[24:25], off
	v_lshlrev_b64 v[22:23], 3, v[0:1]
	v_lshl_add_u64 v[72:73], s[6:7], 0, v[22:23]
	v_add_u32_e32 v0, s0, v0
	s_waitcnt vmcnt(0)
	v_mul_f64 v[12:13], v[62:63], v[12:13]
	v_mul_f64 v[12:13], v[8:9], v[12:13]
	global_store_dwordx2 v[24:25], v[12:13], off
	global_load_dwordx2 v[12:13], v[66:67], off
	v_lshlrev_b64 v[24:25], 3, v[0:1]
	v_add_u32_e32 v0, s1, v0
	s_waitcnt vmcnt(0)
	v_mul_f64 v[12:13], v[62:63], v[12:13]
	v_mul_f64 v[12:13], v[8:9], v[12:13]
	global_store_dwordx2 v[66:67], v[12:13], off
	global_load_dwordx2 v[12:13], v[72:73], off
	s_waitcnt vmcnt(0)
	v_mul_f64 v[12:13], v[62:63], v[12:13]
	v_mul_f64 v[12:13], v[10:11], v[12:13]
	global_store_dwordx2 v[72:73], v[12:13], off
	v_lshl_add_u64 v[12:13], s[6:7], 0, v[24:25]
	global_load_dwordx2 v[66:67], v[12:13], off
	v_lshl_add_u64 v[72:73], s[4:5], 0, v[38:39]
	v_lshl_add_u64 v[24:25], s[4:5], 0, v[24:25]
	s_waitcnt vmcnt(0)
	v_mul_f64 v[66:67], v[62:63], v[66:67]
	v_mul_f64 v[66:67], v[50:51], v[66:67]
	global_store_dwordx2 v[12:13], v[66:67], off
	global_load_dwordx2 v[12:13], v[54:55], off
	v_lshl_add_u64 v[66:67], v[0:1], 3, s[6:7]
	v_add_u32_e32 v0, s0, v0
	s_waitcnt vmcnt(0)
	v_mul_f64 v[12:13], v[62:63], v[12:13]
	v_mul_f64 v[12:13], v[62:63], v[12:13]
	global_store_dwordx2 v[54:55], v[12:13], off
	global_load_dwordx2 v[12:13], v[66:67], off
	s_waitcnt vmcnt(0)
	v_mul_f64 v[12:13], v[62:63], v[12:13]
	v_mul_f64 v[12:13], v[62:63], v[12:13]
	global_store_dwordx2 v[66:67], v[12:13], off
	v_lshl_add_u64 v[66:67], v[0:1], 3, s[6:7]
	global_load_dwordx2 v[62:63], v[72:73], off
	global_load_dwordx2 v[54:55], v[72:73], off
	;; [unrolled: 1-line block ×4, first 2 shown]
	v_add_u32_e32 v0, s0, v0
	global_load_dwordx2 v[72:73], v[66:67], off
	s_waitcnt vmcnt(0)
	v_mul_f64 v[72:73], v[72:73], v[62:63]
	v_mul_f64 v[72:73], v[8:9], v[72:73]
	global_store_dwordx2 v[66:67], v[72:73], off
	v_lshl_add_u64 v[66:67], v[0:1], 3, s[6:7]
	global_load_dwordx2 v[72:73], v[66:67], off
	v_add_u32_e32 v0, s0, v0
	s_waitcnt vmcnt(0)
	v_mul_f64 v[72:73], v[62:63], v[72:73]
	v_mul_f64 v[8:9], v[8:9], v[72:73]
	global_store_dwordx2 v[66:67], v[8:9], off
	v_lshl_add_u64 v[8:9], v[0:1], 3, s[6:7]
	global_load_dwordx2 v[66:67], v[8:9], off
	v_add_u32_e32 v0, s0, v0
	s_waitcnt vmcnt(0)
	v_mul_f64 v[66:67], v[62:63], v[66:67]
	v_mul_f64 v[10:11], v[10:11], v[66:67]
	v_lshl_add_u64 v[66:67], v[0:1], 3, s[6:7]
	global_store_dwordx2 v[8:9], v[10:11], off
	global_load_dwordx2 v[8:9], v[66:67], off
	v_add_u32_e32 v0, s0, v0
	v_lshl_add_u64 v[72:73], v[0:1], 3, s[6:7]
	v_add_u32_e32 v0, s1, v0
	v_lshl_add_u64 v[80:81], v[0:1], 3, s[6:7]
	v_add_u32_e32 v0, s2, v0
	s_waitcnt vmcnt(0)
	v_mul_f64 v[8:9], v[62:63], v[8:9]
	v_mul_f64 v[8:9], v[50:51], v[8:9]
	global_store_dwordx2 v[66:67], v[8:9], off
	global_load_dwordx2 v[8:9], v[72:73], off
	s_nop 0
	global_load_dwordx2 v[78:79], v[16:17], off
	s_waitcnt vmcnt(1)
	v_mul_f64 v[8:9], v[8:9], v[62:63]
	s_waitcnt vmcnt(0)
	v_mul_f64 v[8:9], v[8:9], v[78:79]
	global_load_dwordx2 v[10:11], v[16:17], off
	global_load_dwordx2 v[62:63], v[16:17], off
	;; [unrolled: 1-line block ×3, first 2 shown]
	s_nop 0
	global_store_dwordx2 v[72:73], v[8:9], off
	v_lshl_add_u64 v[8:9], s[4:5], 0, v[60:61]
	v_lshl_add_u64 v[60:61], v[0:1], 3, s[4:5]
	global_load_dwordx2 v[82:83], v[60:61], off
	global_load_dwordx2 v[72:73], v[60:61], off
	;; [unrolled: 1-line block ×3, first 2 shown]
	s_nop 0
	global_load_dwordx2 v[60:61], v[8:9], off
	s_nop 0
	global_load_dwordx2 v[8:9], v[80:81], off
	s_waitcnt vmcnt(0)
	v_mul_f64 v[8:9], v[8:9], v[82:83]
	v_mul_f64 v[8:9], v[8:9], v[78:79]
	global_store_dwordx2 v[80:81], v[8:9], off
	v_mad_u64_u32 v[8:9], s[2:3], s0, 20, v[0:1]
	v_mov_b32_e32 v9, v1
	v_lshl_add_u64 v[80:81], v[8:9], 3, s[6:7]
	global_load_dwordx2 v[84:85], v[80:81], off
	v_add_u32_e32 v0, s0, v8
	v_lshl_add_u64 v[8:9], v[0:1], 3, s[6:7]
	v_add_u32_e32 v0, s0, v0
	s_waitcnt vmcnt(0)
	v_mul_f64 v[84:85], v[84:85], v[82:83]
	v_mul_f64 v[84:85], v[84:85], v[68:69]
	global_store_dwordx2 v[80:81], v[84:85], off
	global_load_dwordx2 v[80:81], v[8:9], off
	s_waitcnt vmcnt(0)
	v_mul_f64 v[80:81], v[80:81], v[82:83]
	v_mul_f64 v[80:81], v[80:81], v[34:35]
	global_store_dwordx2 v[8:9], v[80:81], off
	v_lshl_add_u64 v[8:9], v[0:1], 3, s[6:7]
	global_load_dwordx2 v[80:81], v[8:9], off
	v_add_u32_e32 v0, s0, v0
	s_waitcnt vmcnt(0)
	v_mul_f64 v[80:81], v[80:81], v[82:83]
	v_mul_f64 v[76:77], v[80:81], v[76:77]
	global_store_dwordx2 v[8:9], v[76:77], off
	v_lshl_add_u64 v[8:9], v[0:1], 3, s[6:7]
	global_load_dwordx2 v[76:77], v[8:9], off
	v_add_u32_e32 v0, s0, v0
	s_waitcnt vmcnt(0)
	v_mul_f64 v[76:77], v[76:77], v[56:57]
	global_store_dwordx2 v[8:9], v[76:77], off
	v_lshl_add_u64 v[8:9], v[0:1], 3, s[6:7]
	global_load_dwordx2 v[76:77], v[8:9], off
	v_add_u32_e32 v0, s0, v0
	s_waitcnt vmcnt(0)
	;; [unrolled: 6-line block ×5, first 2 shown]
	v_mul_f64 v[68:69], v[68:69], v[34:35]
	global_store_dwordx2 v[8:9], v[68:69], off
	v_lshl_add_u64 v[8:9], v[0:1], 3, s[6:7]
	global_load_dwordx2 v[68:69], v[8:9], off
	v_add_u32_e32 v0, s0, v0
	v_lshl_add_u64 v[74:75], v[0:1], 3, s[6:7]
	v_add_u32_e32 v0, s0, v0
	s_waitcnt vmcnt(0)
	v_mul_f64 v[68:69], v[68:69], v[82:83]
	global_store_dwordx2 v[8:9], v[68:69], off
	global_load_dwordx2 v[8:9], v[74:75], off
	s_nop 0
	global_load_dwordx2 v[68:69], v[70:71], off
	s_nop 0
	global_load_dwordx2 v[70:71], v[70:71], off
	s_waitcnt vmcnt(1)
	v_mul_f64 v[8:9], v[8:9], v[68:69]
	v_lshl_add_u64 v[68:69], v[0:1], 3, s[6:7]
	global_store_dwordx2 v[74:75], v[8:9], off
	global_load_dwordx2 v[8:9], v[68:69], off
	v_add_u32_e32 v0, s0, v0
	v_lshl_add_u64 v[74:75], v[0:1], 3, s[6:7]
	v_add_u32_e32 v0, s0, v0
	s_waitcnt vmcnt(0)
	v_mul_f64 v[8:9], v[8:9], v[26:27]
	global_store_dwordx2 v[68:69], v[8:9], off
	global_load_dwordx2 v[8:9], v[74:75], off
	v_lshl_add_u64 v[68:69], v[0:1], 3, s[6:7]
	v_add_u32_e32 v0, s0, v0
	s_waitcnt vmcnt(0)
	v_mul_f64 v[8:9], v[8:9], v[26:27]
	global_store_dwordx2 v[74:75], v[8:9], off
	global_load_dwordx2 v[8:9], v[68:69], off
	;; [unrolled: 6-line block ×7, first 2 shown]
	v_lshl_add_u64 v[26:27], v[0:1], 3, s[6:7]
	v_add_u32_e32 v0, s0, v0
	v_lshl_add_u64 v[68:69], v[0:1], 3, s[6:7]
	v_add_u32_e32 v0, s0, v0
	s_waitcnt vmcnt(0)
	v_mul_f64 v[8:9], v[8:9], v[52:53]
	global_store_dwordx2 v[74:75], v[8:9], off
	global_load_dwordx2 v[8:9], v[26:27], off
	s_waitcnt vmcnt(0)
	v_mul_f64 v[8:9], v[8:9], v[56:57]
	global_store_dwordx2 v[26:27], v[8:9], off
	global_load_dwordx2 v[8:9], v[68:69], off
	v_lshl_add_u64 v[26:27], v[0:1], 3, s[6:7]
	v_add_u32_e32 v0, s0, v0
	s_waitcnt vmcnt(0)
	v_mul_f64 v[8:9], v[8:9], v[34:35]
	global_store_dwordx2 v[68:69], v[8:9], off
	global_load_dwordx2 v[8:9], v[26:27], off
	v_lshl_add_u64 v[68:69], v[0:1], 3, s[6:7]
	v_add_u32_e32 v0, s0, v0
	s_waitcnt vmcnt(0)
	v_mul_f64 v[8:9], v[8:9], v[34:35]
	global_store_dwordx2 v[26:27], v[8:9], off
	global_load_dwordx2 v[8:9], v[68:69], off
	v_lshl_add_u64 v[26:27], v[0:1], 3, s[6:7]
	v_add_u32_e32 v0, s0, v0
	v_lshl_add_u64 v[74:75], v[0:1], 3, s[6:7]
	v_add_u32_e32 v0, s0, v0
	s_waitcnt vmcnt(0)
	v_mul_f64 v[8:9], v[8:9], v[10:11]
	global_store_dwordx2 v[68:69], v[8:9], off
	global_load_dwordx2 v[8:9], v[26:27], off
	s_waitcnt vmcnt(0)
	v_mul_f64 v[8:9], v[8:9], v[10:11]
	global_store_dwordx2 v[26:27], v[8:9], off
	global_load_dwordx2 v[26:27], v[74:75], off
	s_nop 0
	global_load_dwordx2 v[76:77], v[14:15], off
	global_load_dwordx2 v[68:69], v[14:15], off
	;; [unrolled: 1-line block ×4, first 2 shown]
	s_waitcnt vmcnt(3)
	v_mul_f64 v[26:27], v[26:27], v[76:77]
	global_store_dwordx2 v[74:75], v[26:27], off
	v_lshl_add_u64 v[26:27], v[0:1], 3, s[6:7]
	global_load_dwordx2 v[74:75], v[26:27], off
	s_waitcnt vmcnt(0)
	v_mul_f64 v[74:75], v[74:75], v[72:73]
	global_store_dwordx2 v[26:27], v[74:75], off
	v_mad_u64_u32 v[26:27], s[2:3], s0, 3, v[0:1]
	v_mov_b32_e32 v27, v1
	v_add_u32_e32 v0, s0, v26
	v_lshl_add_u64 v[26:27], v[26:27], 3, s[6:7]
	global_load_dwordx2 v[74:75], v[26:27], off
	s_mul_i32 s2, s0, 0xffffffbb
	s_waitcnt vmcnt(0)
	v_mul_f64 v[64:65], v[74:75], v[64:65]
	v_lshl_add_u64 v[74:75], v[0:1], 3, s[6:7]
	global_store_dwordx2 v[26:27], v[64:65], off
	global_load_dwordx2 v[26:27], v[74:75], off
	v_add_u32_e32 v0, s0, v0
	v_lshl_add_u64 v[64:65], v[0:1], 3, s[6:7]
	v_add_u32_e32 v0, s0, v0
	s_waitcnt vmcnt(0)
	v_mul_f64 v[26:27], v[26:27], v[28:29]
	global_store_dwordx2 v[74:75], v[26:27], off
	global_load_dwordx2 v[26:27], v[64:65], off
	v_lshl_add_u64 v[74:75], v[0:1], 3, s[6:7]
	v_add_u32_e32 v0, s0, v0
	s_waitcnt vmcnt(0)
	v_mul_f64 v[26:27], v[26:27], v[56:57]
	global_store_dwordx2 v[64:65], v[26:27], off
	global_load_dwordx2 v[26:27], v[74:75], off
	;; [unrolled: 6-line block ×5, first 2 shown]
	v_lshl_add_u64 v[52:53], v[0:1], 3, s[6:7]
	v_add_u32_e32 v0, s0, v0
	v_lshl_add_u64 v[56:57], v[0:1], 3, s[6:7]
	v_add_u32_e32 v0, s0, v0
	s_waitcnt vmcnt(0)
	v_mul_f64 v[26:27], v[26:27], v[32:33]
	global_store_dwordx2 v[64:65], v[26:27], off
	global_load_dwordx2 v[26:27], v[52:53], off
	s_waitcnt vmcnt(0)
	v_mul_f64 v[26:27], v[26:27], v[32:33]
	global_store_dwordx2 v[52:53], v[26:27], off
	global_load_dwordx2 v[26:27], v[56:57], off
	v_lshl_add_u64 v[52:53], v[0:1], 3, s[6:7]
	v_add_u32_e32 v0, s0, v0
	s_waitcnt vmcnt(0)
	v_mul_f64 v[26:27], v[26:27], v[58:59]
	global_store_dwordx2 v[56:57], v[26:27], off
	global_load_dwordx2 v[26:27], v[52:53], off
	v_lshl_add_u64 v[56:57], v[0:1], 3, s[6:7]
	v_add_u32_e32 v0, s0, v0
	;; [unrolled: 6-line block ×5, first 2 shown]
	s_waitcnt vmcnt(0)
	v_mul_f64 v[26:27], v[26:27], v[66:67]
	v_mul_f64 v[26:27], v[26:27], v[28:29]
	global_store_dwordx2 v[56:57], v[26:27], off
	global_load_dwordx2 v[26:27], v[52:53], off
	v_lshl_add_u64 v[56:57], v[0:1], 3, s[6:7]
	v_add_u32_e32 v0, s0, v0
	s_waitcnt vmcnt(0)
	v_mul_f64 v[26:27], v[26:27], v[66:67]
	v_mul_f64 v[26:27], v[26:27], v[28:29]
	global_store_dwordx2 v[52:53], v[26:27], off
	global_load_dwordx2 v[26:27], v[56:57], off
	v_lshl_add_u64 v[28:29], v[0:1], 3, s[6:7]
	v_add_u32_e32 v0, s0, v0
	v_lshl_add_u64 v[52:53], v[0:1], 3, s[6:7]
	v_add_u32_e32 v0, s0, v0
	s_waitcnt vmcnt(0)
	v_mul_f64 v[26:27], v[26:27], v[66:67]
	v_mul_f64 v[26:27], v[26:27], v[48:49]
	global_store_dwordx2 v[56:57], v[26:27], off
	global_load_dwordx2 v[26:27], v[28:29], off
	s_waitcnt vmcnt(0)
	v_mul_f64 v[26:27], v[26:27], v[66:67]
	v_mul_f64 v[10:11], v[26:27], v[10:11]
	global_store_dwordx2 v[28:29], v[10:11], off
	global_load_dwordx2 v[10:11], v[52:53], off
	v_lshl_add_u64 v[26:27], v[0:1], 3, s[6:7]
	v_add_u32_e32 v0, s0, v0
	v_lshl_add_u64 v[28:29], v[0:1], 3, s[6:7]
	v_add_u32_e32 v0, s0, v0
	s_waitcnt vmcnt(0)
	v_mul_f64 v[10:11], v[10:11], v[66:67]
	v_mul_f64 v[10:11], v[10:11], v[32:33]
	global_store_dwordx2 v[52:53], v[10:11], off
	global_load_dwordx2 v[10:11], v[26:27], off
	v_lshl_add_u64 v[32:33], v[0:1], 3, s[6:7]
	v_add_u32_e32 v0, s2, v0
	s_mul_i32 s2, s0, 0x46
	s_waitcnt vmcnt(0)
	v_mul_f64 v[10:11], v[10:11], v[66:67]
	v_mul_f64 v[10:11], v[10:11], v[68:69]
	global_store_dwordx2 v[26:27], v[10:11], off
	global_load_dwordx2 v[26:27], v[28:29], off
	v_lshl_add_u64 v[10:11], v[0:1], 3, s[4:5]
	global_load_dwordx2 v[64:65], v[10:11], off
	v_add_u32_e32 v0, s2, v0
	v_lshl_add_u64 v[58:59], v[0:1], 3, s[6:7]
	v_add_u32_e32 v0, s0, v0
	s_mul_i32 s2, s0, 0xffffffa4
	s_waitcnt vmcnt(1)
	v_mul_f64 v[26:27], v[26:27], v[66:67]
	global_store_dwordx2 v[28:29], v[26:27], off
	global_load_dwordx2 v[56:57], v[32:33], off
	global_load_dwordx2 v[52:53], v[10:11], off
	s_nop 0
	global_load_dwordx2 v[28:29], v[10:11], off
	global_load_dwordx2 v[26:27], v[10:11], off
	s_waitcnt vmcnt(3)
	v_mul_f64 v[56:57], v[56:57], v[64:65]
	v_mul_f64 v[30:31], v[56:57], v[30:31]
	global_store_dwordx2 v[32:33], v[30:31], off
	global_load_dwordx2 v[30:31], v[58:59], off
	v_lshl_add_u64 v[32:33], v[0:1], 3, s[6:7]
	v_add_u32_e32 v0, s0, v0
	s_waitcnt vmcnt(0)
	v_mul_f64 v[30:31], v[30:31], v[64:65]
	v_mul_f64 v[30:31], v[30:31], v[48:49]
	global_store_dwordx2 v[58:59], v[30:31], off
	global_load_dwordx2 v[30:31], v[32:33], off
	v_lshl_add_u64 v[48:49], v[0:1], 3, s[6:7]
	v_add_u32_e32 v0, s0, v0
	v_lshl_add_u64 v[56:57], v[0:1], 3, s[6:7]
	v_add_u32_e32 v0, s0, v0
	;; [unrolled: 2-line block ×3, first 2 shown]
	s_waitcnt vmcnt(0)
	v_mul_f64 v[30:31], v[30:31], v[64:65]
	v_mul_f64 v[30:31], v[30:31], v[62:63]
	global_store_dwordx2 v[32:33], v[30:31], off
	global_load_dwordx2 v[30:31], v[48:49], off
	s_waitcnt vmcnt(0)
	v_mul_f64 v[30:31], v[30:31], v[64:65]
	v_mul_f64 v[30:31], v[30:31], v[62:63]
	global_store_dwordx2 v[48:49], v[30:31], off
	global_load_dwordx2 v[58:59], v[56:57], off
	global_load_dwordx2 v[62:63], v[2:3], off
	s_nop 0
	global_load_dwordx2 v[30:31], v[2:3], off
	global_load_dwordx2 v[48:49], v[2:3], off
	;; [unrolled: 1-line block ×3, first 2 shown]
	s_waitcnt vmcnt(4)
	v_mul_f64 v[58:59], v[58:59], v[64:65]
	s_waitcnt vmcnt(3)
	v_mul_f64 v[58:59], v[58:59], v[62:63]
	global_store_dwordx2 v[56:57], v[58:59], off
	global_load_dwordx2 v[56:57], v[66:67], off
	v_lshl_add_u64 v[58:59], v[0:1], 3, s[6:7]
	v_add_u32_e32 v0, s0, v0
	s_waitcnt vmcnt(0)
	v_mul_f64 v[56:57], v[56:57], v[64:65]
	v_mul_f64 v[56:57], v[56:57], v[62:63]
	global_store_dwordx2 v[66:67], v[56:57], off
	global_load_dwordx2 v[56:57], v[58:59], off
	v_lshl_add_u64 v[62:63], v[0:1], 3, s[6:7]
	v_add_u32_e32 v0, s0, v0
	s_waitcnt vmcnt(0)
	v_mul_f64 v[56:57], v[56:57], v[64:65]
	;; [unrolled: 7-line block ×4, first 2 shown]
	v_mul_f64 v[54:55], v[56:57], v[54:55]
	global_store_dwordx2 v[58:59], v[54:55], off
	global_load_dwordx2 v[54:55], v[62:63], off
	v_lshl_add_u64 v[56:57], v[0:1], 3, s[6:7]
	v_add_u32_e32 v0, s0, v0
	v_lshl_add_u64 v[58:59], v[0:1], 3, s[6:7]
	v_add_u32_e32 v0, s0, v0
	s_waitcnt vmcnt(0)
	v_mul_f64 v[54:55], v[54:55], v[64:65]
	global_store_dwordx2 v[62:63], v[54:55], off
	global_load_dwordx2 v[54:55], v[56:57], off
	s_waitcnt vmcnt(0)
	v_mul_f64 v[54:55], v[54:55], v[64:65]
	global_store_dwordx2 v[56:57], v[54:55], off
	global_load_dwordx2 v[54:55], v[58:59], off
	v_lshl_add_u64 v[56:57], v[0:1], 3, s[6:7]
	v_add_u32_e32 v0, s0, v0
	s_waitcnt vmcnt(0)
	v_mul_f64 v[54:55], v[54:55], v[64:65]
	global_store_dwordx2 v[58:59], v[54:55], off
	global_load_dwordx2 v[54:55], v[56:57], off
	v_lshl_add_u64 v[58:59], v[0:1], 3, s[6:7]
	v_add_u32_e32 v0, s0, v0
	s_waitcnt vmcnt(0)
	v_mul_f64 v[54:55], v[54:55], v[64:65]
	v_mul_f64 v[54:55], v[54:55], v[60:61]
	global_store_dwordx2 v[56:57], v[54:55], off
	global_load_dwordx2 v[54:55], v[58:59], off
	v_lshl_add_u64 v[56:57], v[0:1], 3, s[6:7]
	v_add_u32_e32 v0, s0, v0
	s_waitcnt vmcnt(0)
	v_mul_f64 v[54:55], v[54:55], v[64:65]
	global_store_dwordx2 v[58:59], v[54:55], off
	global_load_dwordx2 v[54:55], v[56:57], off
	v_lshl_add_u64 v[58:59], v[0:1], 3, s[6:7]
	v_add_u32_e32 v0, s0, v0
	s_waitcnt vmcnt(0)
	v_mul_f64 v[54:55], v[54:55], v[64:65]
	global_store_dwordx2 v[56:57], v[54:55], off
	global_load_dwordx2 v[54:55], v[58:59], off
	v_lshl_add_u64 v[56:57], v[0:1], 3, s[6:7]
	v_add_u32_e32 v0, s0, v0
	v_lshl_add_u64 v[60:61], v[0:1], 3, s[6:7]
	v_add_u32_e32 v0, s0, v0
	s_waitcnt vmcnt(0)
	v_mul_f64 v[54:55], v[54:55], v[64:65]
	v_mul_f64 v[54:55], v[64:65], v[54:55]
	global_store_dwordx2 v[58:59], v[54:55], off
	global_load_dwordx2 v[54:55], v[56:57], off
	s_waitcnt vmcnt(0)
	v_mul_f64 v[54:55], v[54:55], v[64:65]
	v_mul_f64 v[54:55], v[64:65], v[54:55]
	global_store_dwordx2 v[56:57], v[54:55], off
	global_load_dwordx2 v[54:55], v[60:61], off
	s_nop 0
	global_load_dwordx2 v[62:63], v[46:47], off
	v_lshl_add_u64 v[46:47], v[0:1], 3, s[6:7]
	v_add_u32_e32 v0, s0, v0
	v_lshl_add_u64 v[66:67], v[0:1], 3, s[6:7]
	v_add_u32_e32 v0, s0, v0
	;; [unrolled: 2-line block ×7, first 2 shown]
	v_lshl_add_u64 v[56:57], v[0:1], 3, s[4:5]
	global_load_dwordx2 v[78:79], v[56:57], off
	global_load_dwordx2 v[58:59], v[42:43], off
	s_nop 0
	global_load_dwordx2 v[56:57], v[44:45], off
	s_mul_i32 s2, s0, 0x5d
	v_add_u32_e32 v0, s2, v0
	s_waitcnt vmcnt(4)
	v_mul_f64 v[42:43], v[54:55], v[64:65]
	s_waitcnt vmcnt(3)
	v_mul_f64 v[42:43], v[42:43], v[62:63]
	global_store_dwordx2 v[60:61], v[42:43], off
	global_load_dwordx2 v[44:45], v[6:7], off
	global_load_dwordx2 v[54:55], v[6:7], off
	s_nop 0
	global_load_dwordx2 v[42:43], v[6:7], off
	s_nop 0
	;; [unrolled: 2-line block ×3, first 2 shown]
	global_load_dwordx2 v[60:61], v[46:47], off
	s_waitcnt vmcnt(0)
	v_mul_f64 v[60:61], v[60:61], v[44:45]
	global_store_dwordx2 v[46:47], v[60:61], off
	global_load_dwordx2 v[46:47], v[66:67], off
	v_lshl_add_u64 v[60:61], v[0:1], 3, s[6:7]
	v_add_u32_e32 v0, s0, v0
	v_lshl_add_u64 v[64:65], v[0:1], 3, s[6:7]
	v_add_u32_e32 v0, s0, v0
	s_waitcnt vmcnt(0)
	v_mul_f64 v[46:47], v[46:47], v[44:45]
	global_store_dwordx2 v[66:67], v[46:47], off
	global_load_dwordx2 v[46:47], v[68:69], off
	s_waitcnt vmcnt(0)
	v_mul_f64 v[46:47], v[46:47], v[44:45]
	global_store_dwordx2 v[68:69], v[46:47], off
	global_load_dwordx2 v[46:47], v[70:71], off
	s_waitcnt vmcnt(0)
	v_mul_f64 v[46:47], v[46:47], v[40:41]
	global_store_dwordx2 v[70:71], v[46:47], off
	global_load_dwordx2 v[46:47], v[72:73], off
	s_waitcnt vmcnt(0)
	v_mul_f64 v[46:47], v[46:47], v[50:51]
	global_store_dwordx2 v[72:73], v[46:47], off
	global_load_dwordx2 v[46:47], v[74:75], off
	s_waitcnt vmcnt(0)
	v_mul_f64 v[46:47], v[46:47], v[30:31]
	global_store_dwordx2 v[74:75], v[46:47], off
	global_load_dwordx2 v[46:47], v[76:77], off
	s_waitcnt vmcnt(0)
	v_mul_f64 v[46:47], v[46:47], v[78:79]
	v_mul_f64 v[46:47], v[46:47], v[44:45]
	global_store_dwordx2 v[76:77], v[46:47], off
	global_load_dwordx2 v[46:47], v[60:61], off
	s_waitcnt vmcnt(0)
	v_mul_f64 v[46:47], v[46:47], v[78:79]
	v_mul_f64 v[46:47], v[46:47], v[40:41]
	global_store_dwordx2 v[60:61], v[46:47], off
	global_load_dwordx2 v[46:47], v[64:65], off
	v_lshl_add_u64 v[60:61], v[0:1], 3, s[6:7]
	v_add_u32_e32 v0, s0, v0
	s_waitcnt vmcnt(0)
	v_mul_f64 v[46:47], v[46:47], v[78:79]
	v_mul_f64 v[46:47], v[46:47], v[50:51]
	global_store_dwordx2 v[64:65], v[46:47], off
	global_load_dwordx2 v[46:47], v[60:61], off
	v_lshl_add_u64 v[50:51], v[0:1], 3, s[6:7]
	v_add_u32_e32 v0, s0, v0
	s_waitcnt vmcnt(0)
	v_mul_f64 v[46:47], v[46:47], v[78:79]
	global_store_dwordx2 v[60:61], v[46:47], off
	global_load_dwordx2 v[46:47], v[50:51], off
	v_lshl_add_u64 v[60:61], v[0:1], 3, s[6:7]
	v_add_u32_e32 v0, s0, v0
	s_waitcnt vmcnt(0)
	;; [unrolled: 6-line block ×4, first 2 shown]
	v_mul_f64 v[46:47], v[46:47], v[62:63]
	v_mul_f64 v[44:45], v[46:47], v[44:45]
	global_store_dwordx2 v[50:51], v[44:45], off
	global_load_dwordx2 v[44:45], v[60:61], off
	v_lshl_add_u64 v[46:47], v[0:1], 3, s[6:7]
	v_add_u32_e32 v0, s0, v0
	s_waitcnt vmcnt(0)
	v_mul_f64 v[44:45], v[44:45], v[62:63]
	v_mul_f64 v[40:41], v[44:45], v[40:41]
	global_store_dwordx2 v[60:61], v[40:41], off
	global_load_dwordx2 v[40:41], v[46:47], off
	v_lshl_add_u64 v[44:45], v[0:1], 3, s[6:7]
	v_add_u32_e32 v0, s0, v0
	s_waitcnt vmcnt(0)
	v_mul_f64 v[40:41], v[40:41], v[62:63]
	v_mul_f64 v[30:31], v[40:41], v[30:31]
	global_store_dwordx2 v[46:47], v[30:31], off
	global_load_dwordx2 v[30:31], v[44:45], off
	v_lshl_add_u64 v[40:41], v[0:1], 3, s[6:7]
	v_add_u32_e32 v0, s0, v0
	s_waitcnt vmcnt(0)
	v_mul_f64 v[30:31], v[30:31], v[62:63]
	global_store_dwordx2 v[44:45], v[30:31], off
	global_load_dwordx2 v[30:31], v[40:41], off
	v_lshl_add_u64 v[44:45], v[0:1], 3, s[6:7]
	v_add_u32_e32 v0, s0, v0
	s_waitcnt vmcnt(0)
	v_mul_f64 v[30:31], v[30:31], v[62:63]
	global_store_dwordx2 v[40:41], v[30:31], off
	global_load_dwordx2 v[30:31], v[44:45], off
	v_lshl_add_u64 v[40:41], v[0:1], 3, s[6:7]
	v_add_u32_e32 v0, s1, v0
	v_lshl_add_u64 v[46:47], v[0:1], 3, s[6:7]
	v_add_u32_e32 v0, s0, v0
	s_waitcnt vmcnt(0)
	v_mul_f64 v[30:31], v[30:31], v[62:63]
	v_mul_f64 v[30:31], v[62:63], v[30:31]
	global_store_dwordx2 v[44:45], v[30:31], off
	global_load_dwordx2 v[30:31], v[40:41], off
	s_waitcnt vmcnt(0)
	v_mul_f64 v[30:31], v[30:31], v[58:59]
	global_store_dwordx2 v[40:41], v[30:31], off
	global_load_dwordx2 v[50:51], v[46:47], off
	global_load_dwordx2 v[60:61], v[4:5], off
	;; [unrolled: 1-line block ×3, first 2 shown]
	s_nop 0
	global_load_dwordx2 v[40:41], v[4:5], off
	global_load_dwordx2 v[30:31], v[4:5], off
	v_lshl_add_u64 v[4:5], v[0:1], 3, s[6:7]
	v_add_u32_e32 v0, s0, v0
	v_lshl_add_u64 v[62:63], v[0:1], 3, s[6:7]
	v_add_u32_e32 v0, s0, v0
	;; [unrolled: 2-line block ×3, first 2 shown]
	s_waitcnt vmcnt(4)
	v_mul_f64 v[50:51], v[50:51], v[58:59]
	s_waitcnt vmcnt(3)
	v_mul_f64 v[50:51], v[50:51], v[60:61]
	global_store_dwordx2 v[46:47], v[50:51], off
	global_load_dwordx2 v[46:47], v[4:5], off
	s_waitcnt vmcnt(0)
	v_mul_f64 v[46:47], v[46:47], v[58:59]
	v_mul_f64 v[46:47], v[46:47], v[60:61]
	global_store_dwordx2 v[4:5], v[46:47], off
	global_load_dwordx2 v[64:65], v[62:63], off
	global_load_dwordx2 v[66:67], v[16:17], off
	;; [unrolled: 1-line block ×3, first 2 shown]
	s_nop 0
	global_load_dwordx2 v[46:47], v[16:17], off
	global_load_dwordx2 v[4:5], v[16:17], off
	s_waitcnt vmcnt(4)
	v_mul_f64 v[64:65], v[64:65], v[58:59]
	s_waitcnt vmcnt(3)
	v_mul_f64 v[64:65], v[64:65], v[66:67]
	global_store_dwordx2 v[62:63], v[64:65], off
	global_load_dwordx2 v[62:63], v[68:69], off
	v_lshl_add_u64 v[64:65], v[0:1], 3, s[6:7]
	v_add_u32_e32 v0, s1, v0
	s_waitcnt vmcnt(0)
	v_mul_f64 v[62:63], v[62:63], v[58:59]
	v_mul_f64 v[62:63], v[62:63], v[66:67]
	global_store_dwordx2 v[68:69], v[62:63], off
	global_load_dwordx2 v[62:63], v[64:65], off
	v_lshl_add_u64 v[68:69], v[0:1], 3, s[6:7]
	v_add_u32_e32 v0, s0, v0
	s_waitcnt vmcnt(0)
	v_mul_f64 v[58:59], v[62:63], v[58:59]
	global_store_dwordx2 v[64:65], v[58:59], off
	global_load_dwordx2 v[58:59], v[68:69], off
	v_lshl_add_u64 v[62:63], v[0:1], 3, s[6:7]
	v_add_u32_e32 v0, s0, v0
	v_lshl_add_u64 v[64:65], v[0:1], 3, s[6:7]
	v_add_u32_e32 v0, s0, v0
	s_waitcnt vmcnt(0)
	v_mul_f64 v[58:59], v[58:59], v[54:55]
	global_store_dwordx2 v[68:69], v[58:59], off
	global_load_dwordx2 v[58:59], v[62:63], off
	s_waitcnt vmcnt(0)
	v_mul_f64 v[58:59], v[58:59], v[60:61]
	global_store_dwordx2 v[62:63], v[58:59], off
	global_load_dwordx2 v[58:59], v[64:65], off
	v_lshl_add_u64 v[62:63], v[0:1], 3, s[6:7]
	v_add_u32_e32 v0, s0, v0
	s_waitcnt vmcnt(0)
	v_mul_f64 v[58:59], v[58:59], v[66:67]
	global_store_dwordx2 v[64:65], v[58:59], off
	global_load_dwordx2 v[58:59], v[62:63], off
	v_lshl_add_u64 v[64:65], v[0:1], 3, s[6:7]
	v_add_u32_e32 v0, s0, v0
	;; [unrolled: 6-line block ×3, first 2 shown]
	s_waitcnt vmcnt(0)
	v_mul_f64 v[58:59], v[58:59], v[56:57]
	v_mul_f64 v[58:59], v[58:59], v[54:55]
	global_store_dwordx2 v[64:65], v[58:59], off
	global_load_dwordx2 v[58:59], v[62:63], off
	v_lshl_add_u64 v[64:65], v[0:1], 3, s[6:7]
	v_add_u32_e32 v0, s0, v0
	s_waitcnt vmcnt(0)
	v_mul_f64 v[58:59], v[58:59], v[56:57]
	v_mul_f64 v[58:59], v[58:59], v[54:55]
	global_store_dwordx2 v[62:63], v[58:59], off
	global_load_dwordx2 v[58:59], v[64:65], off
	v_lshl_add_u64 v[62:63], v[0:1], 3, s[6:7]
	v_add_u32_e32 v0, s0, v0
	;; [unrolled: 7-line block ×6, first 2 shown]
	v_lshl_add_u64 v[62:63], v[0:1], 3, s[6:7]
	v_add_u32_e32 v0, s0, v0
	s_waitcnt vmcnt(0)
	v_mul_f64 v[56:57], v[56:57], v[54:55]
	global_store_dwordx2 v[64:65], v[56:57], off
	global_load_dwordx2 v[56:57], v[58:59], off
	s_waitcnt vmcnt(0)
	v_mul_f64 v[56:57], v[56:57], v[54:55]
	global_store_dwordx2 v[58:59], v[56:57], off
	global_load_dwordx2 v[56:57], v[62:63], off
	v_lshl_add_u64 v[58:59], v[0:1], 3, s[6:7]
	v_add_u32_e32 v0, s0, v0
	s_waitcnt vmcnt(0)
	v_mul_f64 v[54:55], v[56:57], v[54:55]
	global_store_dwordx2 v[62:63], v[54:55], off
	global_load_dwordx2 v[54:55], v[58:59], off
	v_lshl_add_u64 v[56:57], v[0:1], 3, s[6:7]
	v_add_u32_e32 v0, s0, v0
	;; [unrolled: 6-line block ×18, first 2 shown]
	v_lshl_add_u64 v[50:51], v[0:1], 3, s[6:7]
	v_add_u32_e32 v0, s0, v0
	s_waitcnt vmcnt(0)
	v_mul_f64 v[34:35], v[34:35], v[48:49]
	global_store_dwordx2 v[52:53], v[34:35], off
	global_load_dwordx2 v[34:35], v[38:39], off
	v_lshl_add_u64 v[52:53], s[4:5], 0, v[22:23]
	global_load_dwordx2 v[48:49], v[18:19], off
	s_waitcnt vmcnt(1)
	v_mul_f64 v[18:19], v[34:35], v[32:33]
	global_store_dwordx2 v[38:39], v[18:19], off
	global_load_dwordx2 v[34:35], v[50:51], off
	v_lshl_add_u64 v[38:39], s[4:5], 0, v[20:21]
	global_load_dwordx2 v[22:23], v[38:39], off
	global_load_dwordx2 v[20:21], v[52:53], off
	;; [unrolled: 1-line block ×3, first 2 shown]
	v_lshl_add_u64 v[24:25], v[0:1], 3, s[6:7]
	v_add_u32_e32 v0, s0, v0
	v_lshl_add_u64 v[38:39], v[0:1], 3, s[6:7]
	v_add_u32_e32 v0, s0, v0
	s_waitcnt vmcnt(3)
	v_mul_f64 v[34:35], v[34:35], v[48:49]
	global_store_dwordx2 v[50:51], v[34:35], off
	global_load_dwordx2 v[34:35], v[24:25], off
	s_waitcnt vmcnt(0)
	v_mul_f64 v[34:35], v[34:35], v[48:49]
	v_mul_f64 v[34:35], v[34:35], v[42:43]
	global_store_dwordx2 v[24:25], v[34:35], off
	global_load_dwordx2 v[24:25], v[38:39], off
	v_lshl_add_u64 v[34:35], v[0:1], 3, s[6:7]
	v_add_u32_e32 v0, s0, v0
	s_waitcnt vmcnt(0)
	v_mul_f64 v[24:25], v[24:25], v[48:49]
	v_mul_f64 v[24:25], v[24:25], v[42:43]
	global_store_dwordx2 v[38:39], v[24:25], off
	global_load_dwordx2 v[24:25], v[34:35], off
	v_lshl_add_u64 v[38:39], v[0:1], 3, s[6:7]
	v_add_u32_e32 v0, s0, v0
	;; [unrolled: 7-line block ×7, first 2 shown]
	v_lshl_add_u64 v[34:35], v[0:1], 3, s[6:7]
	v_add_u32_e32 v0, s0, v0
	s_waitcnt vmcnt(0)
	v_mul_f64 v[24:25], v[24:25], v[48:49]
	v_mul_f64 v[24:25], v[24:25], v[8:9]
	global_store_dwordx2 v[38:39], v[24:25], off
	global_load_dwordx2 v[24:25], v[32:33], off
	s_waitcnt vmcnt(0)
	v_mul_f64 v[24:25], v[24:25], v[48:49]
	global_store_dwordx2 v[32:33], v[24:25], off
	global_load_dwordx2 v[24:25], v[34:35], off
	v_lshl_add_u64 v[32:33], v[0:1], 3, s[6:7]
	v_add_u32_e32 v0, s0, v0
	s_waitcnt vmcnt(0)
	v_mul_f64 v[24:25], v[24:25], v[48:49]
	global_store_dwordx2 v[34:35], v[24:25], off
	global_load_dwordx2 v[24:25], v[32:33], off
	v_lshl_add_u64 v[34:35], v[0:1], 3, s[6:7]
	v_add_u32_e32 v0, s0, v0
	;; [unrolled: 6-line block ×4, first 2 shown]
	s_waitcnt vmcnt(0)
	v_mul_f64 v[24:25], v[24:25], v[48:49]
	v_mul_f64 v[24:25], v[24:25], v[28:29]
	global_store_dwordx2 v[32:33], v[24:25], off
	global_load_dwordx2 v[24:25], v[34:35], off
	v_lshl_add_u64 v[32:33], v[0:1], 3, s[6:7]
	v_add_u32_e32 v0, s0, v0
	s_waitcnt vmcnt(0)
	v_mul_f64 v[24:25], v[24:25], v[48:49]
	v_mul_f64 v[24:25], v[24:25], v[28:29]
	global_store_dwordx2 v[34:35], v[24:25], off
	global_load_dwordx2 v[24:25], v[32:33], off
	v_lshl_add_u64 v[28:29], v[0:1], 3, s[6:7]
	v_add_u32_e32 v0, s0, v0
	s_waitcnt vmcnt(0)
	v_mul_f64 v[24:25], v[24:25], v[6:7]
	global_store_dwordx2 v[32:33], v[24:25], off
	global_load_dwordx2 v[24:25], v[28:29], off
	v_lshl_add_u64 v[32:33], v[0:1], 3, s[6:7]
	v_add_u32_e32 v0, s0, v0
	s_waitcnt vmcnt(0)
	;; [unrolled: 6-line block ×4, first 2 shown]
	v_mul_f64 v[24:25], v[24:25], v[40:41]
	global_store_dwordx2 v[28:29], v[24:25], off
	global_load_dwordx2 v[28:29], v[32:33], off
	s_nop 0
	global_load_dwordx2 v[34:35], v[2:3], off
	global_load_dwordx2 v[24:25], v[2:3], off
	v_lshl_add_u64 v[2:3], v[0:1], 3, s[6:7]
	v_add_u32_e32 v0, s0, v0
	s_waitcnt vmcnt(1)
	v_mul_f64 v[28:29], v[28:29], v[34:35]
	global_store_dwordx2 v[32:33], v[28:29], off
	global_load_dwordx2 v[28:29], v[2:3], off
	v_lshl_add_u64 v[32:33], v[0:1], 3, s[6:7]
	v_add_u32_e32 v0, s0, v0
	s_waitcnt vmcnt(0)
	v_mul_f64 v[28:29], v[28:29], v[8:9]
	global_store_dwordx2 v[2:3], v[28:29], off
	;; [unrolled: 6-line block ×5, first 2 shown]
	global_load_dwordx2 v[2:3], v[28:29], off
	v_lshl_add_u64 v[12:13], v[0:1], 3, s[6:7]
	v_add_u32_e32 v0, s0, v0
	s_waitcnt vmcnt(0)
	v_mul_f64 v[2:3], v[2:3], v[22:23]
	v_mul_f64 v[2:3], v[2:3], v[6:7]
	global_store_dwordx2 v[28:29], v[2:3], off
	global_load_dwordx2 v[2:3], v[12:13], off
	v_lshl_add_u64 v[28:29], v[0:1], 3, s[6:7]
	v_add_u32_e32 v0, s0, v0
	s_waitcnt vmcnt(0)
	v_mul_f64 v[2:3], v[2:3], v[22:23]
	v_mul_f64 v[2:3], v[2:3], v[40:41]
	global_store_dwordx2 v[12:13], v[2:3], off
	global_load_dwordx2 v[2:3], v[28:29], off
	v_lshl_add_u64 v[12:13], v[0:1], 3, s[6:7]
	v_add_u32_e32 v0, s0, v0
	s_waitcnt vmcnt(0)
	v_mul_f64 v[2:3], v[2:3], v[22:23]
	v_mul_f64 v[2:3], v[2:3], v[4:5]
	global_store_dwordx2 v[28:29], v[2:3], off
	global_load_dwordx2 v[2:3], v[12:13], off
	v_lshl_add_u64 v[4:5], v[0:1], 3, s[6:7]
	v_add_u32_e32 v0, s0, v0
	s_waitcnt vmcnt(0)
	v_mul_f64 v[2:3], v[2:3], v[22:23]
	global_store_dwordx2 v[12:13], v[2:3], off
	global_load_dwordx2 v[2:3], v[4:5], off
	v_lshl_add_u64 v[12:13], v[0:1], 3, s[6:7]
	v_add_u32_e32 v0, s0, v0
	s_waitcnt vmcnt(0)
	v_mul_f64 v[2:3], v[2:3], v[22:23]
	v_mul_f64 v[2:3], v[2:3], v[26:27]
	global_store_dwordx2 v[4:5], v[2:3], off
	global_load_dwordx2 v[2:3], v[12:13], off
	v_lshl_add_u64 v[4:5], v[0:1], 3, s[6:7]
	v_add_u32_e32 v0, s0, v0
	s_waitcnt vmcnt(0)
	v_mul_f64 v[2:3], v[2:3], v[20:21]
	;; [unrolled: 7-line block ×5, first 2 shown]
	v_mul_f64 v[2:3], v[2:3], v[8:9]
	global_store_dwordx2 v[4:5], v[2:3], off
	global_load_dwordx2 v[2:3], v[12:13], off
	v_lshl_add_u64 v[4:5], v[0:1], 3, s[6:7]
	v_add_u32_e32 v0, s0, v0
	v_lshl_add_u64 v[8:9], v[0:1], 3, s[6:7]
	v_add_u32_e32 v0, s0, v0
	s_waitcnt vmcnt(0)
	v_mul_f64 v[2:3], v[2:3], v[20:21]
	global_store_dwordx2 v[12:13], v[2:3], off
	global_load_dwordx2 v[2:3], v[4:5], off
	s_waitcnt vmcnt(0)
	v_mul_f64 v[2:3], v[2:3], v[18:19]
	v_mul_f64 v[2:3], v[2:3], v[6:7]
	global_store_dwordx2 v[4:5], v[2:3], off
	global_load_dwordx2 v[2:3], v[8:9], off
	v_lshl_add_u64 v[4:5], v[0:1], 3, s[6:7]
	v_add_u32_e32 v0, s0, v0
	s_waitcnt vmcnt(0)
	v_mul_f64 v[2:3], v[2:3], v[18:19]
	v_mul_f64 v[2:3], v[2:3], v[6:7]
	global_store_dwordx2 v[8:9], v[2:3], off
	global_load_dwordx2 v[2:3], v[4:5], off
	v_lshl_add_u64 v[8:9], v[0:1], 3, s[6:7]
	v_add_u32_e32 v0, s0, v0
	;; [unrolled: 7-line block ×3, first 2 shown]
	v_lshl_add_u64 v[6:7], v[0:1], 3, s[6:7]
	v_add_u32_e32 v0, s0, v0
	s_waitcnt vmcnt(0)
	v_mul_f64 v[2:3], v[2:3], v[18:19]
	v_mul_f64 v[2:3], v[2:3], v[30:31]
	global_store_dwordx2 v[8:9], v[2:3], off
	global_load_dwordx2 v[2:3], v[4:5], off
	s_waitcnt vmcnt(0)
	v_mul_f64 v[2:3], v[2:3], v[18:19]
	v_mul_f64 v[2:3], v[2:3], v[30:31]
	global_store_dwordx2 v[4:5], v[2:3], off
	global_load_dwordx2 v[2:3], v[6:7], off
	v_lshl_add_u64 v[4:5], v[0:1], 3, s[6:7]
	v_add_u32_e32 v0, s0, v0
	v_lshl_add_u64 v[8:9], v[0:1], 3, s[6:7]
	v_add_u32_e32 v0, s0, v0
	;; [unrolled: 2-line block ×3, first 2 shown]
	s_waitcnt vmcnt(0)
	v_mul_f64 v[2:3], v[2:3], v[18:19]
	v_mul_f64 v[2:3], v[2:3], v[30:31]
	global_store_dwordx2 v[6:7], v[2:3], off
	global_load_dwordx2 v[2:3], v[4:5], off
	s_nop 0
	global_load_dwordx2 v[6:7], v[16:17], off
	s_waitcnt vmcnt(1)
	v_mul_f64 v[2:3], v[2:3], v[18:19]
	s_waitcnt vmcnt(0)
	v_mul_f64 v[2:3], v[2:3], v[6:7]
	global_store_dwordx2 v[4:5], v[2:3], off
	global_load_dwordx2 v[2:3], v[8:9], off
	s_nop 0
	global_load_dwordx2 v[4:5], v[14:15], off
	s_waitcnt vmcnt(1)
	v_mul_f64 v[2:3], v[2:3], v[18:19]
	s_waitcnt vmcnt(0)
	v_mul_f64 v[2:3], v[2:3], v[4:5]
	global_store_dwordx2 v[8:9], v[2:3], off
	global_load_dwordx2 v[2:3], v[12:13], off
	s_nop 0
	global_load_dwordx2 v[8:9], v[10:11], off
	v_lshl_add_u64 v[10:11], v[0:1], 3, s[6:7]
	v_add_u32_e32 v0, s0, v0
	s_waitcnt vmcnt(1)
	v_mul_f64 v[2:3], v[2:3], v[18:19]
	s_waitcnt vmcnt(0)
	v_mul_f64 v[2:3], v[2:3], v[8:9]
	global_store_dwordx2 v[12:13], v[2:3], off
	global_load_dwordx2 v[2:3], v[10:11], off
	v_lshl_add_u64 v[12:13], v[0:1], 3, s[6:7]
	v_add_u32_e32 v0, s0, v0
	s_waitcnt vmcnt(0)
	v_mul_f64 v[2:3], v[2:3], v[36:37]
	global_store_dwordx2 v[10:11], v[2:3], off
	global_load_dwordx2 v[2:3], v[12:13], off
	v_lshl_add_u64 v[10:11], v[0:1], 3, s[6:7]
	v_add_u32_e32 v0, s0, v0
	;; [unrolled: 6-line block ×5, first 2 shown]
	v_lshl_add_u64 v[0:1], v[0:1], 3, s[6:7]
	s_waitcnt vmcnt(0)
	v_mul_f64 v[2:3], v[2:3], v[24:25]
	global_store_dwordx2 v[10:11], v[2:3], off
	global_load_dwordx2 v[2:3], v[6:7], off
	s_waitcnt vmcnt(0)
	v_mul_f64 v[2:3], v[2:3], v[4:5]
	global_store_dwordx2 v[6:7], v[2:3], off
	global_load_dwordx2 v[2:3], v[0:1], off
	s_waitcnt vmcnt(0)
	v_mul_f64 v[2:3], v[2:3], v[8:9]
	global_store_dwordx2 v[0:1], v[2:3], off
	s_endpgm
	.section	.rodata,"a",@progbits
	.p2align	6, 0x0
	.amdhsa_kernel _Z12ratx2_kernelIdEvPKT_PS0_S3_
		.amdhsa_group_segment_fixed_size 0
		.amdhsa_private_segment_fixed_size 0
		.amdhsa_kernarg_size 280
		.amdhsa_user_sgpr_count 2
		.amdhsa_user_sgpr_dispatch_ptr 0
		.amdhsa_user_sgpr_queue_ptr 0
		.amdhsa_user_sgpr_kernarg_segment_ptr 1
		.amdhsa_user_sgpr_dispatch_id 0
		.amdhsa_user_sgpr_kernarg_preload_length 0
		.amdhsa_user_sgpr_kernarg_preload_offset 0
		.amdhsa_user_sgpr_private_segment_size 0
		.amdhsa_uses_dynamic_stack 0
		.amdhsa_enable_private_segment 0
		.amdhsa_system_sgpr_workgroup_id_x 1
		.amdhsa_system_sgpr_workgroup_id_y 0
		.amdhsa_system_sgpr_workgroup_id_z 0
		.amdhsa_system_sgpr_workgroup_info 0
		.amdhsa_system_vgpr_workitem_id 0
		.amdhsa_next_free_vgpr 86
		.amdhsa_next_free_sgpr 9
		.amdhsa_accum_offset 88
		.amdhsa_reserve_vcc 0
		.amdhsa_float_round_mode_32 0
		.amdhsa_float_round_mode_16_64 0
		.amdhsa_float_denorm_mode_32 3
		.amdhsa_float_denorm_mode_16_64 3
		.amdhsa_dx10_clamp 1
		.amdhsa_ieee_mode 1
		.amdhsa_fp16_overflow 0
		.amdhsa_tg_split 0
		.amdhsa_exception_fp_ieee_invalid_op 0
		.amdhsa_exception_fp_denorm_src 0
		.amdhsa_exception_fp_ieee_div_zero 0
		.amdhsa_exception_fp_ieee_overflow 0
		.amdhsa_exception_fp_ieee_underflow 0
		.amdhsa_exception_fp_ieee_inexact 0
		.amdhsa_exception_int_div_zero 0
	.end_amdhsa_kernel
	.section	.text._Z12ratx2_kernelIdEvPKT_PS0_S3_,"axG",@progbits,_Z12ratx2_kernelIdEvPKT_PS0_S3_,comdat
.Lfunc_end41:
	.size	_Z12ratx2_kernelIdEvPKT_PS0_S3_, .Lfunc_end41-_Z12ratx2_kernelIdEvPKT_PS0_S3_
                                        ; -- End function
	.set _Z12ratx2_kernelIdEvPKT_PS0_S3_.num_vgpr, 86
	.set _Z12ratx2_kernelIdEvPKT_PS0_S3_.num_agpr, 0
	.set _Z12ratx2_kernelIdEvPKT_PS0_S3_.numbered_sgpr, 9
	.set _Z12ratx2_kernelIdEvPKT_PS0_S3_.num_named_barrier, 0
	.set _Z12ratx2_kernelIdEvPKT_PS0_S3_.private_seg_size, 0
	.set _Z12ratx2_kernelIdEvPKT_PS0_S3_.uses_vcc, 0
	.set _Z12ratx2_kernelIdEvPKT_PS0_S3_.uses_flat_scratch, 0
	.set _Z12ratx2_kernelIdEvPKT_PS0_S3_.has_dyn_sized_stack, 0
	.set _Z12ratx2_kernelIdEvPKT_PS0_S3_.has_recursion, 0
	.set _Z12ratx2_kernelIdEvPKT_PS0_S3_.has_indirect_call, 0
	.section	.AMDGPU.csdata,"",@progbits
; Kernel info:
; codeLenInByte = 9600
; TotalNumSgprs: 15
; NumVgprs: 86
; NumAgprs: 0
; TotalNumVgprs: 86
; ScratchSize: 0
; MemoryBound: 1
; FloatMode: 240
; IeeeMode: 1
; LDSByteSize: 0 bytes/workgroup (compile time only)
; SGPRBlocks: 1
; VGPRBlocks: 10
; NumSGPRsForWavesPerEU: 15
; NumVGPRsForWavesPerEU: 86
; AccumOffset: 88
; Occupancy: 5
; WaveLimiterHint : 1
; COMPUTE_PGM_RSRC2:SCRATCH_EN: 0
; COMPUTE_PGM_RSRC2:USER_SGPR: 2
; COMPUTE_PGM_RSRC2:TRAP_HANDLER: 0
; COMPUTE_PGM_RSRC2:TGID_X_EN: 1
; COMPUTE_PGM_RSRC2:TGID_Y_EN: 0
; COMPUTE_PGM_RSRC2:TGID_Z_EN: 0
; COMPUTE_PGM_RSRC2:TIDIG_COMP_CNT: 0
; COMPUTE_PGM_RSRC3_GFX90A:ACCUM_OFFSET: 21
; COMPUTE_PGM_RSRC3_GFX90A:TG_SPLIT: 0
	.section	.text._Z12ratx4_kernelIdEvPKT_PS0_S3_,"axG",@progbits,_Z12ratx4_kernelIdEvPKT_PS0_S3_,comdat
	.protected	_Z12ratx4_kernelIdEvPKT_PS0_S3_ ; -- Begin function _Z12ratx4_kernelIdEvPKT_PS0_S3_
	.globl	_Z12ratx4_kernelIdEvPKT_PS0_S3_
	.p2align	8
	.type	_Z12ratx4_kernelIdEvPKT_PS0_S3_,@function
_Z12ratx4_kernelIdEvPKT_PS0_S3_:        ; @_Z12ratx4_kernelIdEvPKT_PS0_S3_
; %bb.0:
	s_load_dword s3, s[0:1], 0x24
	s_load_dwordx2 s[6:7], s[0:1], 0x0
	s_load_dwordx2 s[4:5], s[0:1], 0x10
	s_load_dword s8, s[0:1], 0x18
	v_mov_b32_e32 v1, 0
	s_waitcnt lgkmcnt(0)
	s_and_b32 s0, s3, 0xffff
	s_mul_i32 s2, s2, s0
	v_add_u32_e32 v0, s2, v0
	s_mul_i32 s0, s8, s0
	s_lshl_b32 s1, s0, 1
	v_add_u32_e32 v2, s1, v0
	v_mov_b32_e32 v3, v1
	v_lshlrev_b64 v[12:13], 3, v[0:1]
	v_lshlrev_b64 v[18:19], 3, v[2:3]
	v_lshl_add_u64 v[14:15], s[4:5], 0, v[12:13]
	v_lshl_add_u64 v[22:23], s[6:7], 0, v[18:19]
	v_add_u32_e32 v2, s1, v2
	global_load_dwordx2 v[16:17], v[14:15], off
	global_load_dwordx2 v[10:11], v[22:23], off
	v_lshl_add_u64 v[4:5], v[2:3], 3, s[6:7]
	global_load_dwordx2 v[8:9], v[4:5], off
	v_add_u32_e32 v0, s0, v0
	v_lshlrev_b64 v[2:3], 3, v[0:1]
	v_lshl_add_u64 v[20:21], s[4:5], 0, v[2:3]
	v_lshl_add_u64 v[2:3], s[6:7], 0, v[2:3]
	global_load_dwordx2 v[6:7], v[2:3], off
	global_load_dwordx2 v[24:25], v[4:5], off
	global_load_dwordx2 v[26:27], v[4:5], off
	global_load_dwordx2 v[28:29], v[4:5], off
	global_load_dwordx2 v[32:33], v[22:23], off
	global_load_dwordx2 v[30:31], v[22:23], off
	global_load_dwordx2 v[34:35], v[22:23], off
	s_lshl_b32 s8, s0, 2
	v_add_u32_e32 v0, s8, v0
	v_lshl_add_u64 v[18:19], s[4:5], 0, v[18:19]
	v_lshlrev_b64 v[22:23], 3, v[0:1]
	v_subrev_u32_e32 v0, s1, v0
	s_waitcnt vmcnt(8)
	v_mul_f64 v[16:17], v[16:17], v[10:11]
	s_waitcnt vmcnt(7)
	v_mul_f64 v[16:17], v[16:17], v[8:9]
	global_store_dwordx2 v[14:15], v[16:17], off
	global_load_dwordx2 v[16:17], v[20:21], off
	s_nop 0
	global_load_dwordx2 v[62:63], v[2:3], off
	global_load_dwordx2 v[54:55], v[2:3], off
	;; [unrolled: 1-line block ×3, first 2 shown]
	v_lshl_add_u64 v[14:15], s[6:7], 0, v[22:23]
	s_waitcnt vmcnt(3)
	v_mul_f64 v[16:17], v[16:17], v[6:7]
	v_mul_f64 v[16:17], v[8:9], v[16:17]
	global_store_dwordx2 v[20:21], v[16:17], off
	global_load_dwordx2 v[16:17], v[18:19], off
	s_nop 0
	global_load_dwordx2 v[70:71], v[14:15], off
	v_lshlrev_b64 v[20:21], 3, v[0:1]
	v_lshl_add_u64 v[36:37], s[4:5], 0, v[20:21]
	global_load_dwordx2 v[58:59], v[14:15], off
	global_load_dwordx2 v[46:47], v[14:15], off
	;; [unrolled: 1-line block ×3, first 2 shown]
	s_waitcnt vmcnt(4)
	v_mul_f64 v[16:17], v[6:7], v[16:17]
	s_waitcnt vmcnt(3)
	v_mul_f64 v[16:17], v[16:17], v[70:71]
	global_store_dwordx2 v[18:19], v[16:17], off
	global_load_dwordx2 v[16:17], v[36:37], off
	v_lshl_add_u64 v[18:19], s[6:7], 0, v[12:13]
	v_lshl_add_u64 v[12:13], s[4:5], 0, v[22:23]
	v_mad_u64_u32 v[22:23], s[2:3], s0, 3, v[0:1]
	v_mov_b32_e32 v23, v1
	v_add_u32_e32 v0, s0, v22
	s_waitcnt vmcnt(0)
	v_mul_f64 v[16:17], v[10:11], v[16:17]
	v_mul_f64 v[16:17], v[70:71], v[16:17]
	global_store_dwordx2 v[36:37], v[16:17], off
	global_load_dwordx2 v[16:17], v[12:13], off
	s_nop 0
	global_load_dwordx2 v[78:79], v[18:19], off
	global_load_dwordx2 v[66:67], v[18:19], off
	;; [unrolled: 1-line block ×4, first 2 shown]
	v_lshlrev_b64 v[36:37], 3, v[22:23]
	v_lshl_add_u64 v[42:43], s[4:5], 0, v[36:37]
	v_lshlrev_b64 v[22:23], 3, v[0:1]
	v_add_u32_e32 v0, s8, v0
	v_lshl_add_u64 v[50:51], s[4:5], 0, v[22:23]
	v_lshl_add_u64 v[48:49], v[0:1], 3, s[6:7]
	v_add_u32_e32 v0, s0, v0
	v_lshlrev_b64 v[76:77], 3, v[0:1]
	v_add_u32_e32 v0, s0, v0
	v_lshlrev_b64 v[60:61], 3, v[0:1]
	v_lshl_add_u64 v[84:85], s[4:5], 0, v[60:61]
	v_add_u32_e32 v0, s0, v0
	v_mad_u64_u32 v[86:87], s[2:3], s0, 7, v[0:1]
	v_mov_b32_e32 v87, v1
	v_lshlrev_b64 v[98:99], 3, v[86:87]
	v_lshl_add_u64 v[90:91], s[6:7], 0, v[98:99]
	v_lshl_add_u64 v[98:99], s[4:5], 0, v[98:99]
	s_waitcnt vmcnt(3)
	v_mul_f64 v[16:17], v[16:17], v[78:79]
	v_mul_f64 v[16:17], v[78:79], v[16:17]
	global_store_dwordx2 v[12:13], v[16:17], off
	global_load_dwordx2 v[12:13], v[42:43], off
	v_lshl_add_u64 v[16:17], s[6:7], 0, v[20:21]
	s_waitcnt vmcnt(0)
	v_mul_f64 v[12:13], v[78:79], v[12:13]
	v_mul_f64 v[12:13], v[70:71], v[12:13]
	global_store_dwordx2 v[42:43], v[12:13], off
	global_load_dwordx2 v[42:43], v[50:51], off
	s_nop 0
	global_load_dwordx2 v[74:75], v[48:49], off
	v_lshl_add_u64 v[12:13], s[6:7], 0, v[36:37]
	global_load_dwordx2 v[80:81], v[12:13], off
	global_load_dwordx2 v[64:65], v[48:49], off
	;; [unrolled: 1-line block ×4, first 2 shown]
	v_lshl_add_u64 v[36:37], s[4:5], 0, v[76:77]
	s_waitcnt vmcnt(5)
	v_mul_f64 v[42:43], v[78:79], v[42:43]
	s_waitcnt vmcnt(4)
	v_mul_f64 v[42:43], v[42:43], v[74:75]
	global_store_dwordx2 v[50:51], v[42:43], off
	global_load_dwordx2 v[72:73], v[36:37], off
	global_load_dwordx2 v[82:83], v[16:17], off
	;; [unrolled: 1-line block ×4, first 2 shown]
	s_nop 0
	global_load_dwordx2 v[42:43], v[12:13], off
	global_load_dwordx2 v[50:51], v[16:17], off
	s_nop 0
	global_load_dwordx2 v[16:17], v[16:17], off
	s_waitcnt vmcnt(6)
	v_mul_f64 v[72:73], v[72:73], v[80:81]
	s_waitcnt vmcnt(5)
	v_mul_f64 v[72:73], v[72:73], v[82:83]
	global_store_dwordx2 v[36:37], v[72:73], off
	global_load_dwordx2 v[36:37], v[84:85], off
	v_lshlrev_b64 v[72:73], 3, v[0:1]
	v_lshl_add_u64 v[88:89], s[4:5], 0, v[72:73]
	s_waitcnt vmcnt(0)
	v_mul_f64 v[36:37], v[80:81], v[36:37]
	v_mul_f64 v[36:37], v[70:71], v[36:37]
	global_store_dwordx2 v[84:85], v[36:37], off
	global_load_dwordx2 v[36:37], v[88:89], off
	s_waitcnt vmcnt(0)
	v_mul_f64 v[36:37], v[80:81], v[36:37]
	global_load_dwordx2 v[84:85], v[90:91], off
	s_waitcnt vmcnt(0)
	v_mul_f64 v[84:85], v[36:37], v[84:85]
	global_store_dwordx2 v[88:89], v[84:85], off
	v_mad_u64_u32 v[88:89], s[2:3], s0, -6, v[86:87]
	v_mov_b32_e32 v89, v1
	v_lshlrev_b64 v[86:87], 3, v[88:89]
	v_lshl_add_u64 v[36:37], s[6:7], 0, v[22:23]
	v_lshl_add_u64 v[92:93], s[4:5], 0, v[86:87]
	global_load_dwordx2 v[96:97], v[36:37], off
	global_load_dwordx2 v[84:85], v[36:37], off
	;; [unrolled: 1-line block ×3, first 2 shown]
	s_nop 0
	global_load_dwordx2 v[36:37], v[36:37], off
	v_add_u32_e32 v0, s0, v88
	global_load_dwordx2 v[94:95], v[92:93], off
	v_lshlrev_b64 v[100:101], 3, v[0:1]
	v_lshl_add_u64 v[88:89], s[4:5], 0, v[100:101]
	v_add_u32_e32 v0, s0, v0
	s_mul_i32 s2, s0, 0xffffffe9
	s_waitcnt vmcnt(0)
	v_mul_f64 v[94:95], v[94:95], v[96:97]
	global_store_dwordx2 v[92:93], v[94:95], off
	global_load_dwordx2 v[92:93], v[88:89], off
	v_lshlrev_b64 v[94:95], 3, v[0:1]
	v_add_u32_e32 v0, s0, v0
	s_waitcnt vmcnt(0)
	v_mul_f64 v[10:11], v[10:11], v[92:93]
	v_mul_f64 v[10:11], v[70:71], v[10:11]
	global_store_dwordx2 v[88:89], v[10:11], off
	v_lshl_add_u64 v[10:11], s[4:5], 0, v[94:95]
	global_load_dwordx2 v[88:89], v[10:11], off
	v_lshlrev_b64 v[92:93], 3, v[0:1]
	v_add_u32_e32 v0, s0, v0
	s_waitcnt vmcnt(0)
	v_mul_f64 v[88:89], v[82:83], v[88:89]
	v_mul_f64 v[88:89], v[78:79], v[88:89]
	global_store_dwordx2 v[10:11], v[88:89], off
	v_lshl_add_u64 v[10:11], s[4:5], 0, v[92:93]
	global_load_dwordx2 v[88:89], v[10:11], off
	s_waitcnt vmcnt(0)
	v_mul_f64 v[88:89], v[8:9], v[88:89]
	v_mul_f64 v[88:89], v[8:9], v[88:89]
	global_store_dwordx2 v[10:11], v[88:89], off
	v_lshlrev_b64 v[10:11], 3, v[0:1]
	v_lshl_add_u64 v[88:89], s[4:5], 0, v[10:11]
	global_load_dwordx2 v[102:103], v[88:89], off
	v_add_u32_e32 v0, s0, v0
	v_lshl_add_u64 v[10:11], s[6:7], 0, v[10:11]
	s_waitcnt vmcnt(0)
	v_mul_f64 v[102:103], v[8:9], v[102:103]
	v_mul_f64 v[102:103], v[82:83], v[102:103]
	global_store_dwordx2 v[88:89], v[102:103], off
	v_lshlrev_b64 v[88:89], 3, v[0:1]
	v_lshl_add_u64 v[102:103], s[4:5], 0, v[88:89]
	global_load_dwordx2 v[104:105], v[102:103], off
	v_add_u32_e32 v0, s1, v0
	s_waitcnt vmcnt(0)
	v_mul_f64 v[104:105], v[82:83], v[104:105]
	v_mul_f64 v[104:105], v[70:71], v[104:105]
	global_store_dwordx2 v[102:103], v[104:105], off
	global_load_dwordx2 v[102:103], v[98:99], off
	s_waitcnt vmcnt(0)
	v_mul_f64 v[102:103], v[82:83], v[102:103]
	v_mul_f64 v[102:103], v[96:97], v[102:103]
	global_store_dwordx2 v[98:99], v[102:103], off
	v_lshl_add_u64 v[98:99], v[0:1], 3, s[4:5]
	global_load_dwordx2 v[102:103], v[98:99], off
	v_add_u32_e32 v0, s0, v0
	s_waitcnt vmcnt(0)
	v_mul_f64 v[82:83], v[82:83], v[102:103]
	v_mul_f64 v[82:83], v[96:97], v[82:83]
	global_store_dwordx2 v[98:99], v[82:83], off
	v_lshl_add_u64 v[82:83], v[0:1], 3, s[4:5]
	global_load_dwordx2 v[96:97], v[82:83], off
	v_add_u32_e32 v0, s0, v0
	;; [unrolled: 7-line block ×7, first 2 shown]
	v_lshl_add_u64 v[8:9], s[6:7], 0, v[76:77]
	v_lshl_add_u64 v[76:77], v[0:1], 3, s[4:5]
	v_add_u32_e32 v0, s0, v0
	s_waitcnt vmcnt(0)
	v_mul_f64 v[74:75], v[74:75], v[78:79]
	v_mul_f64 v[6:7], v[6:7], v[74:75]
	global_store_dwordx2 v[70:71], v[6:7], off
	global_load_dwordx2 v[6:7], v[76:77], off
	s_nop 0
	global_load_dwordx2 v[102:103], v[8:9], off
	global_load_dwordx2 v[98:99], v[8:9], off
	global_load_dwordx2 v[82:83], v[8:9], off
	global_load_dwordx2 v[78:79], v[8:9], off
	s_waitcnt vmcnt(3)
	v_mul_f64 v[6:7], v[6:7], v[102:103]
	global_store_dwordx2 v[76:77], v[6:7], off
	v_lshl_add_u64 v[6:7], v[0:1], 3, s[4:5]
	global_load_dwordx2 v[70:71], v[6:7], off
	v_add_u32_e32 v0, s0, v0
	s_waitcnt vmcnt(0)
	v_mul_f64 v[70:71], v[70:71], v[64:65]
	v_mul_f64 v[70:71], v[70:71], v[32:33]
	global_store_dwordx2 v[6:7], v[70:71], off
	v_lshl_add_u64 v[6:7], v[0:1], 3, s[4:5]
	global_load_dwordx2 v[70:71], v[6:7], off
	v_add_u32_e32 v0, s0, v0
	s_waitcnt vmcnt(0)
	v_mul_f64 v[70:71], v[70:71], v[64:65]
	v_mul_f64 v[70:71], v[70:71], v[24:25]
	global_store_dwordx2 v[6:7], v[70:71], off
	v_lshl_add_u64 v[6:7], v[0:1], 3, s[4:5]
	v_add_u32_e32 v0, s2, v0
	v_lshl_add_u64 v[70:71], v[0:1], 3, s[6:7]
	global_load_dwordx2 v[76:77], v[6:7], off
	global_load_dwordx2 v[104:105], v[70:71], off
	;; [unrolled: 1-line block ×5, first 2 shown]
	s_waitcnt vmcnt(3)
	v_mul_f64 v[76:77], v[76:77], v[104:105]
	v_mul_f64 v[76:77], v[76:77], v[62:63]
	global_store_dwordx2 v[6:7], v[76:77], off
	v_mad_u64_u32 v[6:7], s[2:3], s0, 24, v[0:1]
	v_mov_b32_e32 v7, v1
	v_lshl_add_u64 v[76:77], v[6:7], 3, s[4:5]
	global_load_dwordx2 v[106:107], v[76:77], off
	v_add_u32_e32 v0, s0, v6
	v_lshl_add_u64 v[6:7], v[0:1], 3, s[4:5]
	v_add_u32_e32 v0, s0, v0
	s_mul_i32 s2, s0, 0xffffffd9
	s_waitcnt vmcnt(0)
	v_mul_f64 v[106:107], v[106:107], v[62:63]
	global_store_dwordx2 v[76:77], v[106:107], off
	global_load_dwordx2 v[76:77], v[6:7], off
	s_waitcnt vmcnt(0)
	v_mul_f64 v[76:77], v[76:77], v[62:63]
	global_store_dwordx2 v[6:7], v[76:77], off
	v_lshl_add_u64 v[6:7], v[0:1], 3, s[4:5]
	global_load_dwordx2 v[76:77], v[6:7], off
	v_add_u32_e32 v0, s0, v0
	s_waitcnt vmcnt(0)
	v_mul_f64 v[76:77], v[76:77], v[102:103]
	v_mul_f64 v[76:77], v[76:77], v[62:63]
	global_store_dwordx2 v[6:7], v[76:77], off
	v_lshl_add_u64 v[6:7], v[0:1], 3, s[4:5]
	global_load_dwordx2 v[76:77], v[6:7], off
	v_add_u32_e32 v0, s0, v0
	v_lshl_add_u64 v[106:107], v[0:1], 3, s[4:5]
	v_add_u32_e32 v0, s0, v0
	v_lshl_add_u64 v[108:109], v[0:1], 3, s[4:5]
	;; [unrolled: 2-line block ×9, first 2 shown]
	v_add_u32_e32 v0, s2, v0
	s_waitcnt vmcnt(0)
	v_mul_f64 v[32:33], v[76:77], v[32:33]
	global_store_dwordx2 v[6:7], v[32:33], off
	v_lshl_add_u64 v[32:33], s[6:7], 0, v[100:101]
	v_lshl_add_u64 v[6:7], v[0:1], 3, s[6:7]
	global_load_dwordx2 v[124:125], v[32:33], off
	global_load_dwordx2 v[100:101], v[6:7], off
	;; [unrolled: 1-line block ×3, first 2 shown]
	s_nop 0
	global_load_dwordx2 v[32:33], v[106:107], off
	s_waitcnt vmcnt(0)
	v_mul_f64 v[32:33], v[32:33], v[124:125]
	global_store_dwordx2 v[106:107], v[32:33], off
	global_load_dwordx2 v[32:33], v[108:109], off
	s_waitcnt vmcnt(0)
	v_mul_f64 v[32:33], v[32:33], v[104:105]
	global_store_dwordx2 v[108:109], v[32:33], off
	global_load_dwordx2 v[32:33], v[110:111], off
	s_waitcnt vmcnt(0)
	v_mul_f64 v[32:33], v[32:33], v[102:103]
	global_store_dwordx2 v[110:111], v[32:33], off
	global_load_dwordx2 v[32:33], v[112:113], off
	s_waitcnt vmcnt(0)
	v_mul_f64 v[32:33], v[32:33], v[104:105]
	v_mul_f64 v[32:33], v[32:33], v[66:67]
	global_store_dwordx2 v[112:113], v[32:33], off
	global_load_dwordx2 v[32:33], v[114:115], off
	s_waitcnt vmcnt(0)
	v_mul_f64 v[32:33], v[32:33], v[104:105]
	v_mul_f64 v[24:25], v[32:33], v[24:25]
	global_store_dwordx2 v[114:115], v[24:25], off
	;; [unrolled: 5-line block ×5, first 2 shown]
	global_load_dwordx2 v[24:25], v[6:7], off
	s_nop 0
	global_load_dwordx2 v[32:33], v[122:123], off
	s_waitcnt vmcnt(0)
	v_mul_f64 v[32:33], v[32:33], v[24:25]
	global_store_dwordx2 v[122:123], v[32:33], off
	v_mad_u64_u32 v[32:33], s[2:3], s0, 40, v[0:1]
	v_mov_b32_e32 v33, v1
	v_lshl_add_u64 v[62:63], v[32:33], 3, s[4:5]
	global_load_dwordx2 v[66:67], v[62:63], off
	v_add_u32_e32 v0, s0, v32
	s_mul_i32 s2, s0, 0xffffffbc
	s_waitcnt vmcnt(0)
	v_mul_f64 v[66:67], v[66:67], v[54:55]
	v_mul_f64 v[24:25], v[66:67], v[24:25]
	global_store_dwordx2 v[62:63], v[24:25], off
	v_lshl_add_u64 v[24:25], v[0:1], 3, s[4:5]
	global_load_dwordx2 v[32:33], v[24:25], off
	v_add_u32_e32 v0, s0, v0
	s_waitcnt vmcnt(0)
	v_mul_f64 v[32:33], v[32:33], v[54:55]
	global_store_dwordx2 v[24:25], v[32:33], off
	v_lshl_add_u64 v[24:25], v[0:1], 3, s[4:5]
	global_load_dwordx2 v[32:33], v[24:25], off
	v_add_u32_e32 v0, s0, v0
	s_waitcnt vmcnt(0)
	;; [unrolled: 6-line block ×3, first 2 shown]
	v_mul_f64 v[32:33], v[32:33], v[64:65]
	v_mul_f64 v[32:33], v[32:33], v[54:55]
	;; [unrolled: 1-line block ×3, first 2 shown]
	global_store_dwordx2 v[24:25], v[32:33], off
	v_lshl_add_u64 v[24:25], v[0:1], 3, s[4:5]
	global_load_dwordx2 v[32:33], v[24:25], off
	v_add_u32_e32 v0, s0, v0
	s_waitcnt vmcnt(0)
	v_mul_f64 v[32:33], v[32:33], v[98:99]
	v_mul_f64 v[32:33], v[32:33], v[54:55]
	global_store_dwordx2 v[24:25], v[32:33], off
	v_lshl_add_u64 v[24:25], v[0:1], 3, s[4:5]
	global_load_dwordx2 v[32:33], v[24:25], off
	v_add_u32_e32 v0, s0, v0
	s_waitcnt vmcnt(0)
	v_mul_f64 v[32:33], v[32:33], v[58:59]
	global_store_dwordx2 v[24:25], v[32:33], off
	v_lshl_add_u64 v[24:25], v[0:1], 3, s[4:5]
	global_load_dwordx2 v[58:59], v[24:25], off
	v_add_u32_e32 v0, s0, v0
	v_lshl_add_u64 v[64:65], v[0:1], 3, s[4:5]
	v_lshl_add_u64 v[32:33], s[6:7], 0, v[94:95]
	v_add_u32_e32 v0, s0, v0
	s_waitcnt vmcnt(0)
	v_mul_f64 v[58:59], v[58:59], v[98:99]
	v_mul_f64 v[26:27], v[58:59], v[26:27]
	global_store_dwordx2 v[24:25], v[26:27], off
	global_load_dwordx2 v[24:25], v[64:65], off
	s_nop 0
	global_load_dwordx2 v[26:27], v[32:33], off
	global_load_dwordx2 v[66:67], v[32:33], off
	;; [unrolled: 1-line block ×4, first 2 shown]
	s_waitcnt vmcnt(3)
	v_mul_f64 v[24:25], v[24:25], v[26:27]
	global_store_dwordx2 v[64:65], v[24:25], off
	v_lshl_add_u64 v[24:25], s[6:7], 0, v[60:61]
	global_load_dwordx2 v[64:65], v[24:25], off
	global_load_dwordx2 v[60:61], v[24:25], off
	;; [unrolled: 1-line block ×3, first 2 shown]
	v_lshl_add_u64 v[24:25], v[0:1], 3, s[4:5]
	global_load_dwordx2 v[68:69], v[24:25], off
	v_add_u32_e32 v0, s0, v0
	s_waitcnt vmcnt(0)
	v_mul_f64 v[68:69], v[68:69], v[64:65]
	v_mul_f64 v[68:69], v[68:69], v[54:55]
	global_store_dwordx2 v[24:25], v[68:69], off
	v_lshl_add_u64 v[24:25], v[0:1], 3, s[4:5]
	global_load_dwordx2 v[68:69], v[24:25], off
	v_add_u32_e32 v0, s0, v0
	s_waitcnt vmcnt(0)
	v_mul_f64 v[64:65], v[68:69], v[64:65]
	v_mul_f64 v[64:65], v[64:65], v[52:53]
	global_store_dwordx2 v[24:25], v[64:65], off
	v_lshl_add_u64 v[64:65], v[0:1], 3, s[4:5]
	global_load_dwordx2 v[24:25], v[90:91], off
	global_load_dwordx2 v[68:69], v[64:65], off
	v_add_u32_e32 v0, s0, v0
	s_waitcnt vmcnt(0)
	v_mul_f64 v[24:25], v[68:69], v[24:25]
	global_store_dwordx2 v[64:65], v[24:25], off
	v_lshl_add_u64 v[24:25], v[0:1], 3, s[4:5]
	global_load_dwordx2 v[64:65], v[24:25], off
	v_add_u32_e32 v0, s0, v0
	s_waitcnt vmcnt(0)
	v_mul_f64 v[64:65], v[64:65], v[52:53]
	global_store_dwordx2 v[24:25], v[64:65], off
	v_lshl_add_u64 v[24:25], v[0:1], 3, s[4:5]
	global_load_dwordx2 v[64:65], v[24:25], off
	v_add_u32_e32 v0, s0, v0
	s_waitcnt vmcnt(0)
	v_mul_f64 v[64:65], v[64:65], v[96:97]
	v_mul_f64 v[64:65], v[64:65], v[52:53]
	global_store_dwordx2 v[24:25], v[64:65], off
	v_lshl_add_u64 v[24:25], v[0:1], 3, s[4:5]
	global_load_dwordx2 v[64:65], v[24:25], off
	v_add_u32_e32 v0, s0, v0
	s_waitcnt vmcnt(0)
	v_mul_f64 v[64:65], v[64:65], v[54:55]
	global_store_dwordx2 v[24:25], v[64:65], off
	v_lshl_add_u64 v[24:25], v[0:1], 3, s[4:5]
	global_load_dwordx2 v[64:65], v[24:25], off
	v_add_u32_e32 v0, s0, v0
	s_waitcnt vmcnt(0)
	v_mul_f64 v[64:65], v[64:65], v[98:99]
	v_mul_f64 v[64:65], v[64:65], v[54:55]
	global_store_dwordx2 v[24:25], v[64:65], off
	v_lshl_add_u64 v[24:25], v[0:1], 3, s[4:5]
	global_load_dwordx2 v[64:65], v[24:25], off
	v_add_u32_e32 v0, s0, v0
	s_waitcnt vmcnt(0)
	v_mul_f64 v[64:65], v[64:65], v[100:101]
	v_mul_f64 v[64:65], v[64:65], v[54:55]
	global_store_dwordx2 v[24:25], v[64:65], off
	v_lshl_add_u64 v[24:25], v[0:1], 3, s[4:5]
	global_load_dwordx2 v[64:65], v[24:25], off
	v_add_u32_e32 v0, s0, v0
	s_waitcnt vmcnt(0)
	v_mul_f64 v[54:55], v[64:65], v[54:55]
	v_mul_f64 v[54:55], v[54:55], v[28:29]
	v_mul_f64 v[54:55], v[54:55], v[96:97]
	v_lshl_add_u64 v[64:65], v[0:1], 3, s[4:5]
	global_store_dwordx2 v[24:25], v[54:55], off
	global_load_dwordx2 v[24:25], v[64:65], off
	v_add_u32_e32 v0, s0, v0
	v_lshl_add_u64 v[54:55], v[0:1], 3, s[4:5]
	v_add_u32_e32 v0, s0, v0
	s_waitcnt vmcnt(0)
	v_mul_f64 v[24:25], v[24:25], v[96:97]
	v_mul_f64 v[24:25], v[24:25], v[46:47]
	global_store_dwordx2 v[64:65], v[24:25], off
	global_load_dwordx2 v[24:25], v[54:55], off
	v_lshl_add_u64 v[64:65], v[0:1], 3, s[4:5]
	v_add_u32_e32 v0, s0, v0
	s_waitcnt vmcnt(0)
	v_mul_f64 v[24:25], v[24:25], v[46:47]
	global_store_dwordx2 v[54:55], v[24:25], off
	global_load_dwordx2 v[24:25], v[64:65], off
	v_lshl_add_u64 v[54:55], v[0:1], 3, s[4:5]
	v_add_u32_e32 v0, s0, v0
	s_waitcnt vmcnt(0)
	;; [unrolled: 6-line block ×3, first 2 shown]
	v_mul_f64 v[24:25], v[24:25], v[56:57]
	global_store_dwordx2 v[54:55], v[24:25], off
	global_load_dwordx2 v[24:25], v[64:65], off
	v_lshl_add_u64 v[54:55], v[0:1], 3, s[4:5]
	v_add_u32_e32 v0, s0, v0
	v_lshl_add_u64 v[56:57], v[0:1], 3, s[4:5]
	v_add_u32_e32 v0, s0, v0
	s_waitcnt vmcnt(0)
	v_mul_f64 v[24:25], v[24:25], v[82:83]
	v_mul_f64 v[24:25], v[24:25], v[96:97]
	global_store_dwordx2 v[64:65], v[24:25], off
	global_load_dwordx2 v[24:25], v[54:55], off
	s_waitcnt vmcnt(0)
	v_mul_f64 v[24:25], v[24:25], v[52:53]
	global_store_dwordx2 v[54:55], v[24:25], off
	global_load_dwordx2 v[24:25], v[56:57], off
	v_lshl_add_u64 v[52:53], v[0:1], 3, s[4:5]
	v_add_u32_e32 v0, s0, v0
	s_waitcnt vmcnt(0)
	v_mul_f64 v[24:25], v[24:25], v[28:29]
	global_store_dwordx2 v[56:57], v[24:25], off
	global_load_dwordx2 v[24:25], v[52:53], off
	v_lshl_add_u64 v[28:29], v[0:1], 3, s[4:5]
	v_add_u32_e32 v0, s0, v0
	;; [unrolled: 6-line block ×5, first 2 shown]
	v_lshl_add_u64 v[54:55], v[0:1], 3, s[6:7]
	global_load_dwordx2 v[56:57], v[54:55], off
	s_mul_i32 s2, s0, 0x45
	v_add_u32_e32 v0, s2, v0
	s_waitcnt vmcnt(1)
	v_mul_f64 v[24:25], v[24:25], v[66:67]
	v_mul_f64 v[24:25], v[24:25], v[44:45]
	global_store_dwordx2 v[28:29], v[24:25], off
	global_load_dwordx2 v[24:25], v[52:53], off
	v_lshl_add_u64 v[28:29], v[0:1], 3, s[4:5]
	v_add_u32_e32 v0, s0, v0
	v_lshl_add_u64 v[66:67], s[6:7], 0, v[72:73]
	s_waitcnt vmcnt(0)
	v_mul_f64 v[24:25], v[24:25], v[56:57]
	global_store_dwordx2 v[52:53], v[24:25], off
	global_load_dwordx2 v[24:25], v[28:29], off
	v_lshl_add_u64 v[52:53], v[0:1], 3, s[4:5]
	v_add_u32_e32 v0, s0, v0
	s_waitcnt vmcnt(0)
	v_mul_f64 v[24:25], v[24:25], v[82:83]
	v_mul_f64 v[24:25], v[24:25], v[44:45]
	global_store_dwordx2 v[28:29], v[24:25], off
	global_load_dwordx2 v[24:25], v[52:53], off
	v_lshl_add_u64 v[28:29], v[0:1], 3, s[4:5]
	v_add_u32_e32 v0, s0, v0
	s_waitcnt vmcnt(0)
	v_mul_f64 v[24:25], v[24:25], v[46:47]
	global_store_dwordx2 v[52:53], v[24:25], off
	global_load_dwordx2 v[24:25], v[28:29], off
	v_lshl_add_u64 v[52:53], v[0:1], 3, s[4:5]
	v_add_u32_e32 v0, s0, v0
	s_waitcnt vmcnt(0)
	v_mul_f64 v[24:25], v[24:25], v[46:47]
	global_store_dwordx2 v[28:29], v[24:25], off
	global_load_dwordx2 v[24:25], v[52:53], off
	v_lshl_add_u64 v[28:29], v[0:1], 3, s[4:5]
	v_add_u32_e32 v0, s0, v0
	v_lshl_add_u64 v[64:65], v[0:1], 3, s[4:5]
	v_add_u32_e32 v0, s0, v0
	s_waitcnt vmcnt(0)
	v_mul_f64 v[24:25], v[24:25], v[30:31]
	global_store_dwordx2 v[52:53], v[24:25], off
	global_load_dwordx2 v[24:25], v[28:29], off
	s_nop 0
	global_load_dwordx2 v[30:31], v[4:5], off
	global_load_dwordx2 v[84:85], v[4:5], off
	;; [unrolled: 1-line block ×4, first 2 shown]
	s_waitcnt vmcnt(3)
	v_mul_f64 v[24:25], v[24:25], v[30:31]
	v_mul_f64 v[24:25], v[24:25], v[82:83]
	global_store_dwordx2 v[28:29], v[24:25], off
	global_load_dwordx2 v[24:25], v[64:65], off
	v_lshl_add_u64 v[28:29], v[0:1], 3, s[4:5]
	v_add_u32_e32 v0, s0, v0
	s_waitcnt vmcnt(0)
	v_mul_f64 v[24:25], v[24:25], v[56:57]
	v_mul_f64 v[24:25], v[24:25], v[50:51]
	global_store_dwordx2 v[64:65], v[24:25], off
	global_load_dwordx2 v[24:25], v[28:29], off
	v_lshl_add_u64 v[50:51], v[0:1], 3, s[4:5]
	v_add_u32_e32 v0, s0, v0
	v_lshl_add_u64 v[64:65], s[6:7], 0, v[88:89]
	s_waitcnt vmcnt(0)
	v_mul_f64 v[24:25], v[24:25], v[30:31]
	global_store_dwordx2 v[28:29], v[24:25], off
	global_load_dwordx2 v[24:25], v[50:51], off
	v_lshl_add_u64 v[28:29], v[0:1], 3, s[4:5]
	v_add_u32_e32 v0, s0, v0
	v_lshl_add_u64 v[30:31], v[0:1], 3, s[4:5]
	v_add_u32_e32 v0, s0, v0
	s_waitcnt vmcnt(0)
	v_mul_f64 v[24:25], v[24:25], v[56:57]
	v_mul_f64 v[24:25], v[24:25], v[48:49]
	global_store_dwordx2 v[50:51], v[24:25], off
	global_load_dwordx2 v[24:25], v[28:29], off
	v_lshl_add_u64 v[50:51], v[0:1], 3, s[4:5]
	v_add_u32_e32 v0, s0, v0
	s_waitcnt vmcnt(0)
	v_mul_f64 v[24:25], v[24:25], v[44:45]
	global_store_dwordx2 v[28:29], v[24:25], off
	global_load_dwordx2 v[24:25], v[30:31], off
	v_lshl_add_u64 v[28:29], s[6:7], 0, v[92:93]
	global_load_dwordx2 v[48:49], v[28:29], off
	s_waitcnt vmcnt(1)
	v_mul_f64 v[24:25], v[24:25], v[56:57]
	v_mul_f64 v[24:25], v[24:25], v[80:81]
	global_store_dwordx2 v[30:31], v[24:25], off
	global_load_dwordx2 v[24:25], v[50:51], off
	s_nop 0
	global_load_dwordx2 v[82:83], v[66:67], off
	global_load_dwordx2 v[44:45], v[28:29], off
	v_lshl_add_u64 v[28:29], v[0:1], 3, s[4:5]
	v_add_u32_e32 v0, s0, v0
	s_waitcnt vmcnt(2)
	v_mul_f64 v[24:25], v[24:25], v[48:49]
	global_store_dwordx2 v[50:51], v[24:25], off
	global_load_dwordx2 v[24:25], v[28:29], off
	s_nop 0
	global_load_dwordx2 v[30:31], v[66:67], off
	v_lshl_add_u64 v[50:51], v[0:1], 3, s[4:5]
	v_add_u32_e32 v0, s0, v0
	s_waitcnt vmcnt(1)
	v_mul_f64 v[24:25], v[24:25], v[56:57]
	global_store_dwordx2 v[28:29], v[24:25], off
	global_load_dwordx2 v[24:25], v[50:51], off
	s_nop 0
	global_load_dwordx2 v[72:73], v[2:3], off
	global_load_dwordx2 v[68:69], v[2:3], off
	;; [unrolled: 1-line block ×4, first 2 shown]
	v_lshl_add_u64 v[28:29], v[0:1], 3, s[4:5]
	v_add_u32_e32 v0, s0, v0
	v_lshl_add_u64 v[90:91], v[0:1], 3, s[4:5]
	v_add_u32_e32 v0, s0, v0
	s_waitcnt vmcnt(4)
	v_mul_f64 v[24:25], v[24:25], v[30:31]
	s_waitcnt vmcnt(3)
	v_mul_f64 v[24:25], v[24:25], v[72:73]
	global_store_dwordx2 v[50:51], v[24:25], off
	global_load_dwordx2 v[24:25], v[28:29], off
	v_lshl_add_u64 v[50:51], s[6:7], 0, v[86:87]
	global_load_dwordx2 v[86:87], v[50:51], off
	s_waitcnt vmcnt(1)
	v_mul_f64 v[24:25], v[24:25], v[30:31]
	v_mul_f64 v[24:25], v[24:25], v[72:73]
	global_store_dwordx2 v[28:29], v[24:25], off
	global_load_dwordx2 v[92:93], v[90:91], off
	s_nop 0
	global_load_dwordx2 v[24:25], v[64:65], off
	global_load_dwordx2 v[28:29], v[50:51], off
	v_lshl_add_u64 v[50:51], v[0:1], 3, s[4:5]
	v_add_u32_e32 v0, s0, v0
	v_lshl_add_u64 v[88:89], v[0:1], 3, s[4:5]
	v_add_u32_e32 v0, s0, v0
	s_waitcnt vmcnt(2)
	v_mul_f64 v[86:87], v[92:93], v[86:87]
	global_store_dwordx2 v[90:91], v[86:87], off
	global_load_dwordx2 v[86:87], v[50:51], off
	s_waitcnt vmcnt(0)
	v_mul_f64 v[72:73], v[86:87], v[72:73]
	global_store_dwordx2 v[50:51], v[72:73], off
	global_load_dwordx2 v[50:51], v[88:89], off
	v_lshl_add_u64 v[72:73], v[0:1], 3, s[4:5]
	v_add_u32_e32 v0, s0, v0
	s_waitcnt vmcnt(0)
	v_mul_f64 v[30:31], v[50:51], v[30:31]
	v_mul_f64 v[30:31], v[30:31], v[80:81]
	global_store_dwordx2 v[88:89], v[30:31], off
	global_load_dwordx2 v[30:31], v[72:73], off
	v_lshl_add_u64 v[80:81], v[0:1], 3, s[4:5]
	v_add_u32_e32 v0, s0, v0
	v_lshl_add_u64 v[90:91], v[0:1], 3, s[4:5]
	v_add_u32_e32 v0, s0, v0
	s_waitcnt vmcnt(0)
	v_mul_f64 v[30:31], v[30:31], v[78:79]
	v_mul_f64 v[30:31], v[30:31], v[40:41]
	global_store_dwordx2 v[72:73], v[30:31], off
	global_load_dwordx2 v[86:87], v[80:81], off
	global_load_dwordx2 v[88:89], v[6:7], off
	s_nop 0
	global_load_dwordx2 v[72:73], v[6:7], off
	global_load_dwordx2 v[50:51], v[6:7], off
	;; [unrolled: 1-line block ×3, first 2 shown]
	s_waitcnt vmcnt(3)
	v_mul_f64 v[86:87], v[86:87], v[88:89]
	v_mul_f64 v[86:87], v[86:87], v[84:85]
	global_store_dwordx2 v[80:81], v[86:87], off
	global_load_dwordx2 v[80:81], v[90:91], off
	v_lshl_add_u64 v[86:87], v[0:1], 3, s[4:5]
	v_add_u32_e32 v0, s0, v0
	s_waitcnt vmcnt(0)
	v_mul_f64 v[80:81], v[80:81], v[38:39]
	global_store_dwordx2 v[90:91], v[80:81], off
	global_load_dwordx2 v[80:81], v[86:87], off
	v_lshl_add_u64 v[90:91], v[0:1], 3, s[4:5]
	v_add_u32_e32 v0, s0, v0
	s_waitcnt vmcnt(0)
	v_mul_f64 v[80:81], v[80:81], v[78:79]
	v_mul_f64 v[80:81], v[80:81], v[84:85]
	global_store_dwordx2 v[86:87], v[80:81], off
	global_load_dwordx2 v[80:81], v[90:91], off
	v_lshl_add_u64 v[86:87], v[0:1], 3, s[4:5]
	v_add_u32_e32 v0, s0, v0
	s_waitcnt vmcnt(0)
	v_mul_f64 v[80:81], v[80:81], v[78:79]
	;; [unrolled: 7-line block ×6, first 2 shown]
	v_mul_f64 v[38:39], v[40:41], v[38:39]
	global_store_dwordx2 v[42:43], v[38:39], off
	global_load_dwordx2 v[38:39], v[78:79], off
	v_lshl_add_u64 v[40:41], v[0:1], 3, s[4:5]
	v_add_u32_e32 v0, s0, v0
	v_lshl_add_u64 v[42:43], v[0:1], 3, s[4:5]
	v_add_u32_e32 v0, s0, v0
	s_waitcnt vmcnt(0)
	v_mul_f64 v[38:39], v[38:39], v[82:83]
	v_mul_f64 v[38:39], v[38:39], v[68:69]
	global_store_dwordx2 v[78:79], v[38:39], off
	global_load_dwordx2 v[38:39], v[40:41], off
	s_waitcnt vmcnt(0)
	v_mul_f64 v[38:39], v[38:39], v[88:89]
	v_mul_f64 v[38:39], v[88:89], v[38:39]
	global_store_dwordx2 v[40:41], v[38:39], off
	global_load_dwordx2 v[38:39], v[42:43], off
	v_lshl_add_u64 v[40:41], v[0:1], 3, s[4:5]
	v_add_u32_e32 v0, s0, v0
	s_waitcnt vmcnt(0)
	v_mul_f64 v[38:39], v[38:39], v[88:89]
	v_mul_f64 v[38:39], v[88:89], v[38:39]
	global_store_dwordx2 v[42:43], v[38:39], off
	global_load_dwordx2 v[38:39], v[40:41], off
	v_lshl_add_u64 v[42:43], v[0:1], 3, s[4:5]
	v_add_u32_e32 v0, s0, v0
	s_waitcnt vmcnt(0)
	v_mul_f64 v[38:39], v[38:39], v[74:75]
	global_store_dwordx2 v[40:41], v[38:39], off
	global_load_dwordx2 v[38:39], v[42:43], off
	v_lshl_add_u64 v[40:41], v[0:1], 3, s[4:5]
	v_add_u32_e32 v0, s0, v0
	s_waitcnt vmcnt(0)
	v_mul_f64 v[38:39], v[38:39], v[68:69]
	v_mul_f64 v[38:39], v[38:39], v[74:75]
	v_mul_f64 v[38:39], v[74:75], v[38:39]
	global_store_dwordx2 v[42:43], v[38:39], off
	global_load_dwordx2 v[38:39], v[40:41], off
	v_lshl_add_u64 v[42:43], v[0:1], 3, s[4:5]
	v_add_u32_e32 v0, s0, v0
	s_waitcnt vmcnt(0)
	v_mul_f64 v[38:39], v[38:39], v[84:85]
	v_mul_f64 v[38:39], v[38:39], v[74:75]
	;; [unrolled: 8-line block ×3, first 2 shown]
	global_store_dwordx2 v[42:43], v[38:39], off
	global_load_dwordx2 v[38:39], v[40:41], off
	v_lshl_add_u64 v[42:43], v[0:1], 3, s[4:5]
	v_add_u32_e32 v0, s1, v0
	s_waitcnt vmcnt(0)
	v_mul_f64 v[38:39], v[38:39], v[74:75]
	global_store_dwordx2 v[40:41], v[38:39], off
	global_load_dwordx2 v[38:39], v[42:43], off
	v_lshl_add_u64 v[40:41], v[0:1], 3, s[4:5]
	v_add_u32_e32 v0, s0, v0
	s_waitcnt vmcnt(0)
	v_mul_f64 v[38:39], v[38:39], v[60:61]
	v_mul_f64 v[38:39], v[38:39], v[74:75]
	;; [unrolled: 1-line block ×3, first 2 shown]
	global_store_dwordx2 v[42:43], v[38:39], off
	global_load_dwordx2 v[38:39], v[40:41], off
	v_lshl_add_u64 v[42:43], v[0:1], 3, s[4:5]
	v_add_u32_e32 v0, s0, v0
	s_waitcnt vmcnt(0)
	v_mul_f64 v[38:39], v[38:39], v[60:61]
	v_mul_f64 v[38:39], v[38:39], v[68:69]
	global_store_dwordx2 v[40:41], v[38:39], off
	global_load_dwordx2 v[38:39], v[42:43], off
	v_lshl_add_u64 v[40:41], v[0:1], 3, s[4:5]
	v_add_u32_e32 v0, s0, v0
	s_waitcnt vmcnt(0)
	v_mul_f64 v[38:39], v[38:39], v[76:77]
	v_mul_f64 v[38:39], v[38:39], v[68:69]
	global_store_dwordx2 v[42:43], v[38:39], off
	global_load_dwordx2 v[38:39], v[40:41], off
	v_lshl_add_u64 v[42:43], v[0:1], 3, s[4:5]
	v_add_u32_e32 v0, s0, v0
	s_waitcnt vmcnt(0)
	v_mul_f64 v[38:39], v[38:39], v[74:75]
	global_store_dwordx2 v[40:41], v[38:39], off
	global_load_dwordx2 v[38:39], v[42:43], off
	v_lshl_add_u64 v[40:41], v[0:1], 3, s[4:5]
	v_add_u32_e32 v0, s0, v0
	s_waitcnt vmcnt(0)
	v_mul_f64 v[38:39], v[38:39], v[62:63]
	v_mul_f64 v[38:39], v[38:39], v[68:69]
	global_store_dwordx2 v[42:43], v[38:39], off
	global_load_dwordx2 v[38:39], v[40:41], off
	v_lshl_add_u64 v[42:43], v[0:1], 3, s[4:5]
	v_add_u32_e32 v0, s1, v0
	s_waitcnt vmcnt(0)
	v_mul_f64 v[38:39], v[38:39], v[72:73]
	v_mul_f64 v[38:39], v[38:39], v[74:75]
	global_store_dwordx2 v[40:41], v[38:39], off
	global_load_dwordx2 v[38:39], v[42:43], off
	v_lshl_add_u64 v[40:41], v[0:1], 3, s[4:5]
	v_add_u32_e32 v0, s0, v0
	s_waitcnt vmcnt(0)
	v_mul_f64 v[38:39], v[38:39], v[74:75]
	global_store_dwordx2 v[42:43], v[38:39], off
	global_load_dwordx2 v[38:39], v[40:41], off
	v_lshl_add_u64 v[42:43], v[0:1], 3, s[4:5]
	v_add_u32_e32 v0, s0, v0
	s_waitcnt vmcnt(0)
	v_mul_f64 v[38:39], v[38:39], v[60:61]
	v_mul_f64 v[38:39], v[38:39], v[68:69]
	global_store_dwordx2 v[40:41], v[38:39], off
	global_load_dwordx2 v[38:39], v[42:43], off
	v_lshl_add_u64 v[40:41], v[0:1], 3, s[4:5]
	v_add_u32_e32 v0, s0, v0
	s_waitcnt vmcnt(0)
	v_mul_f64 v[38:39], v[38:39], v[74:75]
	global_store_dwordx2 v[42:43], v[38:39], off
	global_load_dwordx2 v[38:39], v[40:41], off
	v_lshl_add_u64 v[42:43], v[0:1], 3, s[4:5]
	v_add_u32_e32 v0, s1, v0
	v_lshl_add_u64 v[60:61], v[0:1], 3, s[4:5]
	v_add_u32_e32 v0, s0, v0
	s_waitcnt vmcnt(0)
	v_mul_f64 v[38:39], v[38:39], v[62:63]
	v_mul_f64 v[38:39], v[38:39], v[68:69]
	global_store_dwordx2 v[40:41], v[38:39], off
	global_load_dwordx2 v[38:39], v[42:43], off
	v_lshl_add_u64 v[68:69], v[0:1], 3, s[4:5]
	v_add_u32_e32 v0, s0, v0
	s_waitcnt vmcnt(0)
	v_mul_f64 v[38:39], v[38:39], v[20:21]
	global_store_dwordx2 v[42:43], v[38:39], off
	global_load_dwordx2 v[38:39], v[60:61], off
	s_nop 0
	global_load_dwordx2 v[42:43], v[18:19], off
	global_load_dwordx2 v[62:63], v[18:19], off
	;; [unrolled: 1-line block ×3, first 2 shown]
	s_nop 0
	global_load_dwordx2 v[18:19], v[18:19], off
	s_waitcnt vmcnt(4)
	v_mul_f64 v[38:39], v[38:39], v[76:77]
	s_waitcnt vmcnt(3)
	v_mul_f64 v[38:39], v[38:39], v[42:43]
	global_store_dwordx2 v[60:61], v[38:39], off
	global_load_dwordx2 v[38:39], v[68:69], off
	v_lshl_add_u64 v[60:61], v[0:1], 3, s[4:5]
	v_add_u32_e32 v0, s0, v0
	s_waitcnt vmcnt(0)
	v_mul_f64 v[38:39], v[38:39], v[72:73]
	v_mul_f64 v[38:39], v[38:39], v[74:75]
	global_store_dwordx2 v[68:69], v[38:39], off
	global_load_dwordx2 v[38:39], v[60:61], off
	v_lshl_add_u64 v[68:69], v[0:1], 3, s[4:5]
	v_add_u32_e32 v0, s0, v0
	s_waitcnt vmcnt(0)
	v_mul_f64 v[38:39], v[38:39], v[76:77]
	v_mul_f64 v[38:39], v[38:39], v[52:53]
	global_store_dwordx2 v[60:61], v[38:39], off
	global_load_dwordx2 v[38:39], v[68:69], off
	v_lshl_add_u64 v[60:61], v[0:1], 3, s[4:5]
	v_add_u32_e32 v0, s0, v0
	v_lshl_add_u64 v[72:73], v[0:1], 3, s[4:5]
	v_add_u32_e32 v0, s0, v0
	s_waitcnt vmcnt(0)
	v_mul_f64 v[20:21], v[38:39], v[20:21]
	global_store_dwordx2 v[68:69], v[20:21], off
	global_load_dwordx2 v[20:21], v[60:61], off
	s_nop 0
	global_load_dwordx2 v[38:39], v[14:15], off
	global_load_dwordx2 v[68:69], v[14:15], off
	s_nop 0
	global_load_dwordx2 v[14:15], v[14:15], off
	s_waitcnt vmcnt(3)
	v_mul_f64 v[20:21], v[20:21], v[76:77]
	s_waitcnt vmcnt(2)
	v_mul_f64 v[20:21], v[20:21], v[38:39]
	global_store_dwordx2 v[60:61], v[20:21], off
	global_load_dwordx2 v[74:75], v[72:73], off
	global_load_dwordx2 v[76:77], v[66:67], off
	s_nop 0
	global_load_dwordx2 v[60:61], v[66:67], off
	global_load_dwordx2 v[20:21], v[66:67], off
	v_lshl_add_u64 v[66:67], v[0:1], 3, s[4:5]
	v_add_u32_e32 v0, s0, v0
	s_waitcnt vmcnt(2)
	v_mul_f64 v[74:75], v[74:75], v[76:77]
	global_store_dwordx2 v[72:73], v[74:75], off
	global_load_dwordx2 v[72:73], v[66:67], off
	v_lshl_add_u64 v[74:75], v[0:1], 3, s[4:5]
	v_add_u32_e32 v0, s0, v0
	s_waitcnt vmcnt(0)
	v_mul_f64 v[72:73], v[72:73], v[26:27]
	v_mul_f64 v[72:73], v[72:73], v[42:43]
	global_store_dwordx2 v[66:67], v[72:73], off
	global_load_dwordx2 v[66:67], v[74:75], off
	v_lshl_add_u64 v[72:73], v[0:1], 3, s[4:5]
	v_add_u32_e32 v0, s0, v0
	s_waitcnt vmcnt(0)
	v_mul_f64 v[42:43], v[66:67], v[42:43]
	global_store_dwordx2 v[74:75], v[42:43], off
	global_load_dwordx2 v[42:43], v[72:73], off
	v_lshl_add_u64 v[66:67], v[0:1], 3, s[4:5]
	v_add_u32_e32 v0, s0, v0
	s_waitcnt vmcnt(0)
	v_mul_f64 v[42:43], v[42:43], v[58:59]
	v_mul_f64 v[42:43], v[42:43], v[56:57]
	global_store_dwordx2 v[72:73], v[42:43], off
	global_load_dwordx2 v[58:59], v[66:67], off
	global_load_dwordx2 v[74:75], v[70:71], off
	s_nop 0
	global_load_dwordx2 v[72:73], v[70:71], off
	global_load_dwordx2 v[42:43], v[70:71], off
	v_lshl_add_u64 v[70:71], v[0:1], 3, s[4:5]
	v_add_u32_e32 v0, s0, v0
	s_waitcnt vmcnt(3)
	v_mul_f64 v[58:59], v[58:59], v[50:51]
	s_waitcnt vmcnt(2)
	v_mul_f64 v[58:59], v[58:59], v[74:75]
	global_store_dwordx2 v[66:67], v[58:59], off
	global_load_dwordx2 v[58:59], v[70:71], off
	v_lshl_add_u64 v[66:67], v[0:1], 3, s[4:5]
	v_add_u32_e32 v0, s0, v0
	v_lshl_add_u64 v[80:81], v[0:1], 3, s[4:5]
	v_add_u32_e32 v0, s0, v0
	v_lshl_add_u64 v[82:83], v[0:1], 3, s[4:5]
	v_add_u32_e32 v0, s0, v0
	v_lshl_add_u64 v[86:87], v[0:1], 3, s[4:5]
	v_add_u32_e32 v0, s0, v0
	s_waitcnt vmcnt(0)
	v_mul_f64 v[58:59], v[58:59], v[26:27]
	v_mul_f64 v[38:39], v[58:59], v[38:39]
	global_store_dwordx2 v[70:71], v[38:39], off
	global_load_dwordx2 v[38:39], v[66:67], off
	s_nop 0
	global_load_dwordx2 v[78:79], v[12:13], off
	global_load_dwordx2 v[70:71], v[12:13], off
	;; [unrolled: 1-line block ×3, first 2 shown]
	s_nop 0
	global_load_dwordx2 v[12:13], v[12:13], off
	s_waitcnt vmcnt(4)
	v_mul_f64 v[38:39], v[38:39], v[26:27]
	s_waitcnt vmcnt(3)
	v_mul_f64 v[38:39], v[38:39], v[78:79]
	global_store_dwordx2 v[66:67], v[38:39], off
	global_load_dwordx2 v[38:39], v[80:81], off
	s_waitcnt vmcnt(0)
	v_mul_f64 v[34:35], v[38:39], v[34:35]
	global_store_dwordx2 v[80:81], v[34:35], off
	global_load_dwordx2 v[38:39], v[82:83], off
	s_nop 0
	global_load_dwordx2 v[80:81], v[8:9], off
	global_load_dwordx2 v[84:85], v[8:9], off
	;; [unrolled: 1-line block ×4, first 2 shown]
	s_waitcnt vmcnt(3)
	v_mul_f64 v[38:39], v[38:39], v[80:81]
	global_store_dwordx2 v[82:83], v[38:39], off
	global_load_dwordx2 v[38:39], v[86:87], off
	v_lshl_add_u64 v[80:81], v[0:1], 3, s[4:5]
	v_add_u32_e32 v0, s0, v0
	v_lshl_add_u64 v[82:83], v[0:1], 3, s[4:5]
	v_add_u32_e32 v0, s0, v0
	s_waitcnt vmcnt(0)
	v_mul_f64 v[38:39], v[38:39], v[52:53]
	global_store_dwordx2 v[86:87], v[38:39], off
	global_load_dwordx2 v[38:39], v[80:81], off
	s_waitcnt vmcnt(0)
	v_mul_f64 v[38:39], v[38:39], v[76:77]
	v_mul_f64 v[38:39], v[38:39], v[78:79]
	global_store_dwordx2 v[80:81], v[38:39], off
	global_load_dwordx2 v[38:39], v[82:83], off
	v_lshl_add_u64 v[78:79], v[0:1], 3, s[4:5]
	v_add_u32_e32 v0, s0, v0
	s_waitcnt vmcnt(0)
	v_mul_f64 v[38:39], v[38:39], v[76:77]
	v_mul_f64 v[38:39], v[38:39], v[74:75]
	global_store_dwordx2 v[82:83], v[38:39], off
	global_load_dwordx2 v[76:77], v[78:79], off
	global_load_dwordx2 v[80:81], v[54:55], off
	s_nop 0
	global_load_dwordx2 v[82:83], v[64:65], off
	s_nop 0
	global_load_dwordx2 v[64:65], v[54:55], off
	global_load_dwordx2 v[38:39], v[54:55], off
	v_lshl_add_u64 v[54:55], v[0:1], 3, s[4:5]
	v_add_u32_e32 v0, s0, v0
	s_waitcnt vmcnt(4)
	v_mul_f64 v[26:27], v[76:77], v[26:27]
	s_waitcnt vmcnt(3)
	v_mul_f64 v[26:27], v[26:27], v[80:81]
	global_store_dwordx2 v[78:79], v[26:27], off
	global_load_dwordx2 v[26:27], v[54:55], off
	v_lshl_add_u64 v[76:77], v[0:1], 3, s[4:5]
	v_add_u32_e32 v0, s0, v0
	v_lshl_add_u64 v[80:81], v[0:1], 3, s[4:5]
	v_add_u32_e32 v0, s0, v0
	s_waitcnt vmcnt(0)
	v_mul_f64 v[26:27], v[26:27], v[82:83]
	global_store_dwordx2 v[54:55], v[26:27], off
	global_load_dwordx2 v[26:27], v[76:77], off
	s_nop 0
	global_load_dwordx2 v[54:55], v[10:11], off
	global_load_dwordx2 v[78:79], v[10:11], off
	s_nop 0
	global_load_dwordx2 v[10:11], v[10:11], off
	s_waitcnt vmcnt(2)
	v_mul_f64 v[26:27], v[26:27], v[54:55]
	v_mul_f64 v[26:27], v[26:27], v[56:57]
	global_store_dwordx2 v[76:77], v[26:27], off
	global_load_dwordx2 v[26:27], v[80:81], off
	v_lshl_add_u64 v[54:55], v[0:1], 3, s[4:5]
	v_add_u32_e32 v0, s0, v0
	v_lshl_add_u64 v[56:57], v[0:1], 3, s[4:5]
	v_add_u32_e32 v0, s0, v0
	s_waitcnt vmcnt(0)
	v_mul_f64 v[26:27], v[26:27], v[50:51]
	v_mul_f64 v[26:27], v[26:27], v[74:75]
	global_store_dwordx2 v[80:81], v[26:27], off
	global_load_dwordx2 v[26:27], v[54:55], off
	s_waitcnt vmcnt(0)
	v_mul_f64 v[26:27], v[26:27], v[44:45]
	global_store_dwordx2 v[54:55], v[26:27], off
	global_load_dwordx2 v[26:27], v[56:57], off
	v_lshl_add_u64 v[54:55], v[0:1], 3, s[4:5]
	v_add_u32_e32 v0, s0, v0
	s_waitcnt vmcnt(0)
	v_mul_f64 v[26:27], v[26:27], v[50:51]
	global_store_dwordx2 v[56:57], v[26:27], off
	global_load_dwordx2 v[56:57], v[54:55], off
	s_nop 0
	global_load_dwordx2 v[74:75], v[32:33], off
	global_load_dwordx2 v[26:27], v[32:33], off
	v_lshl_add_u64 v[32:33], v[0:1], 3, s[4:5]
	v_add_u32_e32 v0, s0, v0
	s_waitcnt vmcnt(1)
	v_mul_f64 v[56:57], v[56:57], v[74:75]
	v_mul_f64 v[56:57], v[56:57], v[62:63]
	global_store_dwordx2 v[54:55], v[56:57], off
	global_load_dwordx2 v[54:55], v[32:33], off
	v_lshl_add_u64 v[56:57], v[0:1], 3, s[4:5]
	v_add_u32_e32 v0, s0, v0
	s_waitcnt vmcnt(0)
	v_mul_f64 v[54:55], v[54:55], v[74:75]
	v_mul_f64 v[52:53], v[54:55], v[52:53]
	global_store_dwordx2 v[32:33], v[52:53], off
	global_load_dwordx2 v[32:33], v[56:57], off
	v_lshl_add_u64 v[52:53], v[0:1], 3, s[4:5]
	v_add_u32_e32 v0, s0, v0
	v_lshl_add_u64 v[54:55], v[0:1], 3, s[4:5]
	v_add_u32_e32 v0, s0, v0
	s_waitcnt vmcnt(0)
	v_mul_f64 v[32:33], v[32:33], v[74:75]
	v_mul_f64 v[32:33], v[32:33], v[68:69]
	global_store_dwordx2 v[56:57], v[32:33], off
	global_load_dwordx2 v[32:33], v[52:53], off
	s_waitcnt vmcnt(0)
	v_mul_f64 v[32:33], v[32:33], v[74:75]
	v_mul_f64 v[32:33], v[32:33], v[70:71]
	global_store_dwordx2 v[52:53], v[32:33], off
	global_load_dwordx2 v[32:33], v[54:55], off
	v_lshl_add_u64 v[52:53], v[0:1], 3, s[4:5]
	v_add_u32_e32 v0, s1, v0
	s_waitcnt vmcnt(0)
	v_mul_f64 v[32:33], v[32:33], v[84:85]
	v_mul_f64 v[32:33], v[32:33], v[72:73]
	;; [unrolled: 1-line block ×3, first 2 shown]
	global_store_dwordx2 v[54:55], v[32:33], off
	global_load_dwordx2 v[32:33], v[52:53], off
	v_lshl_add_u64 v[54:55], v[0:1], 3, s[4:5]
	v_add_u32_e32 v0, s0, v0
	s_waitcnt vmcnt(0)
	v_mul_f64 v[32:33], v[32:33], v[62:63]
	global_store_dwordx2 v[52:53], v[32:33], off
	global_load_dwordx2 v[32:33], v[54:55], off
	v_lshl_add_u64 v[52:53], v[0:1], 3, s[4:5]
	v_add_u32_e32 v0, s0, v0
	s_waitcnt vmcnt(0)
	v_mul_f64 v[32:33], v[32:33], v[62:63]
	;; [unrolled: 6-line block ×8, first 2 shown]
	v_mul_f64 v[32:33], v[32:33], v[46:47]
	global_store_dwordx2 v[50:51], v[32:33], off
	global_load_dwordx2 v[32:33], v[52:53], off
	v_lshl_add_u64 v[46:47], v[0:1], 3, s[4:5]
	v_add_u32_e32 v0, s0, v0
	v_lshl_add_u64 v[50:51], v[0:1], 3, s[4:5]
	v_add_u32_e32 v0, s0, v0
	s_waitcnt vmcnt(0)
	v_mul_f64 v[32:33], v[32:33], v[72:73]
	global_store_dwordx2 v[52:53], v[32:33], off
	global_load_dwordx2 v[32:33], v[46:47], off
	s_waitcnt vmcnt(0)
	v_mul_f64 v[32:33], v[32:33], v[78:79]
	v_mul_f64 v[32:33], v[32:33], v[48:49]
	global_store_dwordx2 v[46:47], v[32:33], off
	global_load_dwordx2 v[32:33], v[50:51], off
	v_lshl_add_u64 v[46:47], v[0:1], 3, s[4:5]
	v_add_u32_e32 v0, s0, v0
	s_waitcnt vmcnt(0)
	v_mul_f64 v[32:33], v[32:33], v[64:65]
	global_store_dwordx2 v[50:51], v[32:33], off
	global_load_dwordx2 v[32:33], v[46:47], off
	v_lshl_add_u64 v[50:51], v[0:1], 3, s[4:5]
	v_add_u32_e32 v0, s1, v0
	s_waitcnt vmcnt(0)
	v_mul_f64 v[32:33], v[32:33], v[78:79]
	v_mul_f64 v[32:33], v[32:33], v[48:49]
	global_store_dwordx2 v[46:47], v[32:33], off
	global_load_dwordx2 v[32:33], v[50:51], off
	v_lshl_add_u64 v[46:47], v[0:1], 3, s[4:5]
	v_add_u32_e32 v0, s0, v0
	s_waitcnt vmcnt(0)
	v_mul_f64 v[32:33], v[32:33], v[64:65]
	global_store_dwordx2 v[50:51], v[32:33], off
	global_load_dwordx2 v[32:33], v[46:47], off
	v_lshl_add_u64 v[50:51], v[0:1], 3, s[4:5]
	v_add_u32_e32 v0, s0, v0
	s_waitcnt vmcnt(0)
	;; [unrolled: 6-line block ×3, first 2 shown]
	v_mul_f64 v[32:33], v[32:33], v[60:61]
	v_mul_f64 v[32:33], v[32:33], v[40:41]
	global_store_dwordx2 v[50:51], v[32:33], off
	global_load_dwordx2 v[32:33], v[46:47], off
	v_lshl_add_u64 v[50:51], v[0:1], 3, s[4:5]
	v_add_u32_e32 v0, s0, v0
	s_waitcnt vmcnt(0)
	v_mul_f64 v[32:33], v[32:33], v[30:31]
	v_mul_f64 v[32:33], v[32:33], v[66:67]
	global_store_dwordx2 v[46:47], v[32:33], off
	global_load_dwordx2 v[32:33], v[50:51], off
	v_lshl_add_u64 v[46:47], v[0:1], 3, s[4:5]
	v_add_u32_e32 v0, s0, v0
	s_waitcnt vmcnt(0)
	;; [unrolled: 7-line block ×5, first 2 shown]
	v_mul_f64 v[32:33], v[32:33], v[60:61]
	v_mul_f64 v[22:23], v[32:33], v[22:23]
	global_store_dwordx2 v[46:47], v[22:23], off
	global_load_dwordx2 v[32:33], v[44:45], off
	s_nop 0
	global_load_dwordx2 v[46:47], v[4:5], off
	global_load_dwordx2 v[22:23], v[4:5], off
	v_lshl_add_u64 v[4:5], v[0:1], 3, s[4:5]
	v_add_u32_e32 v0, s0, v0
	s_waitcnt vmcnt(2)
	v_mul_f64 v[32:33], v[32:33], v[30:31]
	v_mul_f64 v[32:33], v[32:33], v[66:67]
	s_waitcnt vmcnt(1)
	v_mul_f64 v[32:33], v[32:33], v[46:47]
	global_store_dwordx2 v[44:45], v[32:33], off
	global_load_dwordx2 v[32:33], v[4:5], off
	v_lshl_add_u64 v[44:45], v[0:1], 3, s[4:5]
	v_add_u32_e32 v0, s0, v0
	s_waitcnt vmcnt(0)
	v_mul_f64 v[32:33], v[32:33], v[28:29]
	v_mul_f64 v[32:33], v[32:33], v[58:59]
	global_store_dwordx2 v[4:5], v[32:33], off
	global_load_dwordx2 v[4:5], v[44:45], off
	v_lshl_add_u64 v[32:33], v[0:1], 3, s[4:5]
	v_add_u32_e32 v0, s0, v0
	s_waitcnt vmcnt(0)
	v_mul_f64 v[4:5], v[4:5], v[28:29]
	;; [unrolled: 7-line block ×3, first 2 shown]
	global_store_dwordx2 v[32:33], v[4:5], off
	global_load_dwordx2 v[4:5], v[28:29], off
	v_lshl_add_u64 v[32:33], v[0:1], 3, s[4:5]
	v_add_u32_e32 v0, s0, v0
	s_waitcnt vmcnt(0)
	v_mul_f64 v[4:5], v[4:5], v[46:47]
	global_store_dwordx2 v[28:29], v[4:5], off
	global_load_dwordx2 v[4:5], v[32:33], off
	v_lshl_add_u64 v[28:29], v[0:1], 3, s[4:5]
	v_add_u32_e32 v0, s0, v0
	s_waitcnt vmcnt(0)
	v_mul_f64 v[4:5], v[4:5], v[14:15]
	;; [unrolled: 6-line block ×3, first 2 shown]
	global_store_dwordx2 v[28:29], v[4:5], off
	global_load_dwordx2 v[4:5], v[32:33], off
	v_lshl_add_u64 v[28:29], v[0:1], 3, s[4:5]
	v_add_u32_e32 v0, s0, v0
	v_lshl_add_u64 v[30:31], v[0:1], 3, s[4:5]
	v_add_u32_e32 v0, s0, v0
	s_waitcnt vmcnt(0)
	v_mul_f64 v[4:5], v[4:5], v[38:39]
	global_store_dwordx2 v[32:33], v[4:5], off
	global_load_dwordx2 v[4:5], v[28:29], off
	s_waitcnt vmcnt(0)
	v_mul_f64 v[4:5], v[4:5], v[24:25]
	global_store_dwordx2 v[28:29], v[4:5], off
	global_load_dwordx2 v[4:5], v[30:31], off
	v_lshl_add_u64 v[28:29], v[0:1], 3, s[4:5]
	v_add_u32_e32 v0, s0, v0
	s_waitcnt vmcnt(0)
	v_mul_f64 v[4:5], v[4:5], v[38:39]
	global_store_dwordx2 v[30:31], v[4:5], off
	global_load_dwordx2 v[4:5], v[28:29], off
	v_lshl_add_u64 v[30:31], v[0:1], 3, s[4:5]
	v_add_u32_e32 v0, s0, v0
	s_waitcnt vmcnt(0)
	v_mul_f64 v[4:5], v[4:5], v[24:25]
	v_mul_f64 v[4:5], v[4:5], v[16:17]
	global_store_dwordx2 v[28:29], v[4:5], off
	global_load_dwordx2 v[4:5], v[30:31], off
	v_lshl_add_u64 v[16:17], v[0:1], 3, s[4:5]
	v_add_u32_e32 v0, s1, v0
	v_lshl_add_u64 v[28:29], v[0:1], 3, s[4:5]
	v_add_u32_e32 v0, s0, v0
	s_waitcnt vmcnt(0)
	v_mul_f64 v[4:5], v[4:5], v[46:47]
	v_mul_f64 v[4:5], v[4:5], v[34:35]
	global_store_dwordx2 v[30:31], v[4:5], off
	global_load_dwordx2 v[4:5], v[16:17], off
	s_waitcnt vmcnt(0)
	v_mul_f64 v[4:5], v[4:5], v[24:25]
	v_mul_f64 v[4:5], v[4:5], v[42:43]
	global_store_dwordx2 v[16:17], v[4:5], off
	global_load_dwordx2 v[4:5], v[28:29], off
	s_nop 0
	global_load_dwordx2 v[16:17], v[6:7], off
	global_load_dwordx2 v[30:31], v[6:7], off
	v_lshl_add_u64 v[6:7], v[0:1], 3, s[4:5]
	v_add_u32_e32 v0, s0, v0
	s_waitcnt vmcnt(2)
	v_mul_f64 v[4:5], v[4:5], v[20:21]
	s_waitcnt vmcnt(1)
	v_mul_f64 v[4:5], v[4:5], v[16:17]
	global_store_dwordx2 v[28:29], v[4:5], off
	global_load_dwordx2 v[4:5], v[6:7], off
	v_lshl_add_u64 v[20:21], v[0:1], 3, s[4:5]
	v_add_u32_e32 v0, s1, v0
	s_waitcnt vmcnt(0)
	v_mul_f64 v[4:5], v[4:5], v[10:11]
	v_mul_f64 v[4:5], v[4:5], v[18:19]
	global_store_dwordx2 v[6:7], v[4:5], off
	global_load_dwordx2 v[4:5], v[20:21], off
	s_nop 0
	global_load_dwordx2 v[6:7], v[2:3], off
	v_lshl_add_u64 v[2:3], v[0:1], 3, s[4:5]
	v_add_u32_e32 v0, s0, v0
	s_waitcnt vmcnt(1)
	v_mul_f64 v[4:5], v[4:5], v[26:27]
	v_mul_f64 v[4:5], v[4:5], v[16:17]
	s_waitcnt vmcnt(0)
	v_mul_f64 v[4:5], v[4:5], v[6:7]
	global_store_dwordx2 v[20:21], v[4:5], off
	global_load_dwordx2 v[4:5], v[2:3], off
	v_lshl_add_u64 v[6:7], v[0:1], 3, s[4:5]
	v_add_u32_e32 v0, s0, v0
	s_waitcnt vmcnt(0)
	v_mul_f64 v[4:5], v[4:5], v[10:11]
	v_mul_f64 v[4:5], v[4:5], v[22:23]
	global_store_dwordx2 v[2:3], v[4:5], off
	global_load_dwordx2 v[2:3], v[6:7], off
	v_lshl_add_u64 v[4:5], v[0:1], 3, s[4:5]
	v_add_u32_e32 v0, s0, v0
	s_waitcnt vmcnt(0)
	v_mul_f64 v[2:3], v[2:3], v[10:11]
	;; [unrolled: 7-line block ×5, first 2 shown]
	global_store_dwordx2 v[4:5], v[2:3], off
	global_load_dwordx2 v[2:3], v[6:7], off
	v_lshl_add_u64 v[4:5], v[0:1], 3, s[4:5]
	v_add_u32_e32 v0, s0, v0
	s_waitcnt vmcnt(0)
	v_mul_f64 v[2:3], v[2:3], v[24:25]
	v_mul_f64 v[2:3], v[2:3], v[18:19]
	global_store_dwordx2 v[6:7], v[2:3], off
	global_load_dwordx2 v[2:3], v[4:5], off
	v_lshl_add_u64 v[6:7], v[0:1], 3, s[4:5]
	v_add_u32_e32 v0, s0, v0
	s_waitcnt vmcnt(0)
	v_mul_f64 v[2:3], v[2:3], v[34:35]
	global_store_dwordx2 v[4:5], v[2:3], off
	global_load_dwordx2 v[2:3], v[6:7], off
	v_lshl_add_u64 v[4:5], v[0:1], 3, s[4:5]
	v_add_u32_e32 v0, s0, v0
	s_waitcnt vmcnt(0)
	v_mul_f64 v[2:3], v[2:3], v[24:25]
	v_mul_f64 v[2:3], v[2:3], v[14:15]
	global_store_dwordx2 v[6:7], v[2:3], off
	global_load_dwordx2 v[2:3], v[4:5], off
	v_lshl_add_u64 v[6:7], v[0:1], 3, s[4:5]
	v_add_u32_e32 v0, s0, v0
	s_waitcnt vmcnt(0)
	v_mul_f64 v[2:3], v[2:3], v[24:25]
	v_mul_f64 v[2:3], v[2:3], v[12:13]
	global_store_dwordx2 v[4:5], v[2:3], off
	global_load_dwordx2 v[2:3], v[6:7], off
	s_nop 0
	global_load_dwordx2 v[4:5], v[8:9], off
	v_lshl_add_u64 v[8:9], v[0:1], 3, s[4:5]
	v_add_u32_e32 v0, s0, v0
	v_lshl_add_u64 v[0:1], v[0:1], 3, s[4:5]
	s_waitcnt vmcnt(1)
	v_mul_f64 v[2:3], v[2:3], v[22:23]
	s_waitcnt vmcnt(0)
	v_mul_f64 v[2:3], v[2:3], v[4:5]
	global_store_dwordx2 v[6:7], v[2:3], off
	global_load_dwordx2 v[2:3], v[8:9], off
	s_waitcnt vmcnt(0)
	v_mul_f64 v[2:3], v[2:3], v[38:39]
	v_mul_f64 v[2:3], v[2:3], v[24:25]
	global_store_dwordx2 v[8:9], v[2:3], off
	global_load_dwordx2 v[2:3], v[0:1], off
	s_waitcnt vmcnt(0)
	v_mul_f64 v[2:3], v[2:3], v[10:11]
	v_mul_f64 v[2:3], v[2:3], v[30:31]
	global_store_dwordx2 v[0:1], v[2:3], off
	s_endpgm
	.section	.rodata,"a",@progbits
	.p2align	6, 0x0
	.amdhsa_kernel _Z12ratx4_kernelIdEvPKT_PS0_S3_
		.amdhsa_group_segment_fixed_size 0
		.amdhsa_private_segment_fixed_size 0
		.amdhsa_kernarg_size 280
		.amdhsa_user_sgpr_count 2
		.amdhsa_user_sgpr_dispatch_ptr 0
		.amdhsa_user_sgpr_queue_ptr 0
		.amdhsa_user_sgpr_kernarg_segment_ptr 1
		.amdhsa_user_sgpr_dispatch_id 0
		.amdhsa_user_sgpr_kernarg_preload_length 0
		.amdhsa_user_sgpr_kernarg_preload_offset 0
		.amdhsa_user_sgpr_private_segment_size 0
		.amdhsa_uses_dynamic_stack 0
		.amdhsa_enable_private_segment 0
		.amdhsa_system_sgpr_workgroup_id_x 1
		.amdhsa_system_sgpr_workgroup_id_y 0
		.amdhsa_system_sgpr_workgroup_id_z 0
		.amdhsa_system_sgpr_workgroup_info 0
		.amdhsa_system_vgpr_workitem_id 0
		.amdhsa_next_free_vgpr 126
		.amdhsa_next_free_sgpr 9
		.amdhsa_accum_offset 128
		.amdhsa_reserve_vcc 0
		.amdhsa_float_round_mode_32 0
		.amdhsa_float_round_mode_16_64 0
		.amdhsa_float_denorm_mode_32 3
		.amdhsa_float_denorm_mode_16_64 3
		.amdhsa_dx10_clamp 1
		.amdhsa_ieee_mode 1
		.amdhsa_fp16_overflow 0
		.amdhsa_tg_split 0
		.amdhsa_exception_fp_ieee_invalid_op 0
		.amdhsa_exception_fp_denorm_src 0
		.amdhsa_exception_fp_ieee_div_zero 0
		.amdhsa_exception_fp_ieee_overflow 0
		.amdhsa_exception_fp_ieee_underflow 0
		.amdhsa_exception_fp_ieee_inexact 0
		.amdhsa_exception_int_div_zero 0
	.end_amdhsa_kernel
	.section	.text._Z12ratx4_kernelIdEvPKT_PS0_S3_,"axG",@progbits,_Z12ratx4_kernelIdEvPKT_PS0_S3_,comdat
.Lfunc_end42:
	.size	_Z12ratx4_kernelIdEvPKT_PS0_S3_, .Lfunc_end42-_Z12ratx4_kernelIdEvPKT_PS0_S3_
                                        ; -- End function
	.set _Z12ratx4_kernelIdEvPKT_PS0_S3_.num_vgpr, 126
	.set _Z12ratx4_kernelIdEvPKT_PS0_S3_.num_agpr, 0
	.set _Z12ratx4_kernelIdEvPKT_PS0_S3_.numbered_sgpr, 9
	.set _Z12ratx4_kernelIdEvPKT_PS0_S3_.num_named_barrier, 0
	.set _Z12ratx4_kernelIdEvPKT_PS0_S3_.private_seg_size, 0
	.set _Z12ratx4_kernelIdEvPKT_PS0_S3_.uses_vcc, 0
	.set _Z12ratx4_kernelIdEvPKT_PS0_S3_.uses_flat_scratch, 0
	.set _Z12ratx4_kernelIdEvPKT_PS0_S3_.has_dyn_sized_stack, 0
	.set _Z12ratx4_kernelIdEvPKT_PS0_S3_.has_recursion, 0
	.set _Z12ratx4_kernelIdEvPKT_PS0_S3_.has_indirect_call, 0
	.section	.AMDGPU.csdata,"",@progbits
; Kernel info:
; codeLenInByte = 10244
; TotalNumSgprs: 15
; NumVgprs: 126
; NumAgprs: 0
; TotalNumVgprs: 126
; ScratchSize: 0
; MemoryBound: 1
; FloatMode: 240
; IeeeMode: 1
; LDSByteSize: 0 bytes/workgroup (compile time only)
; SGPRBlocks: 1
; VGPRBlocks: 15
; NumSGPRsForWavesPerEU: 15
; NumVGPRsForWavesPerEU: 126
; AccumOffset: 128
; Occupancy: 4
; WaveLimiterHint : 1
; COMPUTE_PGM_RSRC2:SCRATCH_EN: 0
; COMPUTE_PGM_RSRC2:USER_SGPR: 2
; COMPUTE_PGM_RSRC2:TRAP_HANDLER: 0
; COMPUTE_PGM_RSRC2:TGID_X_EN: 1
; COMPUTE_PGM_RSRC2:TGID_Y_EN: 0
; COMPUTE_PGM_RSRC2:TGID_Z_EN: 0
; COMPUTE_PGM_RSRC2:TIDIG_COMP_CNT: 0
; COMPUTE_PGM_RSRC3_GFX90A:ACCUM_OFFSET: 31
; COMPUTE_PGM_RSRC3_GFX90A:TG_SPLIT: 0
	.section	.text._Z11qssa_kernelIdEvPT_S1_S1_,"axG",@progbits,_Z11qssa_kernelIdEvPT_S1_S1_,comdat
	.protected	_Z11qssa_kernelIdEvPT_S1_S1_ ; -- Begin function _Z11qssa_kernelIdEvPT_S1_S1_
	.globl	_Z11qssa_kernelIdEvPT_S1_S1_
	.p2align	8
	.type	_Z11qssa_kernelIdEvPT_S1_S1_,@function
_Z11qssa_kernelIdEvPT_S1_S1_:           ; @_Z11qssa_kernelIdEvPT_S1_S1_
; %bb.0:
	s_load_dwordx4 s[4:7], s[0:1], 0x0
	s_load_dwordx2 s[8:9], s[0:1], 0x10
	s_load_dword s3, s[0:1], 0x18
	s_load_dword s10, s[0:1], 0x24
	v_mov_b32_e32 v17, 0
	s_waitcnt lgkmcnt(0)
	s_and_b32 s0, s10, 0xffff
	s_mul_i32 s1, s3, s0
	s_mul_i32 s3, s1, 56
	;; [unrolled: 1-line block ×3, first 2 shown]
	s_add_i32 s3, s3, s2
	v_add_u32_e32 v16, s3, v0
	s_mov_b32 s2, 0
	v_lshlrev_b64 v[2:3], 3, v[16:17]
	s_mov_b32 s3, s2
	v_add_u32_e32 v16, s1, v16
	s_mul_i32 s0, s1, 0x55
	v_lshl_add_u64 v[4:5], s[4:5], 0, v[2:3]
	v_mov_b64_e32 v[0:1], s[2:3]
	v_lshlrev_b64 v[22:23], 3, v[16:17]
	v_add_u32_e32 v16, s0, v16
	global_store_dwordx2 v[4:5], v[0:1], off
	v_lshl_add_u64 v[4:5], s[4:5], 0, v[22:23]
	v_lshlrev_b64 v[30:31], 3, v[16:17]
	global_store_dwordx2 v[4:5], v[0:1], off
	v_lshl_add_u64 v[4:5], s[4:5], 0, v[30:31]
	global_store_dwordx2 v[4:5], v[0:1], off
	v_mad_u64_u32 v[4:5], s[2:3], s1, 36, v[16:17]
	s_mul_i32 s10, s1, 15
	v_add_u32_e32 v16, s10, v4
	v_mov_b32_e32 v5, v17
	v_lshlrev_b64 v[104:105], 3, v[16:17]
	v_lshlrev_b64 v[32:33], 3, v[4:5]
	v_lshl_add_u64 v[4:5], s[6:7], 0, v[104:105]
	global_store_dwordx2 v[4:5], v[0:1], off
	v_mad_u64_u32 v[4:5], s[2:3], s1, 12, v[16:17]
	v_mov_b32_e32 v5, v17
	s_mul_i32 s0, s1, 0xffffff54
	v_lshl_add_u64 v[6:7], s[4:5], 0, v[32:33]
	v_lshlrev_b64 v[42:43], 3, v[4:5]
	v_add_u32_e32 v16, s0, v4
	global_store_dwordx2 v[6:7], v[0:1], off
	v_lshl_add_u64 v[6:7], s[4:5], 0, v[42:43]
	v_lshlrev_b64 v[12:13], 3, v[16:17]
	global_store_dwordx2 v[6:7], v[0:1], off
	v_lshl_add_u64 v[4:5], s[4:5], 0, v[12:13]
	v_add_u32_e32 v16, s1, v16
	global_load_dwordx2 v[6:7], v[4:5], off
	v_lshlrev_b64 v[4:5], 3, v[16:17]
	v_lshl_add_u64 v[40:41], s[4:5], 0, v[4:5]
	global_load_dwordx2 v[8:9], v[40:41], off
	v_add_u32_e32 v16, s1, v16
	v_lshlrev_b64 v[10:11], 3, v[16:17]
	v_add_u32_e32 v16, s1, v16
	v_lshlrev_b64 v[24:25], 3, v[16:17]
	v_lshl_add_u64 v[14:15], s[4:5], 0, v[24:25]
	v_add_u32_e32 v16, s1, v16
	v_lshlrev_b64 v[28:29], 3, v[16:17]
	v_lshl_add_u64 v[18:19], s[4:5], 0, v[28:29]
	v_add_u32_e32 v16, s1, v16
	v_lshlrev_b64 v[34:35], 3, v[16:17]
	v_add_u32_e32 v16, s1, v16
	v_lshlrev_b64 v[20:21], 3, v[16:17]
	v_lshl_add_u64 v[38:39], s[4:5], 0, v[20:21]
	s_mul_i32 s11, s1, 37
	v_add_u32_e32 v16, s11, v16
	v_lshlrev_b64 v[44:45], 3, v[16:17]
	s_mul_i32 s18, s1, 10
	v_add_u32_e32 v16, s18, v16
	v_lshlrev_b64 v[46:47], 3, v[16:17]
	v_lshl_add_u64 v[0:1], s[4:5], 0, v[46:47]
	s_mul_i32 s14, s1, 6
	v_lshl_add_u64 v[54:55], s[6:7], 0, v[24:25]
	v_lshl_add_u64 v[2:3], s[6:7], 0, v[2:3]
	v_lshl_add_u64 v[86:87], s[6:7], 0, v[20:21]
	s_mul_i32 s0, s1, 0xffffffcf
	v_lshl_add_u64 v[82:83], s[6:7], 0, v[28:29]
	v_lshl_add_u64 v[46:47], s[6:7], 0, v[46:47]
	scratch_store_dwordx2 off, v[0:1], off offset:8 ; 8-byte Folded Spill
	s_mul_i32 s15, s1, 11
	v_lshl_add_u64 v[24:25], s[8:9], 0, v[24:25]
	s_mul_i32 s19, s1, 0xffffff8b
	v_lshl_add_u64 v[32:33], s[6:7], 0, v[32:33]
	v_lshl_add_u64 v[42:43], s[6:7], 0, v[42:43]
	global_load_dwordx2 v[14:15], v[14:15], off
	s_waitcnt vmcnt(2)
	v_add_f64 v[8:9], v[6:7], v[8:9]
	v_lshl_add_u64 v[6:7], s[4:5], 0, v[10:11]
	global_load_dwordx2 v[6:7], v[6:7], off
	s_waitcnt vmcnt(0)
	v_add_f64 v[8:9], v[8:9], v[6:7]
	v_add_f64 v[8:9], v[8:9], v[14:15]
	global_load_dwordx2 v[14:15], v[18:19], off
	global_load_dwordx2 v[20:21], v[86:87], off
	s_waitcnt vmcnt(1)
	v_add_f64 v[8:9], v[8:9], v[14:15]
	v_lshl_add_u64 v[14:15], s[4:5], 0, v[34:35]
	global_load_dwordx2 v[14:15], v[14:15], off
	s_waitcnt vmcnt(0)
	v_add_f64 v[8:9], v[8:9], v[14:15]
	global_load_dwordx2 v[14:15], v[38:39], off
	s_waitcnt vmcnt(0)
	v_add_f64 v[8:9], v[8:9], v[14:15]
	v_lshl_add_u64 v[14:15], s[4:5], 0, v[44:45]
	global_load_dwordx2 v[14:15], v[14:15], off
	s_waitcnt vmcnt(0)
	v_add_f64 v[8:9], v[8:9], v[14:15]
	global_load_dwordx2 v[14:15], v[0:1], off
	s_waitcnt vmcnt(0)
	v_add_f64 v[8:9], v[8:9], v[14:15]
	v_mad_u64_u32 v[14:15], s[2:3], s1, 18, v[16:17]
	v_mov_b32_e32 v15, v17
	v_lshlrev_b64 v[36:37], 3, v[14:15]
	v_lshl_add_u64 v[26:27], s[4:5], 0, v[36:37]
	global_load_dwordx2 v[26:27], v[26:27], off
	v_add_u32_e32 v16, s14, v14
	v_lshlrev_b64 v[14:15], 3, v[16:17]
	s_mul_i32 s3, s1, 0xffffffc7
	v_add_u32_e32 v16, s3, v16
	v_lshlrev_b64 v[48:49], 3, v[16:17]
	v_add_u32_e32 v16, s14, v16
	v_lshlrev_b64 v[50:51], 3, v[16:17]
	v_lshl_add_u64 v[84:85], s[6:7], 0, v[50:51]
	global_load_dwordx2 v[52:53], v[84:85], off
	v_lshl_add_u64 v[36:37], s[6:7], 0, v[36:37]
	global_load_dwordx2 v[36:37], v[36:37], off
	v_add_u32_e32 v16, s0, v16
	global_load_dwordx2 v[54:55], v[54:55], off
	s_lshl_b32 s2, s1, 1
	s_mul_i32 s0, s1, 0xffffff96
	global_load_dwordx2 v[84:85], v[84:85], off
	s_waitcnt vmcnt(4)
	v_add_f64 v[8:9], v[8:9], v[26:27]
	v_lshl_add_u64 v[26:27], s[4:5], 0, v[14:15]
	global_load_dwordx2 v[26:27], v[26:27], off
	v_lshl_add_u64 v[14:15], s[6:7], 0, v[14:15]
	global_load_dwordx2 v[14:15], v[14:15], off
	s_waitcnt vmcnt(1)
	v_add_f64 v[26:27], v[8:9], v[26:27]
	v_lshl_add_u64 v[8:9], s[6:7], 0, v[48:49]
	global_load_dwordx2 v[8:9], v[8:9], off
	s_waitcnt vmcnt(0)
	v_add_f64 v[26:27], v[26:27], v[8:9]
	v_add_f64 v[52:53], v[26:27], v[52:53]
	v_lshl_add_u64 v[26:27], s[6:7], 0, v[12:13]
	global_load_dwordx2 v[26:27], v[26:27], off
	v_add_f64 v[6:7], v[6:7], v[8:9]
	v_lshl_add_u64 v[12:13], s[8:9], 0, v[12:13]
	s_waitcnt vmcnt(0)
	v_add_f64 v[26:27], v[26:27], v[54:55]
	v_lshl_add_u64 v[54:55], s[6:7], 0, v[34:35]
	global_load_dwordx2 v[54:55], v[54:55], off
	s_waitcnt vmcnt(0)
	v_add_f64 v[54:55], v[26:27], v[54:55]
	global_load_dwordx2 v[26:27], v[2:3], off
	s_waitcnt vmcnt(0)
	v_add_f64 v[2:3], v[54:55], v[26:27]
	v_lshl_add_u64 v[54:55], s[6:7], 0, v[44:45]
	global_load_dwordx2 v[54:55], v[54:55], off
	s_waitcnt vmcnt(0)
	v_add_f64 v[2:3], v[2:3], v[54:55]
	v_add_f64 v[2:3], v[2:3], v[36:37]
	;; [unrolled: 1-line block ×3, first 2 shown]
	v_div_scale_f64 v[14:15], s[12:13], v[52:53], v[52:53], 1.0
	v_rcp_f64_e32 v[36:37], v[14:15]
	s_mul_i32 s12, s1, 3
	s_mul_i32 s13, s1, 30
	v_fma_f64 v[54:55], -v[14:15], v[36:37], 1.0
	v_fmac_f64_e32 v[36:37], v[36:37], v[54:55]
	v_fma_f64 v[54:55], -v[14:15], v[36:37], 1.0
	v_fmac_f64_e32 v[36:37], v[36:37], v[54:55]
	v_div_scale_f64 v[54:55], vcc, 1.0, v[52:53], 1.0
	v_mul_f64 v[56:57], v[54:55], v[36:37]
	v_fma_f64 v[14:15], -v[14:15], v[56:57], v[54:55]
	s_nop 1
	v_div_fmas_f64 v[14:15], v[14:15], v[36:37], v[56:57]
	v_div_fixup_f64 v[52:53], v[14:15], v[52:53], 1.0
	v_mul_f64 v[2:3], v[52:53], v[2:3]
	v_lshl_add_u64 v[14:15], v[16:17], 3, s[8:9]
	global_store_dwordx2 v[14:15], v[2:3], off
	v_lshl_add_u64 v[2:3], s[6:7], 0, v[10:11]
	global_load_dwordx2 v[54:55], v[2:3], off
	v_lshl_add_u64 v[2:3], s[4:5], 0, v[48:49]
	global_load_dwordx2 v[2:3], v[2:3], off
	v_add_u32_e32 v16, s2, v16
	v_lshl_add_u64 v[14:15], v[16:17], 3, s[8:9]
	v_add_u32_e32 v16, s1, v16
	v_lshl_add_u64 v[36:37], v[16:17], 3, s[8:9]
	v_add_u32_e32 v16, s1, v16
	global_load_dwordx2 v[48:49], v[82:83], off
	s_waitcnt vmcnt(1)
	v_add_f64 v[10:11], v[54:55], v[2:3]
	v_mul_f64 v[10:11], v[52:53], v[10:11]
	global_store_dwordx2 v[14:15], v[10:11], off
	v_lshl_add_u64 v[10:11], s[4:5], 0, v[50:51]
	global_load_dwordx2 v[14:15], v[10:11], off
	s_waitcnt vmcnt(0)
	v_mul_f64 v[10:11], v[52:53], v[14:15]
	global_store_dwordx2 v[36:37], v[10:11], off
	v_lshl_add_u64 v[36:37], s[6:7], 0, v[4:5]
	global_load_dwordx2 v[10:11], v[36:37], off
	v_lshl_add_u64 v[4:5], s[8:9], 0, v[4:5]
	s_waitcnt vmcnt(0)
	v_add_f64 v[10:11], v[10:11], v[48:49]
	v_add_f64 v[10:11], v[10:11], v[20:21]
	v_mul_f64 v[10:11], v[52:53], v[10:11]
	v_lshl_add_u64 v[20:21], v[16:17], 3, s[8:9]
	global_store_dwordx2 v[20:21], v[10:11], off
	global_load_dwordx2 v[10:11], v[46:47], off
	v_add_u32_e32 v16, s12, v16
	v_lshl_add_u64 v[20:21], v[16:17], 3, s[8:9]
	v_add_u32_e32 v16, s13, v16
	v_lshlrev_b64 v[72:73], 3, v[16:17]
	v_add_u32_e32 v16, s1, v16
	v_lshlrev_b64 v[74:75], 3, v[16:17]
	;; [unrolled: 2-line block ×3, first 2 shown]
	v_lshl_add_u64 v[66:67], s[4:5], 0, v[58:59]
	v_add_u32_e32 v16, s1, v16
	v_lshlrev_b64 v[60:61], 3, v[16:17]
	v_lshl_add_u64 v[68:69], s[4:5], 0, v[60:61]
	v_add_u32_e32 v16, s1, v16
	v_lshlrev_b64 v[62:63], 3, v[16:17]
	v_add_u32_e32 v16, s1, v16
	v_lshlrev_b64 v[64:65], 3, v[16:17]
	;; [unrolled: 2-line block ×4, first 2 shown]
	s_waitcnt vmcnt(0)
	v_mul_f64 v[10:11], v[52:53], v[10:11]
	global_store_dwordx2 v[20:21], v[10:11], off
	v_lshl_add_u64 v[10:11], s[4:5], 0, v[72:73]
	v_lshl_add_u64 v[20:21], s[4:5], 0, v[74:75]
	global_load_dwordx2 v[10:11], v[10:11], off
	v_lshl_add_u64 v[74:75], s[6:7], 0, v[74:75]
	global_load_dwordx2 v[20:21], v[20:21], off
	;; [unrolled: 2-line block ×3, first 2 shown]
	s_waitcnt vmcnt(1)
	v_add_f64 v[10:11], v[10:11], v[20:21]
	global_load_dwordx2 v[20:21], v[66:67], off
	s_waitcnt vmcnt(0)
	v_add_f64 v[10:11], v[10:11], v[20:21]
	global_load_dwordx2 v[20:21], v[68:69], off
	s_waitcnt vmcnt(0)
	v_add_f64 v[10:11], v[10:11], v[20:21]
	v_lshl_add_u64 v[20:21], s[4:5], 0, v[62:63]
	global_load_dwordx2 v[20:21], v[20:21], off
	s_waitcnt vmcnt(0)
	v_add_f64 v[10:11], v[10:11], v[20:21]
	v_lshl_add_u64 v[20:21], s[4:5], 0, v[64:65]
	global_load_dwordx2 v[20:21], v[20:21], off
	s_waitcnt vmcnt(0)
	v_add_f64 v[10:11], v[10:11], v[20:21]
	v_add_f64 v[2:3], v[2:3], v[10:11]
	v_lshl_add_u64 v[10:11], s[4:5], 0, v[56:57]
	global_load_dwordx2 v[10:11], v[10:11], off
	v_mad_u64_u32 v[20:21], s[16:17], s1, 35, v[16:17]
	v_mov_b32_e32 v21, v17
	v_add_u32_e32 v16, s10, v20
	v_lshlrev_b64 v[0:1], 3, v[16:17]
	v_add_u32_e32 v16, s14, v16
	v_lshlrev_b64 v[70:71], 3, v[16:17]
	scratch_store_dwordx2 off, v[0:1], off  ; 8-byte Folded Spill
	global_load_dwordx2 v[72:73], v[72:73], off
	s_waitcnt vmcnt(2)
	v_add_f64 v[2:3], v[10:11], v[2:3]
	v_lshl_add_u64 v[10:11], s[4:5], 0, v[76:77]
	global_load_dwordx2 v[10:11], v[10:11], off
	s_waitcnt vmcnt(1)
	v_add_f64 v[72:73], v[72:73], v[74:75]
	v_lshl_add_u64 v[74:75], s[6:7], 0, v[62:63]
	global_load_dwordx2 v[74:75], v[74:75], off
	s_waitcnt vmcnt(1)
	v_add_f64 v[2:3], v[10:11], v[2:3]
	v_lshlrev_b64 v[10:11], 3, v[20:21]
	v_lshl_add_u64 v[48:49], s[4:5], 0, v[10:11]
	global_load_dwordx2 v[48:49], v[48:49], off
	v_lshl_add_u64 v[20:21], s[4:5], 0, v[0:1]
	global_load_dwordx2 v[20:21], v[20:21], off
	s_waitcnt vmcnt(2)
	v_add_f64 v[72:73], v[72:73], v[74:75]
	v_lshl_add_u64 v[74:75], s[6:7], 0, v[64:65]
	global_load_dwordx2 v[74:75], v[74:75], off
	s_waitcnt vmcnt(2)
	v_add_f64 v[48:49], v[48:49], v[2:3]
	s_waitcnt vmcnt(1)
	v_add_f64 v[48:49], v[20:21], v[48:49]
	v_lshl_add_u64 v[20:21], s[4:5], 0, v[70:71]
	global_load_dwordx2 v[50:51], v[20:21], off
	s_waitcnt vmcnt(1)
	v_add_f64 v[72:73], v[72:73], v[74:75]
	v_lshl_add_u64 v[74:75], s[6:7], 0, v[56:57]
	v_lshl_add_u64 v[56:57], s[8:9], 0, v[56:57]
	global_load_dwordx2 v[74:75], v[74:75], off
	s_waitcnt vmcnt(1)
	v_add_f64 v[48:49], v[50:51], v[48:49]
	v_mad_u64_u32 v[50:51], s[16:17], s1, 53, v[16:17]
	v_mov_b32_e32 v51, v17
	v_lshlrev_b64 v[78:79], 3, v[50:51]
	v_lshl_add_u64 v[52:53], s[4:5], 0, v[78:79]
	v_add_u32_e32 v16, s0, v50
	global_load_dwordx2 v[52:53], v[52:53], off
	v_lshlrev_b64 v[80:81], 3, v[16:17]
	v_lshl_add_u64 v[88:89], s[6:7], 0, v[80:81]
	global_load_dwordx2 v[50:51], v[88:89], off
	s_lshl_b32 s0, s1, 3
	v_add_u32_e32 v16, s0, v16
	v_lshlrev_b64 v[96:97], 3, v[16:17]
	v_lshl_add_u64 v[90:91], s[6:7], 0, v[96:97]
	v_add_u32_e32 v16, s1, v16
	s_waitcnt vmcnt(2)
	v_add_f64 v[72:73], v[72:73], v[74:75]
	v_lshl_add_u64 v[74:75], s[6:7], 0, v[76:77]
	global_load_dwordx2 v[74:75], v[74:75], off
	s_waitcnt vmcnt(2)
	v_add_f64 v[48:49], v[52:53], v[48:49]
	v_add_f64 v[48:49], v[54:55], v[48:49]
	s_waitcnt vmcnt(1)
	v_add_f64 v[48:49], v[50:51], v[48:49]
	global_load_dwordx2 v[50:51], v[90:91], off
	s_waitcnt vmcnt(1)
	v_add_f64 v[72:73], v[72:73], v[74:75]
	v_add_f64 v[26:27], v[26:27], v[72:73]
	v_lshl_add_u64 v[72:73], s[6:7], 0, v[22:23]
	global_load_dwordx2 v[72:73], v[72:73], off
	s_waitcnt vmcnt(1)
	v_add_f64 v[50:51], v[50:51], v[48:49]
	v_lshlrev_b64 v[48:49], 3, v[16:17]
	v_lshl_add_u64 v[92:93], s[6:7], 0, v[48:49]
	global_load_dwordx2 v[52:53], v[92:93], off
	v_add_u32_e32 v16, s1, v16
	s_waitcnt vmcnt(1)
	v_add_f64 v[26:27], v[72:73], v[26:27]
	v_add_f64 v[26:27], v[72:73], v[26:27]
	s_waitcnt vmcnt(0)
	v_add_f64 v[52:53], v[52:53], v[50:51]
	v_lshlrev_b64 v[50:51], 3, v[16:17]
	v_lshl_add_u64 v[94:95], s[6:7], 0, v[50:51]
	global_load_dwordx2 v[54:55], v[94:95], off
	v_add_u32_e32 v16, s15, v16
	v_lshlrev_b64 v[98:99], 3, v[16:17]
	v_add_u32_e32 v16, s11, v16
	v_lshlrev_b64 v[100:101], 3, v[16:17]
	;; [unrolled: 2-line block ×4, first 2 shown]
	v_lshl_add_u64 v[72:73], s[4:5], 0, v[98:99]
	global_load_dwordx2 v[72:73], v[72:73], off
	s_waitcnt vmcnt(1)
	v_add_f64 v[52:53], v[54:55], v[52:53]
	v_lshl_add_u64 v[54:55], s[6:7], 0, v[98:99]
	global_load_dwordx2 v[54:55], v[54:55], off
	s_waitcnt vmcnt(1)
	v_add_f64 v[26:27], v[72:73], v[26:27]
	v_lshl_add_u64 v[72:73], s[6:7], 0, v[10:11]
	v_lshl_add_u64 v[10:11], s[8:9], 0, v[10:11]
	global_load_dwordx2 v[72:73], v[72:73], off
	s_waitcnt vmcnt(1)
	v_add_f64 v[52:53], v[54:55], v[52:53]
	v_lshl_add_u64 v[54:55], s[6:7], 0, v[100:101]
	global_load_dwordx2 v[54:55], v[54:55], off
	s_waitcnt vmcnt(1)
	v_add_f64 v[26:27], v[72:73], v[26:27]
	;; [unrolled: 4-line block ×4, first 2 shown]
	v_lshl_add_u64 v[72:73], s[4:5], 0, v[100:101]
	v_lshl_add_u64 v[100:101], s[6:7], 0, v[58:59]
	global_load_dwordx2 v[72:73], v[72:73], off
	s_waitcnt vmcnt(1)
	v_add_f64 v[102:103], v[102:103], v[54:55]
	v_lshl_add_u64 v[54:55], s[6:7], 0, v[108:109]
	global_load_dwordx2 v[110:111], v[54:55], off
	s_waitcnt vmcnt(1)
	v_add_f64 v[26:27], v[72:73], v[26:27]
	s_waitcnt vmcnt(0)
	v_add_f64 v[102:103], v[110:111], v[102:103]
	v_mad_u64_u32 v[110:111], s[16:17], s1, 5, v[16:17]
	v_mov_b32_e32 v111, v17
	v_lshlrev_b64 v[112:113], 3, v[110:111]
	v_lshl_add_u64 v[114:115], s[6:7], 0, v[112:113]
	global_load_dwordx2 v[114:115], v[114:115], off
	v_add_u32_e32 v16, s13, v110
	v_lshlrev_b64 v[110:111], 3, v[16:17]
	v_lshl_add_u64 v[72:73], s[4:5], 0, v[112:113]
	s_mul_i32 s13, s1, 0xffffff76
	v_add_u32_e32 v16, s13, v16
	s_lshl_b32 s13, s1, 2
	global_load_dwordx2 v[72:73], v[72:73], off
	s_waitcnt vmcnt(1)
	v_add_f64 v[102:103], v[114:115], v[102:103]
	v_lshl_add_u64 v[114:115], s[6:7], 0, v[110:111]
	global_load_dwordx2 v[114:115], v[114:115], off
	s_waitcnt vmcnt(1)
	v_add_f64 v[26:27], v[72:73], v[26:27]
	v_lshl_add_u64 v[72:73], s[4:5], 0, v[110:111]
	global_load_dwordx2 v[72:73], v[72:73], off
	s_waitcnt vmcnt(1)
	v_add_f64 v[102:103], v[114:115], v[102:103]
	s_waitcnt vmcnt(0)
	v_add_f64 v[26:27], v[72:73], v[26:27]
	v_lshl_add_u64 v[72:73], s[6:7], 0, v[78:79]
	global_load_dwordx2 v[72:73], v[72:73], off
	s_waitcnt vmcnt(0)
	v_add_f64 v[26:27], v[72:73], v[26:27]
	v_div_scale_f64 v[72:73], s[16:17], v[102:103], v[102:103], 1.0
	v_rcp_f64_e32 v[74:75], v[72:73]
	s_nop 0
	v_fma_f64 v[76:77], -v[72:73], v[74:75], 1.0
	v_fmac_f64_e32 v[74:75], v[74:75], v[76:77]
	v_fma_f64 v[76:77], -v[72:73], v[74:75], 1.0
	v_fmac_f64_e32 v[74:75], v[74:75], v[76:77]
	v_div_scale_f64 v[76:77], vcc, 1.0, v[102:103], 1.0
	v_mul_f64 v[78:79], v[76:77], v[74:75]
	v_fma_f64 v[72:73], -v[72:73], v[78:79], v[76:77]
	s_nop 1
	v_div_fmas_f64 v[72:73], v[72:73], v[74:75], v[78:79]
	v_lshl_add_u64 v[74:75], s[4:5], 0, v[106:107]
	v_div_fixup_f64 v[76:77], v[72:73], v[102:103], 1.0
	v_lshl_add_u64 v[72:73], v[16:17], 3, s[8:9]
	v_add_u32_e32 v16, s1, v16
	v_lshl_add_u64 v[102:103], s[6:7], 0, v[60:61]
	v_mul_f64 v[26:27], v[76:77], v[26:27]
	v_mul_f64 v[6:7], v[6:7], v[76:77]
	v_lshl_add_u64 v[8:9], v[16:17], 3, s[8:9]
	v_add_u32_e32 v16, s2, v16
	global_store_dwordx2 v[72:73], v[26:27], off
	global_store_dwordx2 v[8:9], v[6:7], off
	v_lshl_add_u64 v[6:7], s[4:5], 0, v[80:81]
	v_lshl_add_u64 v[8:9], s[4:5], 0, v[96:97]
	;; [unrolled: 1-line block ×3, first 2 shown]
	global_load_dwordx2 v[6:7], v[6:7], off
	s_nop 0
	global_load_dwordx2 v[8:9], v[8:9], off
	s_nop 0
	global_load_dwordx2 v[78:79], v[72:73], off
	v_lshl_add_u64 v[72:73], s[4:5], 0, v[50:51]
	global_load_dwordx2 v[98:99], v[72:73], off
	v_lshl_add_u64 v[72:73], v[16:17], 3, s[8:9]
	v_add_u32_e32 v16, s1, v16
	global_load_dwordx2 v[58:59], v[102:103], off
	s_waitcnt vmcnt(3)
	v_add_f64 v[26:27], v[6:7], v[8:9]
	v_add_f64 v[6:7], v[14:15], v[6:7]
	s_waitcnt vmcnt(2)
	v_add_f64 v[26:27], v[26:27], v[78:79]
	s_waitcnt vmcnt(1)
	v_add_f64 v[26:27], v[26:27], v[98:99]
	v_mul_f64 v[26:27], v[76:77], v[26:27]
	global_store_dwordx2 v[72:73], v[26:27], off
	global_load_dwordx2 v[26:27], v[100:101], off
	v_lshl_add_u64 v[72:73], s[4:5], 0, v[108:109]
	s_waitcnt vmcnt(0)
	v_add_f64 v[26:27], v[26:27], v[58:59]
	v_lshl_add_u64 v[58:59], v[16:17], 3, s[8:9]
	v_add_u32_e32 v16, s2, v16
	v_mul_f64 v[26:27], v[76:77], v[26:27]
	global_store_dwordx2 v[58:59], v[26:27], off
	global_load_dwordx2 v[26:27], v[74:75], off
	s_nop 0
	global_load_dwordx2 v[58:59], v[72:73], off
	s_waitcnt vmcnt(0)
	v_add_f64 v[26:27], v[26:27], v[58:59]
	v_lshl_add_u64 v[58:59], v[16:17], 3, s[8:9]
	v_add_u32_e32 v16, s1, v16
	v_mul_f64 v[26:27], v[76:77], v[26:27]
	global_store_dwordx2 v[58:59], v[26:27], off
	v_lshl_add_u64 v[58:59], s[6:7], 0, v[70:71]
	v_lshl_add_u64 v[70:71], v[16:17], 3, s[8:9]
	v_lshl_add_u32 v16, s1, 5, v16
	v_lshlrev_b64 v[106:107], 3, v[16:17]
	v_add_u32_e32 v16, s1, v16
	global_load_dwordx2 v[26:27], v[58:59], off
	v_lshl_add_u64 v[14:15], s[4:5], 0, v[106:107]
	v_lshlrev_b64 v[96:97], 3, v[16:17]
	v_add_u32_e32 v16, s1, v16
	v_lshl_add_u64 v[106:107], s[6:7], 0, v[106:107]
	global_load_dwordx2 v[14:15], v[14:15], off
	v_lshl_add_u64 v[80:81], s[4:5], 0, v[96:97]
	v_lshlrev_b64 v[108:109], 3, v[16:17]
	v_add_u32_e32 v16, s1, v16
	v_lshlrev_b64 v[110:111], 3, v[16:17]
	v_add_u32_e32 v16, s1, v16
	;; [unrolled: 2-line block ×3, first 2 shown]
	global_load_dwordx2 v[106:107], v[106:107], off
	s_waitcnt vmcnt(2)
	v_mul_f64 v[26:27], v[76:77], v[26:27]
	global_store_dwordx2 v[70:71], v[26:27], off
	v_lshlrev_b64 v[70:71], 3, v[16:17]
	v_add_u32_e32 v16, s13, v16
	s_waitcnt vmcnt(2)
	v_add_f64 v[6:7], v[6:7], v[14:15]
	global_load_dwordx2 v[14:15], v[80:81], off
	s_waitcnt vmcnt(0)
	v_add_f64 v[6:7], v[6:7], v[14:15]
	v_lshl_add_u64 v[14:15], s[4:5], 0, v[108:109]
	global_load_dwordx2 v[14:15], v[14:15], off
	v_lshl_add_u64 v[108:109], s[6:7], 0, v[108:109]
	global_load_dwordx2 v[108:109], v[108:109], off
	s_waitcnt vmcnt(1)
	v_add_f64 v[6:7], v[6:7], v[14:15]
	v_lshl_add_u64 v[14:15], s[4:5], 0, v[110:111]
	global_load_dwordx2 v[14:15], v[14:15], off
	s_waitcnt vmcnt(0)
	v_add_f64 v[6:7], v[6:7], v[14:15]
	;; [unrolled: 4-line block ×4, first 2 shown]
	v_add_f64 v[6:7], v[6:7], v[8:9]
	v_add_f64 v[6:7], v[6:7], v[78:79]
	;; [unrolled: 1-line block ×3, first 2 shown]
	v_lshlrev_b64 v[98:99], 3, v[16:17]
	v_lshl_add_u64 v[8:9], s[4:5], 0, v[98:99]
	global_load_dwordx2 v[8:9], v[8:9], off
	v_mad_u64_u32 v[14:15], s[16:17], s1, 22, v[16:17]
	v_mov_b32_e32 v15, v17
	v_add_u32_e32 v16, s10, v14
	v_lshlrev_b64 v[114:115], 3, v[16:17]
	v_lshl_add_u64 v[98:99], s[6:7], 0, v[98:99]
	global_load_dwordx2 v[98:99], v[98:99], off
	v_add_f64 v[106:107], v[106:107], v[108:109]
	v_lshl_add_u64 v[108:109], s[6:7], 0, v[110:111]
	global_load_dwordx2 v[108:109], v[108:109], off
	s_waitcnt vmcnt(2)
	v_add_f64 v[8:9], v[6:7], v[8:9]
	v_lshlrev_b64 v[6:7], 3, v[14:15]
	v_lshl_add_u64 v[26:27], s[4:5], 0, v[6:7]
	global_load_dwordx2 v[26:27], v[26:27], off
	v_lshl_add_u64 v[14:15], s[4:5], 0, v[114:115]
	global_load_dwordx2 v[14:15], v[14:15], off
	s_waitcnt vmcnt(2)
	v_add_f64 v[106:107], v[106:107], v[108:109]
	v_lshl_add_u64 v[108:109], s[6:7], 0, v[112:113]
	global_load_dwordx2 v[108:109], v[108:109], off
	s_waitcnt vmcnt(2)
	v_add_f64 v[8:9], v[8:9], v[26:27]
	s_waitcnt vmcnt(1)
	v_add_f64 v[8:9], v[8:9], v[14:15]
	v_mad_u64_u32 v[14:15], s[16:17], s1, 59, v[16:17]
	v_mov_b32_e32 v15, v17
	v_lshlrev_b64 v[116:117], 3, v[14:15]
	v_add_u32_e32 v16, s1, v14
	v_lshl_add_u64 v[76:77], s[4:5], 0, v[116:117]
	v_lshlrev_b64 v[118:119], 3, v[16:17]
	global_load_dwordx2 v[26:27], v[76:77], off
	v_lshl_add_u64 v[14:15], s[4:5], 0, v[118:119]
	global_load_dwordx2 v[14:15], v[14:15], off
	v_lshl_add_u32 v16, s1, 4, v16
	v_lshlrev_b64 v[120:121], 3, v[16:17]
	s_mul_i32 s16, s1, 0xffffff9a
	v_add_u32_e32 v16, s16, v16
	s_mul_i32 s16, s1, 17
	s_mul_i32 s17, s1, 0xffffffb5
	s_waitcnt vmcnt(2)
	v_add_f64 v[106:107], v[106:107], v[108:109]
	v_lshl_add_u64 v[108:109], s[6:7], 0, v[70:71]
	global_load_dwordx2 v[108:109], v[108:109], off
	s_waitcnt vmcnt(2)
	v_add_f64 v[8:9], v[8:9], v[26:27]
	s_waitcnt vmcnt(1)
	v_add_f64 v[8:9], v[8:9], v[14:15]
	v_lshl_add_u64 v[14:15], s[4:5], 0, v[120:121]
	global_load_dwordx2 v[26:27], v[14:15], off
	s_waitcnt vmcnt(1)
	v_add_f64 v[106:107], v[106:107], v[108:109]
	v_add_f64 v[98:99], v[106:107], v[98:99]
	s_waitcnt vmcnt(0)
	v_add_f64 v[8:9], v[8:9], v[26:27]
	v_lshlrev_b64 v[26:27], 3, v[16:17]
	v_lshl_add_u64 v[78:79], s[6:7], 0, v[26:27]
	global_load_dwordx2 v[78:79], v[78:79], off
	v_add_u32_e32 v16, s16, v16
	v_lshl_add_u64 v[106:107], s[4:5], 0, v[26:27]
	global_load_dwordx2 v[106:107], v[106:107], off
	s_waitcnt vmcnt(1)
	v_add_f64 v[122:123], v[8:9], v[78:79]
	v_lshlrev_b64 v[8:9], 3, v[16:17]
	v_lshl_add_u64 v[78:79], s[6:7], 0, v[8:9]
	global_load_dwordx2 v[124:125], v[78:79], off
	v_add_u32_e32 v16, s18, v16
	s_waitcnt vmcnt(1)
	v_add_f64 v[98:99], v[98:99], v[106:107]
	v_lshl_add_u64 v[106:107], s[6:7], 0, v[6:7]
	v_lshl_add_u64 v[6:7], s[8:9], 0, v[6:7]
	global_load_dwordx2 v[106:107], v[106:107], off
	s_waitcnt vmcnt(1)
	v_add_f64 v[122:123], v[122:123], v[124:125]
	v_lshlrev_b64 v[124:125], 3, v[16:17]
	v_lshl_add_u64 v[126:127], s[6:7], 0, v[124:125]
	global_load_dwordx2 v[126:127], v[126:127], off
	v_add_u32_e32 v16, s17, v16
	s_mul_i32 s17, s1, 31
	s_waitcnt vmcnt(1)
	v_add_f64 v[98:99], v[98:99], v[106:107]
	v_lshl_add_u64 v[106:107], s[6:7], 0, v[114:115]
	global_load_dwordx2 v[106:107], v[106:107], off
	s_waitcnt vmcnt(1)
	v_add_f64 v[122:123], v[122:123], v[126:127]
	s_waitcnt vmcnt(0)
	v_add_f64 v[98:99], v[98:99], v[106:107]
	v_lshl_add_u64 v[106:107], s[4:5], 0, v[124:125]
	global_load_dwordx2 v[106:107], v[106:107], off
	s_waitcnt vmcnt(0)
	v_add_f64 v[98:99], v[98:99], v[106:107]
	v_lshl_add_u64 v[106:107], s[6:7], 0, v[118:119]
	global_load_dwordx2 v[106:107], v[106:107], off
	s_waitcnt vmcnt(0)
	v_add_f64 v[98:99], v[98:99], v[106:107]
	v_div_scale_f64 v[106:107], s[20:21], v[122:123], v[122:123], 1.0
	v_rcp_f64_e32 v[108:109], v[106:107]
	s_nop 0
	v_fma_f64 v[110:111], -v[106:107], v[108:109], 1.0
	v_fmac_f64_e32 v[108:109], v[108:109], v[110:111]
	v_fma_f64 v[110:111], -v[106:107], v[108:109], 1.0
	v_fmac_f64_e32 v[108:109], v[108:109], v[110:111]
	v_div_scale_f64 v[110:111], vcc, 1.0, v[122:123], 1.0
	v_mul_f64 v[112:113], v[110:111], v[108:109]
	v_fma_f64 v[106:107], -v[106:107], v[112:113], v[110:111]
	s_nop 1
	v_div_fmas_f64 v[106:107], v[106:107], v[108:109], v[112:113]
	v_lshl_add_u64 v[108:109], v[16:17], 3, s[8:9]
	v_add_u32_e32 v16, s0, v16
	v_div_fixup_f64 v[106:107], v[106:107], v[122:123], 1.0
	v_mul_f64 v[98:99], v[106:107], v[98:99]
	v_mul_f64 v[84:85], v[106:107], v[84:85]
	global_store_dwordx2 v[108:109], v[98:99], off
	global_store_dwordx2 v[12:13], v[84:85], off
	v_lshlrev_b64 v[108:109], 3, v[16:17]
	v_add_u32_e32 v16, s1, v16
	global_load_dwordx2 v[12:13], v[88:89], off
	global_load_dwordx2 v[84:85], v[90:91], off
	v_lshl_add_u64 v[88:89], s[4:5], 0, v[8:9]
	v_lshlrev_b64 v[110:111], 3, v[16:17]
	v_add_u32_e32 v16, s1, v16
	v_lshl_add_u64 v[8:9], s[8:9], 0, v[8:9]
	v_lshlrev_b64 v[112:113], 3, v[16:17]
	v_add_u32_e32 v16, s1, v16
	global_load_dwordx2 v[36:37], v[36:37], off
	s_waitcnt vmcnt(1)
	v_add_f64 v[12:13], v[12:13], v[84:85]
	global_load_dwordx2 v[84:85], v[92:93], off
	s_waitcnt vmcnt(0)
	v_add_f64 v[12:13], v[12:13], v[84:85]
	;; [unrolled: 3-line block ×3, first 2 shown]
	v_mul_f64 v[12:13], v[106:107], v[12:13]
	global_store_dwordx2 v[4:5], v[12:13], off
	v_lshl_add_u64 v[4:5], s[6:7], 0, v[96:97]
	global_load_dwordx2 v[4:5], v[4:5], off
	v_lshl_add_u64 v[84:85], s[6:7], 0, v[116:117]
	global_load_dwordx2 v[82:83], v[82:83], off
	s_waitcnt vmcnt(1)
	v_mul_f64 v[12:13], v[106:107], v[4:5]
	global_store_dwordx2 v[24:25], v[12:13], off
	global_load_dwordx2 v[12:13], v[88:89], off
	v_lshl_add_u64 v[24:25], s[8:9], 0, v[28:29]
	v_lshl_add_u64 v[28:29], s[6:7], 0, v[120:121]
	s_waitcnt vmcnt(0)
	v_mul_f64 v[12:13], v[106:107], v[12:13]
	global_store_dwordx2 v[24:25], v[12:13], off
	global_load_dwordx2 v[12:13], v[84:85], off
	v_lshl_add_u64 v[24:25], s[8:9], 0, v[34:35]
	s_waitcnt vmcnt(0)
	v_mul_f64 v[12:13], v[106:107], v[12:13]
	global_store_dwordx2 v[24:25], v[12:13], off
	global_load_dwordx2 v[12:13], v[28:29], off
	v_lshl_add_u64 v[24:25], s[8:9], 0, v[108:109]
	s_waitcnt vmcnt(0)
	v_mul_f64 v[12:13], v[106:107], v[12:13]
	v_lshlrev_b64 v[106:107], 3, v[16:17]
	v_add_u32_e32 v16, s1, v16
	global_store_dwordx2 v[24:25], v[12:13], off
	v_lshl_add_u64 v[12:13], s[4:5], 0, v[108:109]
	v_lshl_add_u64 v[24:25], s[4:5], 0, v[110:111]
	v_lshlrev_b64 v[92:93], 3, v[16:17]
	v_add_u32_e32 v16, s1, v16
	v_lshl_add_u64 v[110:111], s[6:7], 0, v[110:111]
	v_lshl_add_u64 v[108:109], s[6:7], 0, v[108:109]
	global_load_dwordx2 v[12:13], v[12:13], off
	v_lshlrev_b64 v[90:91], 3, v[16:17]
	global_load_dwordx2 v[24:25], v[24:25], off
	v_add_u32_e32 v16, s1, v16
	v_lshlrev_b64 v[94:95], 3, v[16:17]
	v_mad_u64_u32 v[34:35], s[20:21], s1, 41, v[16:17]
	v_mov_b32_e32 v35, v17
	v_add_u32_e32 v16, s1, v34
	v_lshlrev_b64 v[114:115], 3, v[16:17]
	v_add_u32_e32 v16, s17, v16
	v_lshlrev_b64 v[98:99], 3, v[16:17]
	v_mad_u64_u32 v[118:119], s[20:21], s1, 44, v[16:17]
	v_mov_b32_e32 v119, v17
	global_load_dwordx2 v[110:111], v[110:111], off
	s_waitcnt vmcnt(1)
	v_add_f64 v[12:13], v[12:13], v[24:25]
	v_lshl_add_u64 v[24:25], s[4:5], 0, v[112:113]
	global_load_dwordx2 v[24:25], v[24:25], off
	s_waitcnt vmcnt(0)
	v_add_f64 v[12:13], v[12:13], v[24:25]
	v_lshl_add_u64 v[24:25], s[4:5], 0, v[106:107]
	;; [unrolled: 4-line block ×5, first 2 shown]
	global_load_dwordx2 v[24:25], v[24:25], off
	s_waitcnt vmcnt(0)
	v_add_f64 v[12:13], v[12:13], v[24:25]
	v_lshlrev_b64 v[24:25], 3, v[34:35]
	v_lshl_add_u64 v[96:97], s[4:5], 0, v[24:25]
	global_load_dwordx2 v[96:97], v[96:97], off
	v_lshl_add_u64 v[34:35], s[4:5], 0, v[114:115]
	global_load_dwordx2 v[34:35], v[34:35], off
	s_waitcnt vmcnt(1)
	v_add_f64 v[12:13], v[12:13], v[96:97]
	global_load_dwordx2 v[108:109], v[108:109], off
	s_waitcnt vmcnt(1)
	v_add_f64 v[12:13], v[12:13], v[34:35]
	v_lshl_add_u64 v[34:35], s[4:5], 0, v[98:99]
	global_load_dwordx2 v[96:97], v[34:35], off
	s_waitcnt vmcnt(1)
	v_add_f64 v[108:109], v[108:109], v[110:111]
	v_lshl_add_u64 v[110:111], s[6:7], 0, v[112:113]
	global_load_dwordx2 v[110:111], v[110:111], off
	s_waitcnt vmcnt(1)
	v_add_f64 v[116:117], v[12:13], v[96:97]
	v_lshlrev_b64 v[96:97], 3, v[118:119]
	v_lshl_add_u64 v[12:13], s[4:5], 0, v[96:97]
	global_load_dwordx2 v[120:121], v[12:13], off
	v_mad_u64_u32 v[118:119], s[20:21], s1, 25, v[118:119]
	v_mov_b32_e32 v119, v17
	v_add_u32_e32 v16, s19, v118
	s_waitcnt vmcnt(1)
	v_add_f64 v[108:109], v[108:109], v[110:111]
	v_lshl_add_u64 v[110:111], s[6:7], 0, v[106:107]
	global_load_dwordx2 v[110:111], v[110:111], off
	s_waitcnt vmcnt(1)
	v_add_f64 v[116:117], v[116:117], v[120:121]
	v_lshlrev_b64 v[120:121], 3, v[118:119]
	v_lshl_add_u64 v[122:123], s[4:5], 0, v[120:121]
	global_load_dwordx2 v[122:123], v[122:123], off
	s_waitcnt vmcnt(1)
	v_add_f64 v[108:109], v[108:109], v[110:111]
	v_lshl_add_u64 v[110:111], s[6:7], 0, v[92:93]
	global_load_dwordx2 v[110:111], v[110:111], off
	s_waitcnt vmcnt(1)
	v_add_f64 v[116:117], v[116:117], v[122:123]
	v_add_f64 v[36:37], v[116:117], v[36:37]
	;; [unrolled: 1-line block ×3, first 2 shown]
	global_load_dwordx2 v[82:83], v[86:87], off
	s_waitcnt vmcnt(1)
	v_add_f64 v[108:109], v[108:109], v[110:111]
	v_lshl_add_u64 v[110:111], s[6:7], 0, v[90:91]
	global_load_dwordx2 v[110:111], v[110:111], off
	s_waitcnt vmcnt(1)
	v_add_f64 v[36:37], v[36:37], v[82:83]
	global_load_dwordx2 v[82:83], v[100:101], off
	s_waitcnt vmcnt(1)
	v_add_f64 v[108:109], v[108:109], v[110:111]
	v_lshl_add_u64 v[110:111], s[6:7], 0, v[94:95]
	global_load_dwordx2 v[110:111], v[110:111], off
	s_waitcnt vmcnt(1)
	v_add_f64 v[36:37], v[36:37], v[82:83]
	global_load_dwordx2 v[82:83], v[102:103], off
	s_waitcnt vmcnt(1)
	v_add_f64 v[108:109], v[108:109], v[110:111]
	s_waitcnt vmcnt(0)
	v_add_f64 v[36:37], v[36:37], v[82:83]
	v_lshlrev_b64 v[82:83], 3, v[16:17]
	v_add_f64 v[4:5], v[36:37], v[4:5]
	v_lshl_add_u64 v[36:37], s[6:7], 0, v[82:83]
	global_load_dwordx2 v[36:37], v[36:37], off
	v_add_u32_e32 v16, s1, v16
	v_lshlrev_b64 v[86:87], 3, v[16:17]
	v_add_u32_e32 v16, s1, v16
	v_lshlrev_b64 v[116:117], 3, v[16:17]
	;; [unrolled: 2-line block ×4, first 2 shown]
	v_lshl_add_u64 v[82:83], s[4:5], 0, v[82:83]
	global_load_dwordx2 v[82:83], v[82:83], off
	s_waitcnt vmcnt(1)
	v_add_f64 v[4:5], v[4:5], v[36:37]
	v_lshl_add_u64 v[36:37], s[6:7], 0, v[86:87]
	global_load_dwordx2 v[36:37], v[36:37], off
	s_waitcnt vmcnt(0)
	v_add_f64 v[4:5], v[4:5], v[36:37]
	;; [unrolled: 4-line block ×5, first 2 shown]
	v_mad_u64_u32 v[36:37], s[20:21], s1, 14, v[16:17]
	v_mov_b32_e32 v37, v17
	v_lshlrev_b64 v[124:125], 3, v[36:37]
	v_lshl_add_u64 v[100:101], s[6:7], 0, v[124:125]
	global_load_dwordx2 v[100:101], v[100:101], off
	s_waitcnt vmcnt(0)
	v_add_f64 v[4:5], v[4:5], v[100:101]
	v_mad_u64_u32 v[100:101], s[20:21], s1, 50, v[36:37]
	v_mov_b32_e32 v101, v17
	v_lshlrev_b64 v[102:103], 3, v[100:101]
	v_lshl_add_u64 v[36:37], s[6:7], 0, v[102:103]
	global_load_dwordx2 v[126:127], v[36:37], off
	v_mad_u64_u32 v[0:1], s[20:21], s1, 9, v[100:101]
	v_mov_b32_e32 v1, v17
	v_lshlrev_b64 v[100:101], 3, v[0:1]
	v_lshl_add_u64 v[2:3], s[6:7], 0, v[100:101]
	v_add_u32_e32 v16, s18, v0
	v_lshlrev_b64 v[0:1], 3, v[16:17]
	s_mul_i32 s20, s1, 20
	s_waitcnt vmcnt(0)
	v_add_f64 v[126:127], v[4:5], v[126:127]
	global_load_dwordx2 v[4:5], v[2:3], off
	s_waitcnt vmcnt(0)
	v_add_f64 v[4:5], v[126:127], v[4:5]
	v_lshl_add_u64 v[126:127], s[6:7], 0, v[0:1]
	v_lshl_add_u64 v[0:1], s[4:5], 0, v[0:1]
	global_load_dwordx2 v[0:1], v[0:1], off
	v_add_f64 v[82:83], v[108:109], v[82:83]
	v_lshl_add_u64 v[108:109], s[4:5], 0, v[86:87]
	global_load_dwordx2 v[126:127], v[126:127], off
	s_nop 0
	global_load_dwordx2 v[108:109], v[108:109], off
	s_waitcnt vmcnt(0)
	v_add_f64 v[82:83], v[82:83], v[108:109]
	v_lshl_add_u64 v[108:109], s[4:5], 0, v[116:117]
	global_load_dwordx2 v[108:109], v[108:109], off
	s_waitcnt vmcnt(0)
	v_add_f64 v[82:83], v[82:83], v[108:109]
	v_lshl_add_u64 v[108:109], s[4:5], 0, v[118:119]
	;; [unrolled: 4-line block ×4, first 2 shown]
	v_lshl_add_u64 v[24:25], s[8:9], 0, v[24:25]
	global_load_dwordx2 v[108:109], v[108:109], off
	s_waitcnt vmcnt(0)
	v_add_f64 v[82:83], v[82:83], v[108:109]
	v_lshl_add_u64 v[108:109], s[6:7], 0, v[114:115]
	global_load_dwordx2 v[108:109], v[108:109], off
	s_waitcnt vmcnt(0)
	v_add_f64 v[82:83], v[82:83], v[108:109]
	;; [unrolled: 4-line block ×4, first 2 shown]
	v_add_f64 v[0:1], v[30:31], v[0:1]
	global_load_dwordx2 v[30:31], v[32:33], off
	s_waitcnt vmcnt(0)
	v_add_f64 v[0:1], v[0:1], v[30:31]
	v_lshl_add_u64 v[30:31], s[6:7], 0, v[120:121]
	global_load_dwordx2 v[30:31], v[30:31], off
	v_add_f64 v[4:5], v[4:5], v[126:127]
	s_waitcnt vmcnt(0)
	v_add_f64 v[0:1], v[0:1], v[30:31]
	v_lshl_add_u64 v[30:31], s[4:5], 0, v[104:105]
	global_load_dwordx2 v[104:105], v[30:31], off
	s_waitcnt vmcnt(0)
	v_add_f64 v[0:1], v[0:1], v[104:105]
	v_div_scale_f64 v[104:105], s[18:19], v[4:5], v[4:5], 1.0
	v_rcp_f64_e32 v[108:109], v[104:105]
	s_mul_i32 s18, s1, 0xffffffc1
	v_add_u32_e32 v16, s18, v16
	s_mul_i32 s18, s1, 0xffffffe2
	v_fma_f64 v[110:111], -v[104:105], v[108:109], 1.0
	v_fmac_f64_e32 v[108:109], v[108:109], v[110:111]
	v_fma_f64 v[110:111], -v[104:105], v[108:109], 1.0
	v_fmac_f64_e32 v[108:109], v[108:109], v[110:111]
	v_div_scale_f64 v[110:111], vcc, 1.0, v[4:5], 1.0
	v_mul_f64 v[112:113], v[110:111], v[108:109]
	v_fma_f64 v[104:105], -v[104:105], v[112:113], v[110:111]
	s_nop 1
	v_div_fmas_f64 v[104:105], v[104:105], v[108:109], v[112:113]
	v_div_fixup_f64 v[104:105], v[104:105], v[4:5], 1.0
	v_lshl_add_u64 v[4:5], s[8:9], 0, v[106:107]
	v_mul_f64 v[0:1], v[104:105], v[0:1]
	global_store_dwordx2 v[4:5], v[0:1], off
	global_load_dwordx2 v[0:1], v[40:41], off
	s_nop 0
	global_load_dwordx2 v[4:5], v[18:19], off
	v_lshl_add_u64 v[18:19], s[4:5], 0, v[102:103]
	v_lshl_add_u64 v[40:41], s[4:5], 0, v[100:101]
	s_waitcnt vmcnt(0)
	v_add_f64 v[0:1], v[0:1], v[4:5]
	global_load_dwordx2 v[4:5], v[38:39], off
	s_waitcnt vmcnt(0)
	v_add_f64 v[0:1], v[0:1], v[4:5]
	v_lshl_add_u64 v[4:5], s[8:9], 0, v[92:93]
	v_mul_f64 v[0:1], v[104:105], v[0:1]
	global_store_dwordx2 v[4:5], v[0:1], off
	global_load_dwordx2 v[0:1], v[66:67], off
	s_nop 0
	global_load_dwordx2 v[4:5], v[68:69], off
	v_lshl_add_u64 v[66:67], s[6:7], 0, v[98:99]
	s_waitcnt vmcnt(0)
	v_add_f64 v[0:1], v[0:1], v[4:5]
	v_lshl_add_u64 v[4:5], s[8:9], 0, v[90:91]
	v_mul_f64 v[0:1], v[104:105], v[0:1]
	global_store_dwordx2 v[4:5], v[0:1], off
	global_load_dwordx2 v[0:1], v[80:81], off
	v_lshl_add_u64 v[4:5], s[8:9], 0, v[94:95]
	s_waitcnt vmcnt(0)
	v_mul_f64 v[0:1], v[104:105], v[0:1]
	global_store_dwordx2 v[4:5], v[0:1], off
	global_load_dwordx2 v[0:1], v[66:67], off
	s_nop 0
	global_load_dwordx2 v[4:5], v[18:19], off
	s_waitcnt vmcnt(0)
	v_add_f64 v[0:1], v[0:1], v[4:5]
	v_lshl_add_u64 v[4:5], s[8:9], 0, v[60:61]
	v_lshl_add_u64 v[60:61], s[6:7], 0, v[96:97]
	v_mul_f64 v[0:1], v[104:105], v[0:1]
	global_store_dwordx2 v[4:5], v[0:1], off
	global_load_dwordx2 v[0:1], v[60:61], off
	v_lshl_add_u64 v[4:5], s[8:9], 0, v[62:63]
	s_waitcnt vmcnt(0)
	v_mul_f64 v[0:1], v[104:105], v[0:1]
	global_store_dwordx2 v[4:5], v[0:1], off
	global_load_dwordx2 v[0:1], v[40:41], off
	v_lshl_add_u64 v[4:5], s[8:9], 0, v[64:65]
	s_waitcnt vmcnt(0)
	v_mul_f64 v[0:1], v[104:105], v[0:1]
	global_store_dwordx2 v[4:5], v[0:1], off
	v_lshlrev_b64 v[0:1], 3, v[16:17]
	v_add_u32_e32 v16, s1, v16
	v_lshlrev_b64 v[62:63], 3, v[16:17]
	v_lshl_add_u64 v[4:5], s[4:5], 0, v[0:1]
	v_add_u32_e32 v16, s2, v16
	v_lshl_add_u64 v[0:1], s[6:7], 0, v[0:1]
	v_lshl_add_u64 v[38:39], s[4:5], 0, v[62:63]
	global_load_dwordx2 v[4:5], v[4:5], off
	v_lshl_add_u64 v[62:63], s[6:7], 0, v[62:63]
	global_load_dwordx2 v[0:1], v[0:1], off
	s_nop 0
	global_load_dwordx2 v[38:39], v[38:39], off
	s_waitcnt vmcnt(0)
	v_add_f64 v[4:5], v[4:5], v[38:39]
	global_load_dwordx2 v[38:39], v[88:89], off
	s_waitcnt vmcnt(0)
	v_add_f64 v[4:5], v[4:5], v[38:39]
	v_lshlrev_b64 v[38:39], 3, v[16:17]
	v_add_u32_e32 v16, s1, v16
	global_load_dwordx2 v[62:63], v[62:63], off
	v_lshl_add_u64 v[64:65], s[4:5], 0, v[38:39]
	global_load_dwordx2 v[64:65], v[64:65], off
	s_waitcnt vmcnt(0)
	v_add_f64 v[4:5], v[4:5], v[64:65]
	v_lshlrev_b64 v[64:65], 3, v[16:17]
	v_add_u32_e32 v16, s1, v16
	v_lshl_add_u64 v[68:69], s[4:5], 0, v[64:65]
	global_load_dwordx2 v[68:69], v[68:69], off
	s_waitcnt vmcnt(0)
	v_add_f64 v[4:5], v[4:5], v[68:69]
	v_lshlrev_b64 v[68:69], 3, v[16:17]
	v_add_u32_e32 v16, s18, v16
	;; [unrolled: 6-line block ×3, first 2 shown]
	v_lshl_add_u64 v[88:89], s[6:7], 0, v[80:81]
	v_lshl_add_u64 v[80:81], s[4:5], 0, v[80:81]
	global_load_dwordx2 v[88:89], v[88:89], off
	s_waitcnt vmcnt(0)
	v_add_f64 v[4:5], v[4:5], v[88:89]
	v_lshlrev_b64 v[88:89], 3, v[16:17]
	global_load_dwordx2 v[80:81], v[80:81], off
	v_add_u32_e32 v16, s12, v16
	v_lshl_add_u64 v[90:91], s[6:7], 0, v[88:89]
	v_lshl_add_u64 v[88:89], s[4:5], 0, v[88:89]
	global_load_dwordx2 v[90:91], v[90:91], off
	s_waitcnt vmcnt(0)
	v_add_f64 v[4:5], v[4:5], v[90:91]
	global_load_dwordx2 v[88:89], v[88:89], off
	v_lshlrev_b64 v[90:91], 3, v[16:17]
	v_add_u32_e32 v16, s11, v16
	s_mul_i32 s11, s1, 21
	v_lshl_add_u64 v[92:93], s[6:7], 0, v[90:91]
	global_load_dwordx2 v[92:93], v[92:93], off
	s_waitcnt vmcnt(1)
	v_add_f64 v[80:81], v[80:81], v[88:89]
	v_lshl_add_u64 v[88:89], s[4:5], 0, v[90:91]
	global_load_dwordx2 v[88:89], v[88:89], off
	s_waitcnt vmcnt(0)
	v_add_f64 v[80:81], v[80:81], v[88:89]
	v_add_f64 v[0:1], v[80:81], v[0:1]
	;; [unrolled: 1-line block ×3, first 2 shown]
	v_lshl_add_u64 v[62:63], s[6:7], 0, v[38:39]
	global_load_dwordx2 v[62:63], v[62:63], off
	v_add_f64 v[4:5], v[4:5], v[92:93]
	s_waitcnt vmcnt(0)
	v_add_f64 v[0:1], v[0:1], v[62:63]
	v_lshl_add_u64 v[62:63], s[6:7], 0, v[64:65]
	global_load_dwordx2 v[62:63], v[62:63], off
	s_waitcnt vmcnt(0)
	v_add_f64 v[0:1], v[0:1], v[62:63]
	v_lshl_add_u64 v[62:63], s[6:7], 0, v[68:69]
	global_load_dwordx2 v[62:63], v[62:63], off
	s_waitcnt vmcnt(0)
	v_add_f64 v[0:1], v[0:1], v[62:63]
	v_div_scale_f64 v[62:63], s[18:19], v[4:5], v[4:5], 1.0
	v_rcp_f64_e32 v[64:65], v[62:63]
	s_nop 0
	v_fma_f64 v[68:69], -v[62:63], v[64:65], 1.0
	v_fmac_f64_e32 v[64:65], v[64:65], v[68:69]
	v_fma_f64 v[68:69], -v[62:63], v[64:65], 1.0
	v_fmac_f64_e32 v[64:65], v[64:65], v[68:69]
	v_div_scale_f64 v[68:69], vcc, 1.0, v[4:5], 1.0
	v_mul_f64 v[80:81], v[68:69], v[64:65]
	v_fma_f64 v[62:63], -v[62:63], v[80:81], v[68:69]
	s_nop 1
	v_div_fmas_f64 v[62:63], v[62:63], v[64:65], v[80:81]
	v_div_fixup_f64 v[4:5], v[62:63], v[4:5], 1.0
	v_mul_f64 v[0:1], v[4:5], v[0:1]
	global_store_dwordx2 v[56:57], v[0:1], off
	global_load_dwordx2 v[0:1], v[78:79], off
	s_waitcnt vmcnt(0)
	v_mul_f64 v[0:1], v[4:5], v[0:1]
	v_lshl_add_u64 v[4:5], s[8:9], 0, v[22:23]
	global_store_dwordx2 v[4:5], v[0:1], off
	v_lshlrev_b64 v[0:1], 3, v[16:17]
	v_add_u32_e32 v16, s2, v16
	v_lshl_add_u64 v[4:5], s[4:5], 0, v[0:1]
	v_lshl_add_u64 v[0:1], s[6:7], 0, v[0:1]
	global_load_dwordx2 v[4:5], v[4:5], off
	s_nop 0
	global_load_dwordx2 v[22:23], v[74:75], off
	s_waitcnt vmcnt(0)
	v_add_f64 v[4:5], v[4:5], v[22:23]
	v_lshlrev_b64 v[22:23], 3, v[16:17]
	global_load_dwordx2 v[0:1], v[0:1], off
	v_lshl_add_u64 v[56:57], s[4:5], 0, v[22:23]
	v_lshl_add_u64 v[22:23], s[6:7], 0, v[22:23]
	global_load_dwordx2 v[56:57], v[56:57], off
	s_waitcnt vmcnt(0)
	v_add_f64 v[4:5], v[4:5], v[56:57]
	global_load_dwordx2 v[56:57], v[72:73], off
	s_waitcnt vmcnt(0)
	v_add_f64 v[4:5], v[4:5], v[56:57]
	v_mad_u64_u32 v[56:57], s[18:19], s1, -10, v[16:17]
	global_load_dwordx2 v[22:23], v[22:23], off
	v_mov_b32_e32 v57, v17
	v_add_u32_e32 v16, s20, v56
	v_lshlrev_b64 v[62:63], 3, v[56:57]
	v_lshl_add_u64 v[64:65], s[6:7], 0, v[62:63]
	v_lshl_add_u64 v[62:63], s[4:5], 0, v[62:63]
	global_load_dwordx2 v[64:65], v[64:65], off
	s_waitcnt vmcnt(0)
	v_add_f64 v[4:5], v[4:5], v[64:65]
	v_lshlrev_b64 v[64:65], 3, v[16:17]
	v_add_u32_e32 v16, s11, v16
	global_load_dwordx2 v[62:63], v[62:63], off
	v_lshl_add_u64 v[56:57], s[6:7], 0, v[64:65]
	global_load_dwordx2 v[68:69], v[56:57], off
	s_waitcnt vmcnt(1)
	v_add_f64 v[0:1], v[62:63], v[0:1]
	v_add_f64 v[0:1], v[0:1], v[22:23]
	s_waitcnt vmcnt(0)
	v_add_f64 v[4:5], v[4:5], v[68:69]
	v_lshlrev_b64 v[68:69], 3, v[16:17]
	v_add_u32_e32 v16, s17, v16
	s_mul_i32 s17, s1, 0xffffffb9
	v_lshl_add_u64 v[72:73], s[6:7], 0, v[68:69]
	v_lshl_add_u64 v[22:23], s[4:5], 0, v[68:69]
	global_load_dwordx2 v[72:73], v[72:73], off
	s_waitcnt vmcnt(0)
	v_add_f64 v[4:5], v[4:5], v[72:73]
	global_load_dwordx2 v[72:73], v[84:85], off
	s_waitcnt vmcnt(0)
	v_add_f64 v[4:5], v[4:5], v[72:73]
	global_load_dwordx2 v[22:23], v[22:23], off
	v_lshlrev_b64 v[72:73], 3, v[16:17]
	v_add_u32_e32 v16, s17, v16
	v_lshl_add_u64 v[74:75], s[6:7], 0, v[72:73]
	global_load_dwordx2 v[74:75], v[74:75], off
	s_waitcnt vmcnt(1)
	v_add_f64 v[0:1], v[0:1], v[22:23]
	v_lshl_add_u64 v[22:23], s[4:5], 0, v[72:73]
	global_load_dwordx2 v[22:23], v[22:23], off
	s_waitcnt vmcnt(1)
	v_add_f64 v[4:5], v[4:5], v[74:75]
	s_waitcnt vmcnt(0)
	v_add_f64 v[0:1], v[0:1], v[22:23]
	v_div_scale_f64 v[22:23], s[18:19], v[4:5], v[4:5], 1.0
	v_rcp_f64_e32 v[62:63], v[22:23]
	s_nop 0
	v_fma_f64 v[68:69], -v[22:23], v[62:63], 1.0
	v_fmac_f64_e32 v[62:63], v[62:63], v[68:69]
	v_fma_f64 v[68:69], -v[22:23], v[62:63], 1.0
	v_fmac_f64_e32 v[62:63], v[62:63], v[68:69]
	v_div_scale_f64 v[68:69], vcc, 1.0, v[4:5], 1.0
	v_mul_f64 v[72:73], v[68:69], v[62:63]
	v_fma_f64 v[22:23], -v[22:23], v[72:73], v[68:69]
	s_nop 1
	v_div_fmas_f64 v[22:23], v[22:23], v[62:63], v[72:73]
	v_div_fixup_f64 v[4:5], v[22:23], v[4:5], 1.0
	v_lshl_add_u64 v[22:23], s[8:9], 0, v[70:71]
	v_mul_f64 v[0:1], v[4:5], v[0:1]
	global_store_dwordx2 v[22:23], v[0:1], off
	global_load_dwordx2 v[0:1], v[52:53], off
	s_nop 0
	global_load_dwordx2 v[22:23], v[54:55], off
	s_waitcnt vmcnt(0)
	v_add_f64 v[0:1], v[0:1], v[22:23]
	v_lshl_add_u64 v[22:23], s[8:9], 0, v[48:49]
	global_load_dwordx2 v[46:47], v[46:47], off
	v_mul_f64 v[0:1], v[4:5], v[0:1]
	global_load_dwordx2 v[58:59], v[58:59], off
	s_nop 0
	global_store_dwordx2 v[22:23], v[0:1], off
	global_load_dwordx2 v[0:1], v[76:77], off
	v_lshl_add_u64 v[22:23], s[8:9], 0, v[50:51]
	global_load_dwordx2 v[18:19], v[18:19], off
	s_waitcnt vmcnt(1)
	v_mul_f64 v[0:1], v[4:5], v[0:1]
	global_store_dwordx2 v[22:23], v[0:1], off
	v_lshl_add_u64 v[0:1], s[4:5], 0, v[64:65]
	global_load_dwordx2 v[0:1], v[0:1], off
	v_lshl_add_u64 v[22:23], s[8:9], 0, v[86:87]
	s_waitcnt vmcnt(0)
	v_mul_f64 v[4:5], v[4:5], v[0:1]
	global_store_dwordx2 v[22:23], v[4:5], off
	v_lshlrev_b64 v[4:5], 3, v[16:17]
	v_add_u32_e32 v16, s16, v16
	v_lshlrev_b64 v[52:53], 3, v[16:17]
	v_lshl_add_u64 v[22:23], s[4:5], 0, v[4:5]
	v_add_u32_e32 v16, s1, v16
	v_lshl_add_u64 v[4:5], s[6:7], 0, v[4:5]
	v_lshl_add_u64 v[48:49], s[4:5], 0, v[52:53]
	global_load_dwordx2 v[22:23], v[22:23], off
	v_lshlrev_b64 v[54:55], 3, v[16:17]
	v_add_u32_e32 v16, s2, v16
	v_lshl_add_u64 v[52:53], s[6:7], 0, v[52:53]
	global_load_dwordx2 v[4:5], v[4:5], off
	s_nop 0
	global_load_dwordx2 v[48:49], v[48:49], off
	s_waitcnt vmcnt(0)
	v_add_f64 v[22:23], v[22:23], v[48:49]
	v_lshl_add_u64 v[48:49], s[4:5], 0, v[54:55]
	global_load_dwordx2 v[52:53], v[52:53], off
	s_waitcnt vmcnt(0)
	v_add_f64 v[4:5], v[4:5], v[52:53]
	v_lshl_add_u64 v[52:53], s[6:7], 0, v[54:55]
	global_load_dwordx2 v[48:49], v[48:49], off
	s_waitcnt vmcnt(0)
	v_add_f64 v[22:23], v[22:23], v[48:49]
	global_load_dwordx2 v[52:53], v[52:53], off
	v_add_f64 v[0:1], v[22:23], v[0:1]
	v_lshlrev_b64 v[22:23], 3, v[16:17]
	v_add_u32_e32 v16, s1, v16
	v_lshl_add_u64 v[48:49], s[4:5], 0, v[22:23]
	v_lshlrev_b64 v[62:63], 3, v[16:17]
	v_add_u32_e32 v16, s1, v16
	v_lshl_add_u64 v[22:23], s[6:7], 0, v[22:23]
	global_load_dwordx2 v[48:49], v[48:49], off
	v_lshlrev_b64 v[64:65], 3, v[16:17]
	v_add_u32_e32 v16, s1, v16
	global_load_dwordx2 v[22:23], v[22:23], off
	v_lshlrev_b64 v[68:69], 3, v[16:17]
	v_add_u32_e32 v16, s1, v16
	s_waitcnt vmcnt(2)
	v_add_f64 v[4:5], v[4:5], v[52:53]
	s_waitcnt vmcnt(1)
	v_add_f64 v[0:1], v[0:1], v[48:49]
	v_lshl_add_u64 v[48:49], s[4:5], 0, v[62:63]
	global_load_dwordx2 v[48:49], v[48:49], off
	s_waitcnt vmcnt(1)
	v_add_f64 v[4:5], v[4:5], v[22:23]
	v_lshl_add_u64 v[22:23], s[6:7], 0, v[62:63]
	global_load_dwordx2 v[22:23], v[22:23], off
	;; [unrolled: 4-line block ×6, first 2 shown]
	s_waitcnt vmcnt(1)
	v_add_f64 v[50:51], v[0:1], v[48:49]
	v_lshlrev_b64 v[48:49], 3, v[16:17]
	v_add_u32_e32 v16, s2, v16
	s_waitcnt vmcnt(0)
	v_add_f64 v[4:5], v[4:5], v[22:23]
	v_lshl_add_u64 v[0:1], s[4:5], 0, v[48:49]
	global_load_dwordx2 v[70:71], v[0:1], off
	s_waitcnt vmcnt(0)
	v_add_f64 v[50:51], v[50:51], v[70:71]
	v_add_f64 v[70:71], v[50:51], v[18:19]
	v_lshlrev_b64 v[50:51], 3, v[16:17]
	v_add_u32_e32 v16, s1, v16
	v_lshl_add_u64 v[18:19], s[4:5], 0, v[50:51]
	global_load_dwordx2 v[72:73], v[18:19], off
	s_waitcnt vmcnt(0)
	v_add_f64 v[70:71], v[70:71], v[72:73]
	v_lshlrev_b64 v[72:73], 3, v[16:17]
	v_add_u32_e32 v16, s2, v16
	v_lshl_add_u64 v[74:75], s[4:5], 0, v[72:73]
	v_lshl_add_u64 v[22:23], s[6:7], 0, v[72:73]
	global_load_dwordx2 v[74:75], v[74:75], off
	s_waitcnt vmcnt(0)
	v_add_f64 v[70:71], v[70:71], v[74:75]
	v_lshlrev_b64 v[74:75], 3, v[16:17]
	v_add_u32_e32 v16, s1, v16
	global_load_dwordx2 v[22:23], v[22:23], off
	v_lshl_add_u64 v[76:77], s[4:5], 0, v[74:75]
	global_load_dwordx2 v[76:77], v[76:77], off
	s_waitcnt vmcnt(1)
	v_add_f64 v[4:5], v[4:5], v[22:23]
	global_load_dwordx2 v[22:23], v[82:83], off
	s_waitcnt vmcnt(1)
	v_add_f64 v[70:71], v[70:71], v[76:77]
	v_lshlrev_b64 v[76:77], 3, v[16:17]
	v_lshl_add_u64 v[78:79], s[4:5], 0, v[76:77]
	global_load_dwordx2 v[78:79], v[78:79], off
	v_add_u32_e32 v16, s1, v16
	s_waitcnt vmcnt(1)
	v_add_f64 v[4:5], v[4:5], v[22:23]
	v_lshl_add_u64 v[22:23], s[6:7], 0, v[74:75]
	global_load_dwordx2 v[22:23], v[22:23], off
	s_waitcnt vmcnt(1)
	v_add_f64 v[70:71], v[70:71], v[78:79]
	v_lshlrev_b64 v[78:79], 3, v[16:17]
	v_lshl_add_u64 v[80:81], s[4:5], 0, v[78:79]
	global_load_dwordx2 v[80:81], v[80:81], off
	v_add_u32_e32 v16, s15, v16
	s_waitcnt vmcnt(1)
	v_add_f64 v[4:5], v[4:5], v[22:23]
	v_lshl_add_u64 v[22:23], s[6:7], 0, v[76:77]
	global_load_dwordx2 v[22:23], v[22:23], off
	s_waitcnt vmcnt(1)
	v_add_f64 v[70:71], v[70:71], v[80:81]
	v_add_f64 v[46:47], v[70:71], v[46:47]
	;; [unrolled: 1-line block ×3, first 2 shown]
	global_load_dwordx2 v[58:59], v[66:67], off
	s_waitcnt vmcnt(1)
	v_add_f64 v[4:5], v[4:5], v[22:23]
	v_lshl_add_u64 v[22:23], s[6:7], 0, v[78:79]
	global_load_dwordx2 v[22:23], v[22:23], off
	s_waitcnt vmcnt(1)
	v_add_f64 v[46:47], v[46:47], v[58:59]
	v_lshlrev_b64 v[58:59], 3, v[16:17]
	v_lshl_add_u64 v[66:67], s[6:7], 0, v[58:59]
	global_load_dwordx2 v[66:67], v[66:67], off
	v_add_u32_e32 v16, s1, v16
	s_waitcnt vmcnt(1)
	v_add_f64 v[4:5], v[4:5], v[22:23]
	v_lshl_add_u64 v[22:23], s[4:5], 0, v[58:59]
	global_load_dwordx2 v[22:23], v[22:23], off
	s_waitcnt vmcnt(1)
	v_add_f64 v[46:47], v[46:47], v[66:67]
	v_lshlrev_b64 v[66:67], 3, v[16:17]
	v_lshl_add_u64 v[70:71], s[6:7], 0, v[66:67]
	global_load_dwordx2 v[70:71], v[70:71], off
	v_add_u32_e32 v16, s12, v16
	;; [unrolled: 10-line block ×5, first 2 shown]
	s_waitcnt vmcnt(1)
	v_add_f64 v[4:5], v[4:5], v[22:23]
	v_lshl_add_u64 v[22:23], s[4:5], 0, v[84:85]
	global_load_dwordx2 v[22:23], v[22:23], off
	s_waitcnt vmcnt(1)
	v_add_f64 v[46:47], v[46:47], v[86:87]
	v_lshlrev_b64 v[86:87], 3, v[16:17]
	v_lshl_add_u64 v[88:89], s[6:7], 0, v[86:87]
	global_load_dwordx2 v[88:89], v[88:89], off
	s_waitcnt vmcnt(1)
	v_add_f64 v[4:5], v[4:5], v[22:23]
	v_lshl_add_u64 v[22:23], s[4:5], 0, v[86:87]
	global_load_dwordx2 v[22:23], v[22:23], off
	s_waitcnt vmcnt(0)
	v_add_f64 v[4:5], v[4:5], v[22:23]
	global_load_dwordx2 v[22:23], v[42:43], off
	v_add_f64 v[46:47], v[46:47], v[88:89]
	s_waitcnt vmcnt(0)
	v_add_f64 v[4:5], v[4:5], v[22:23]
	v_div_scale_f64 v[22:23], s[14:15], v[46:47], v[46:47], 1.0
	v_rcp_f64_e32 v[52:53], v[22:23]
	s_mul_i32 s14, s1, 0xffffff92
	v_add_u32_e32 v16, s14, v16
	v_fma_f64 v[54:55], -v[22:23], v[52:53], 1.0
	v_fmac_f64_e32 v[52:53], v[52:53], v[54:55]
	v_fma_f64 v[54:55], -v[22:23], v[52:53], 1.0
	v_fmac_f64_e32 v[52:53], v[52:53], v[54:55]
	v_div_scale_f64 v[54:55], vcc, 1.0, v[46:47], 1.0
	v_mul_f64 v[58:59], v[54:55], v[52:53]
	v_fma_f64 v[22:23], -v[22:23], v[58:59], v[54:55]
	s_nop 1
	v_div_fmas_f64 v[22:23], v[22:23], v[52:53], v[58:59]
	v_div_fixup_f64 v[46:47], v[22:23], v[46:47], 1.0
	v_lshl_add_u64 v[22:23], s[8:9], 0, v[44:45]
	v_mul_f64 v[4:5], v[46:47], v[4:5]
	global_store_dwordx2 v[22:23], v[4:5], off
	scratch_load_dwordx2 v[4:5], off, off offset:8 ; 8-byte Folded Reload
	v_lshl_add_u64 v[22:23], v[16:17], 3, s[8:9]
	v_add_u32_e32 v16, s1, v16
	s_waitcnt vmcnt(0)
	global_load_dwordx2 v[4:5], v[4:5], off
	s_waitcnt vmcnt(0)
	v_mul_f64 v[4:5], v[46:47], v[4:5]
	global_store_dwordx2 v[22:23], v[4:5], off
	global_load_dwordx2 v[4:5], v[20:21], off
	v_lshl_add_u64 v[20:21], v[16:17], 3, s[8:9]
	v_add_u32_e32 v16, s13, v16
	s_mul_i32 s13, s1, 0x54
	s_waitcnt vmcnt(0)
	v_mul_f64 v[4:5], v[46:47], v[4:5]
	global_store_dwordx2 v[20:21], v[4:5], off
	global_load_dwordx2 v[4:5], v[34:35], off
	s_nop 0
	global_load_dwordx2 v[20:21], v[36:37], off
	v_lshl_add_u64 v[34:35], s[6:7], 0, v[48:49]
	v_lshl_add_u64 v[36:37], s[6:7], 0, v[50:51]
	global_load_dwordx2 v[30:31], v[30:31], off
	s_waitcnt vmcnt(1)
	v_add_f64 v[4:5], v[4:5], v[20:21]
	v_mul_f64 v[4:5], v[46:47], v[4:5]
	v_lshl_add_u64 v[20:21], s[8:9], 0, v[26:27]
	global_store_dwordx2 v[20:21], v[4:5], off
	global_load_dwordx2 v[4:5], v[56:57], off
	v_lshl_add_u64 v[20:21], v[16:17], 3, s[8:9]
	v_add_u32_e32 v16, s12, v16
	global_load_dwordx2 v[32:33], v[32:33], off
	s_waitcnt vmcnt(1)
	v_mul_f64 v[4:5], v[46:47], v[4:5]
	global_store_dwordx2 v[20:21], v[4:5], off
	global_load_dwordx2 v[4:5], v[34:35], off
	s_nop 0
	global_load_dwordx2 v[20:21], v[36:37], off
	s_waitcnt vmcnt(0)
	v_add_f64 v[4:5], v[4:5], v[20:21]
	v_mul_f64 v[4:5], v[46:47], v[4:5]
	v_lshl_add_u64 v[20:21], v[16:17], 3, s[8:9]
	v_add_u32_e32 v16, s13, v16
	global_store_dwordx2 v[20:21], v[4:5], off
	v_lshlrev_b64 v[4:5], 3, v[16:17]
	v_add_u32_e32 v16, s1, v16
	v_lshlrev_b64 v[48:49], 3, v[16:17]
	v_lshl_add_u64 v[20:21], s[4:5], 0, v[4:5]
	v_lshl_add_u64 v[22:23], s[4:5], 0, v[48:49]
	global_load_dwordx2 v[20:21], v[20:21], off
	v_add_u32_e32 v16, s1, v16
	global_load_dwordx2 v[22:23], v[22:23], off
	v_lshlrev_b64 v[50:51], 3, v[16:17]
	v_add_u32_e32 v16, s1, v16
	v_lshlrev_b64 v[52:53], 3, v[16:17]
	v_add_u32_e32 v16, s1, v16
	;; [unrolled: 2-line block ×6, first 2 shown]
	v_lshlrev_b64 v[64:65], 3, v[16:17]
	s_mul_i32 s13, s1, 0xffffffac
	v_add_u32_e32 v16, s13, v16
	v_lshlrev_b64 v[66:67], 3, v[16:17]
	v_lshl_add_u64 v[48:49], s[6:7], 0, v[48:49]
	global_load_dwordx2 v[48:49], v[48:49], off
	v_lshl_add_u64 v[4:5], s[6:7], 0, v[4:5]
	global_load_dwordx2 v[4:5], v[4:5], off
	s_waitcnt vmcnt(2)
	v_add_f64 v[20:21], v[20:21], v[22:23]
	v_lshl_add_u64 v[22:23], s[4:5], 0, v[50:51]
	global_load_dwordx2 v[22:23], v[22:23], off
	s_waitcnt vmcnt(0)
	v_add_f64 v[20:21], v[20:21], v[22:23]
	;; [unrolled: 4-line block ×8, first 2 shown]
	v_lshl_add_u64 v[22:23], s[6:7], 0, v[66:67]
	global_load_dwordx2 v[22:23], v[22:23], off
	v_lshl_add_u64 v[66:67], s[4:5], 0, v[66:67]
	global_load_dwordx2 v[66:67], v[66:67], off
	s_waitcnt vmcnt(1)
	v_add_f64 v[20:21], v[20:21], v[22:23]
	v_mad_u64_u32 v[22:23], s[14:15], s1, 62, v[16:17]
	v_mov_b32_e32 v23, v17
	v_lshlrev_b64 v[68:69], 3, v[22:23]
	v_mad_u64_u32 v[22:23], s[14:15], s1, 24, v[22:23]
	v_lshl_add_u64 v[26:27], s[6:7], 0, v[68:69]
	v_lshl_add_u64 v[68:69], s[4:5], 0, v[68:69]
	v_mov_b32_e32 v23, v17
	v_add_u32_e32 v16, s1, v22
	global_load_dwordx2 v[68:69], v[68:69], off
	v_lshlrev_b64 v[70:71], 3, v[16:17]
	global_load_dwordx2 v[26:27], v[26:27], off
	v_add_u32_e32 v16, s1, v16
	v_lshlrev_b64 v[72:73], 3, v[16:17]
	v_add_u32_e32 v16, s2, v16
	v_lshlrev_b64 v[74:75], 3, v[16:17]
	v_add_u32_e32 v16, s10, v16
	global_load_dwordx2 v[34:35], v[34:35], off
	s_waitcnt vmcnt(2)
	v_add_f64 v[66:67], v[66:67], v[68:69]
	v_add_f64 v[4:5], v[66:67], v[4:5]
	;; [unrolled: 1-line block ×3, first 2 shown]
	v_lshl_add_u64 v[48:49], s[6:7], 0, v[50:51]
	global_load_dwordx2 v[48:49], v[48:49], off
	s_waitcnt vmcnt(2)
	v_add_f64 v[20:21], v[20:21], v[26:27]
	global_load_dwordx2 v[26:27], v[60:61], off
	s_waitcnt vmcnt(1)
	v_add_f64 v[4:5], v[4:5], v[48:49]
	v_lshl_add_u64 v[48:49], s[6:7], 0, v[52:53]
	global_load_dwordx2 v[48:49], v[48:49], off
	v_lshlrev_b64 v[60:61], 3, v[22:23]
	s_waitcnt vmcnt(1)
	v_add_f64 v[20:21], v[20:21], v[26:27]
	v_lshl_add_u64 v[22:23], s[6:7], 0, v[70:71]
	v_lshl_add_u64 v[26:27], s[6:7], 0, v[60:61]
	global_load_dwordx2 v[26:27], v[26:27], off
	s_waitcnt vmcnt(1)
	v_add_f64 v[4:5], v[4:5], v[48:49]
	v_lshl_add_u64 v[48:49], s[6:7], 0, v[54:55]
	global_load_dwordx2 v[22:23], v[22:23], off
	s_waitcnt vmcnt(1)
	v_add_f64 v[20:21], v[20:21], v[26:27]
	global_load_dwordx2 v[48:49], v[48:49], off
	s_waitcnt vmcnt(1)
	v_add_f64 v[20:21], v[20:21], v[22:23]
	v_lshl_add_u64 v[22:23], s[6:7], 0, v[72:73]
	global_load_dwordx2 v[22:23], v[22:23], off
	s_waitcnt vmcnt(1)
	v_add_f64 v[4:5], v[4:5], v[48:49]
	v_lshl_add_u64 v[48:49], s[6:7], 0, v[56:57]
	global_load_dwordx2 v[48:49], v[48:49], off
	s_waitcnt vmcnt(1)
	v_add_f64 v[20:21], v[20:21], v[22:23]
	global_load_dwordx2 v[22:23], v[28:29], off
	v_lshlrev_b64 v[28:29], 3, v[16:17]
	v_add_u32_e32 v16, s2, v16
	v_lshlrev_b64 v[44:45], 3, v[16:17]
	v_add_u32_e32 v16, s12, v16
	s_waitcnt vmcnt(1)
	v_add_f64 v[4:5], v[4:5], v[48:49]
	v_lshl_add_u64 v[48:49], s[6:7], 0, v[58:59]
	global_load_dwordx2 v[48:49], v[48:49], off
	s_waitcnt vmcnt(1)
	v_add_f64 v[20:21], v[20:21], v[22:23]
	v_lshl_add_u64 v[22:23], s[6:7], 0, v[74:75]
	global_load_dwordx2 v[22:23], v[22:23], off
	;; [unrolled: 4-line block ×6, first 2 shown]
	s_waitcnt vmcnt(1)
	v_add_f64 v[4:5], v[4:5], v[48:49]
	v_add_f64 v[4:5], v[4:5], v[32:33]
	v_lshl_add_u64 v[32:33], s[4:5], 0, v[60:61]
	global_load_dwordx2 v[32:33], v[32:33], off
	s_waitcnt vmcnt(1)
	v_add_f64 v[76:77], v[20:21], v[46:47]
	v_lshlrev_b64 v[46:47], 3, v[16:17]
	v_add_u32_e32 v16, s3, v16
	s_mul_i32 s3, s1, 0xffffffe4
	v_lshl_add_u64 v[20:21], s[6:7], 0, v[46:47]
	global_load_dwordx2 v[78:79], v[20:21], off
	s_waitcnt vmcnt(1)
	v_add_f64 v[4:5], v[4:5], v[32:33]
	v_lshl_add_u64 v[32:33], s[4:5], 0, v[70:71]
	global_load_dwordx2 v[32:33], v[32:33], off
	s_waitcnt vmcnt(1)
	v_add_f64 v[76:77], v[76:77], v[78:79]
	s_waitcnt vmcnt(0)
	v_add_f64 v[4:5], v[4:5], v[32:33]
	v_lshl_add_u64 v[32:33], s[4:5], 0, v[72:73]
	global_load_dwordx2 v[32:33], v[32:33], off
	s_waitcnt vmcnt(0)
	v_add_f64 v[4:5], v[4:5], v[32:33]
	v_lshl_add_u64 v[32:33], s[4:5], 0, v[74:75]
	global_load_dwordx2 v[32:33], v[32:33], off
	s_waitcnt vmcnt(0)
	v_add_f64 v[4:5], v[4:5], v[32:33]
	v_add_f64 v[4:5], v[4:5], v[30:31]
	global_load_dwordx2 v[30:31], v[42:43], off
	s_waitcnt vmcnt(0)
	v_add_f64 v[4:5], v[4:5], v[30:31]
	v_div_scale_f64 v[30:31], s[12:13], v[76:77], v[76:77], 1.0
	v_rcp_f64_e32 v[32:33], v[30:31]
	s_nop 0
	v_fma_f64 v[42:43], -v[30:31], v[32:33], 1.0
	v_fmac_f64_e32 v[32:33], v[32:33], v[42:43]
	v_fma_f64 v[42:43], -v[30:31], v[32:33], 1.0
	v_fmac_f64_e32 v[32:33], v[32:33], v[42:43]
	v_div_scale_f64 v[42:43], vcc, 1.0, v[76:77], 1.0
	v_mul_f64 v[48:49], v[42:43], v[32:33]
	v_fma_f64 v[30:31], -v[30:31], v[48:49], v[42:43]
	s_nop 1
	v_div_fmas_f64 v[30:31], v[30:31], v[32:33], v[48:49]
	v_div_fixup_f64 v[30:31], v[30:31], v[76:77], 1.0
	v_mul_f64 v[4:5], v[30:31], v[4:5]
	global_store_dwordx2 v[24:25], v[4:5], off
	global_load_dwordx2 v[4:5], v[14:15], off
	s_waitcnt vmcnt(0)
	v_mul_f64 v[4:5], v[30:31], v[4:5]
	global_store_dwordx2 v[10:11], v[4:5], off
	global_load_dwordx2 v[4:5], v[12:13], off
	v_lshl_add_u64 v[12:13], s[4:5], 0, v[44:45]
	s_waitcnt vmcnt(0)
	v_mul_f64 v[4:5], v[30:31], v[4:5]
	global_store_dwordx2 v[6:7], v[4:5], off
	v_lshl_add_u64 v[4:5], s[4:5], 0, v[28:29]
	v_lshl_add_u64 v[6:7], s[4:5], 0, v[46:47]
	global_load_dwordx2 v[10:11], v[4:5], off
	global_load_dwordx2 v[14:15], v[6:7], off
	s_nop 0
	global_load_dwordx2 v[4:5], v[12:13], off
	s_waitcnt vmcnt(0)
	v_add_f64 v[4:5], v[10:11], v[4:5]
	v_add_f64 v[4:5], v[4:5], v[14:15]
	v_mul_f64 v[4:5], v[30:31], v[4:5]
	global_store_dwordx2 v[8:9], v[4:5], off
	v_lshlrev_b64 v[4:5], 3, v[16:17]
	v_add_u32_e32 v16, s1, v16
	v_lshlrev_b64 v[14:15], 3, v[16:17]
	v_lshl_add_u64 v[8:9], s[4:5], 0, v[4:5]
	v_add_u32_e32 v16, s2, v16
	v_lshl_add_u64 v[4:5], s[6:7], 0, v[4:5]
	v_lshl_add_u64 v[24:25], s[4:5], 0, v[14:15]
	global_load_dwordx2 v[8:9], v[8:9], off
	v_lshl_add_u64 v[14:15], s[6:7], 0, v[14:15]
	global_load_dwordx2 v[4:5], v[4:5], off
	s_nop 0
	global_load_dwordx2 v[24:25], v[24:25], off
	s_waitcnt vmcnt(0)
	v_add_f64 v[8:9], v[8:9], v[24:25]
	global_load_dwordx2 v[24:25], v[40:41], off
	s_waitcnt vmcnt(0)
	v_add_f64 v[8:9], v[8:9], v[24:25]
	v_lshlrev_b64 v[24:25], 3, v[16:17]
	v_add_u32_e32 v16, s1, v16
	global_load_dwordx2 v[14:15], v[14:15], off
	v_lshl_add_u64 v[28:29], s[4:5], 0, v[24:25]
	global_load_dwordx2 v[28:29], v[28:29], off
	s_waitcnt vmcnt(0)
	v_add_f64 v[8:9], v[8:9], v[28:29]
	v_lshlrev_b64 v[28:29], 3, v[16:17]
	v_add_u32_e32 v16, s1, v16
	v_lshl_add_u64 v[30:31], s[4:5], 0, v[28:29]
	global_load_dwordx2 v[30:31], v[30:31], off
	s_waitcnt vmcnt(0)
	v_add_f64 v[8:9], v[8:9], v[30:31]
	v_lshlrev_b64 v[30:31], 3, v[16:17]
	v_add_u32_e32 v16, s1, v16
	;; [unrolled: 6-line block ×4, first 2 shown]
	s_mul_i32 s3, s1, 0xffffffe9
	v_lshl_add_u64 v[42:43], s[4:5], 0, v[40:41]
	global_load_dwordx2 v[42:43], v[42:43], off
	s_waitcnt vmcnt(0)
	v_add_f64 v[8:9], v[8:9], v[42:43]
	v_lshlrev_b64 v[42:43], 3, v[16:17]
	v_add_u32_e32 v16, s3, v16
	s_mul_i32 s3, s1, 0x61
	v_lshl_add_u64 v[44:45], s[6:7], 0, v[42:43]
	global_load_dwordx2 v[44:45], v[44:45], off
	s_waitcnt vmcnt(0)
	v_add_f64 v[8:9], v[8:9], v[44:45]
	v_add_f64 v[8:9], v[8:9], v[34:35]
	global_load_dwordx2 v[34:35], v[36:37], off
	s_waitcnt vmcnt(0)
	v_add_f64 v[8:9], v[8:9], v[34:35]
	v_lshl_add_u64 v[34:35], s[4:5], 0, v[42:43]
	global_load_dwordx2 v[34:35], v[34:35], off
	s_waitcnt vmcnt(0)
	v_add_f64 v[4:5], v[34:35], v[4:5]
	v_add_f64 v[4:5], v[4:5], v[14:15]
	v_lshl_add_u64 v[14:15], s[6:7], 0, v[24:25]
	global_load_dwordx2 v[14:15], v[14:15], off
	s_waitcnt vmcnt(0)
	v_add_f64 v[4:5], v[4:5], v[14:15]
	v_lshl_add_u64 v[14:15], s[6:7], 0, v[28:29]
	global_load_dwordx2 v[14:15], v[14:15], off
	s_waitcnt vmcnt(0)
	;; [unrolled: 4-line block ×5, first 2 shown]
	v_add_f64 v[4:5], v[4:5], v[14:15]
	v_div_scale_f64 v[14:15], s[12:13], v[8:9], v[8:9], 1.0
	v_rcp_f64_e32 v[24:25], v[14:15]
	s_nop 0
	v_fma_f64 v[28:29], -v[14:15], v[24:25], 1.0
	v_fmac_f64_e32 v[24:25], v[24:25], v[28:29]
	v_fma_f64 v[28:29], -v[14:15], v[24:25], 1.0
	v_fmac_f64_e32 v[24:25], v[24:25], v[28:29]
	v_div_scale_f64 v[28:29], vcc, 1.0, v[8:9], 1.0
	v_mul_f64 v[30:31], v[28:29], v[24:25]
	v_fma_f64 v[14:15], -v[14:15], v[30:31], v[28:29]
	s_nop 1
	v_div_fmas_f64 v[14:15], v[14:15], v[24:25], v[30:31]
	v_div_fixup_f64 v[8:9], v[14:15], v[8:9], 1.0
	v_lshl_add_u64 v[14:15], s[8:9], 0, v[38:39]
	v_mul_f64 v[4:5], v[8:9], v[4:5]
	global_store_dwordx2 v[14:15], v[4:5], off
	global_load_dwordx2 v[4:5], v[2:3], off
	v_lshl_add_u64 v[14:15], v[16:17], 3, s[8:9]
	v_add_u32_e32 v16, s3, v16
	s_waitcnt vmcnt(0)
	v_mul_f64 v[4:5], v[8:9], v[4:5]
	global_store_dwordx2 v[14:15], v[4:5], off
	global_load_dwordx2 v[4:5], v[0:1], off
	s_nop 0
	global_load_dwordx2 v[14:15], v[18:19], off
	scratch_load_dwordx2 v[2:3], off, off   ; 8-byte Folded Reload
	s_waitcnt vmcnt(1)
	v_add_f64 v[0:1], v[4:5], v[14:15]
	s_waitcnt vmcnt(0)
	v_lshl_add_u64 v[2:3], s[8:9], 0, v[2:3]
	global_load_dwordx2 v[4:5], v[12:13], off
	v_mul_f64 v[0:1], v[8:9], v[0:1]
	global_store_dwordx2 v[2:3], v[0:1], off
	v_lshlrev_b64 v[0:1], 3, v[16:17]
	v_add_u32_e32 v16, s2, v16
	v_lshl_add_u64 v[2:3], s[4:5], 0, v[0:1]
	v_lshl_add_u64 v[0:1], s[6:7], 0, v[0:1]
	global_load_dwordx2 v[2:3], v[2:3], off
	s_nop 0
	global_load_dwordx2 v[6:7], v[6:7], off
	s_waitcnt vmcnt(1)
	v_add_f64 v[2:3], v[10:11], v[2:3]
	global_load_dwordx2 v[0:1], v[0:1], off
	v_add_f64 v[2:3], v[2:3], v[4:5]
	v_lshlrev_b64 v[4:5], 3, v[16:17]
	v_add_u32_e32 v16, s1, v16
	v_lshl_add_u64 v[8:9], s[4:5], 0, v[4:5]
	v_lshl_add_u64 v[4:5], s[6:7], 0, v[4:5]
	global_load_dwordx2 v[8:9], v[8:9], off
	s_waitcnt vmcnt(0)
	v_add_f64 v[2:3], v[2:3], v[8:9]
	v_lshlrev_b64 v[8:9], 3, v[16:17]
	v_add_u32_e32 v16, s2, v16
	s_mul_i32 s2, s1, 0xffffffdc
	global_load_dwordx2 v[4:5], v[4:5], off
	s_mulk_i32 s1, 0xffb0
	v_lshl_add_u64 v[10:11], s[4:5], 0, v[8:9]
	global_load_dwordx2 v[10:11], v[10:11], off
	s_waitcnt vmcnt(0)
	v_add_f64 v[2:3], v[2:3], v[10:11]
	v_add_f64 v[2:3], v[2:3], v[6:7]
	v_lshlrev_b64 v[6:7], 3, v[16:17]
	v_add_u32_e32 v16, s2, v16
	v_lshl_add_u64 v[10:11], s[4:5], 0, v[6:7]
	global_load_dwordx2 v[10:11], v[10:11], off
	s_waitcnt vmcnt(0)
	v_add_f64 v[2:3], v[2:3], v[10:11]
	v_lshlrev_b64 v[10:11], 3, v[16:17]
	v_add_u32_e32 v16, s11, v16
	v_lshl_add_u64 v[12:13], s[6:7], 0, v[10:11]
	v_lshl_add_u64 v[10:11], s[4:5], 0, v[10:11]
	global_load_dwordx2 v[12:13], v[12:13], off
	s_waitcnt vmcnt(0)
	v_add_f64 v[2:3], v[2:3], v[12:13]
	v_lshlrev_b64 v[12:13], 3, v[16:17]
	global_load_dwordx2 v[10:11], v[10:11], off
	v_add_u32_e32 v16, s1, v16
	v_lshl_add_u64 v[14:15], s[6:7], 0, v[12:13]
	v_lshl_add_u64 v[12:13], s[4:5], 0, v[12:13]
	global_load_dwordx2 v[12:13], v[12:13], off
	s_waitcnt vmcnt(0)
	v_add_f64 v[10:11], v[10:11], v[12:13]
	global_load_dwordx2 v[14:15], v[14:15], off
	v_add_f64 v[0:1], v[10:11], v[0:1]
	v_add_f64 v[0:1], v[0:1], v[4:5]
	v_lshl_add_u64 v[4:5], s[6:7], 0, v[8:9]
	global_load_dwordx2 v[4:5], v[4:5], off
	s_waitcnt vmcnt(1)
	v_add_f64 v[2:3], v[2:3], v[14:15]
	s_waitcnt vmcnt(0)
	v_add_f64 v[0:1], v[0:1], v[4:5]
	v_lshl_add_u64 v[4:5], s[6:7], 0, v[6:7]
	global_load_dwordx2 v[4:5], v[4:5], off
	s_waitcnt vmcnt(0)
	v_add_f64 v[0:1], v[0:1], v[4:5]
	v_div_scale_f64 v[4:5], s[2:3], v[2:3], v[2:3], 1.0
	v_rcp_f64_e32 v[6:7], v[4:5]
	s_nop 0
	v_fma_f64 v[8:9], -v[4:5], v[6:7], 1.0
	v_fmac_f64_e32 v[6:7], v[6:7], v[8:9]
	v_fma_f64 v[8:9], -v[4:5], v[6:7], 1.0
	v_fmac_f64_e32 v[6:7], v[6:7], v[8:9]
	v_div_scale_f64 v[8:9], vcc, 1.0, v[2:3], 1.0
	v_mul_f64 v[10:11], v[8:9], v[6:7]
	v_fma_f64 v[4:5], -v[4:5], v[10:11], v[8:9]
	s_nop 1
	v_div_fmas_f64 v[4:5], v[4:5], v[6:7], v[10:11]
	v_div_fixup_f64 v[2:3], v[4:5], v[2:3], 1.0
	v_lshl_add_u64 v[4:5], v[16:17], 3, s[8:9]
	v_add_u32_e32 v16, s0, v16
	v_mul_f64 v[0:1], v[2:3], v[0:1]
	global_store_dwordx2 v[4:5], v[0:1], off
	global_load_dwordx2 v[0:1], v[22:23], off
	s_nop 0
	global_load_dwordx2 v[4:5], v[26:27], off
	global_load_dwordx2 v[6:7], v[20:21], off
	s_waitcnt vmcnt(1)
	v_add_f64 v[4:5], v[0:1], v[4:5]
	s_waitcnt vmcnt(0)
	v_add_f64 v[0:1], v[4:5], v[6:7]
	v_mul_f64 v[0:1], v[2:3], v[0:1]
	v_lshl_add_u64 v[2:3], v[16:17], 3, s[8:9]
	global_store_dwordx2 v[2:3], v[0:1], off
	s_endpgm
	.section	.rodata,"a",@progbits
	.p2align	6, 0x0
	.amdhsa_kernel _Z11qssa_kernelIdEvPT_S1_S1_
		.amdhsa_group_segment_fixed_size 0
		.amdhsa_private_segment_fixed_size 20
		.amdhsa_kernarg_size 280
		.amdhsa_user_sgpr_count 2
		.amdhsa_user_sgpr_dispatch_ptr 0
		.amdhsa_user_sgpr_queue_ptr 0
		.amdhsa_user_sgpr_kernarg_segment_ptr 1
		.amdhsa_user_sgpr_dispatch_id 0
		.amdhsa_user_sgpr_kernarg_preload_length 0
		.amdhsa_user_sgpr_kernarg_preload_offset 0
		.amdhsa_user_sgpr_private_segment_size 0
		.amdhsa_uses_dynamic_stack 0
		.amdhsa_enable_private_segment 1
		.amdhsa_system_sgpr_workgroup_id_x 1
		.amdhsa_system_sgpr_workgroup_id_y 0
		.amdhsa_system_sgpr_workgroup_id_z 0
		.amdhsa_system_sgpr_workgroup_info 0
		.amdhsa_system_vgpr_workitem_id 0
		.amdhsa_next_free_vgpr 128
		.amdhsa_next_free_sgpr 22
		.amdhsa_accum_offset 128
		.amdhsa_reserve_vcc 1
		.amdhsa_float_round_mode_32 0
		.amdhsa_float_round_mode_16_64 0
		.amdhsa_float_denorm_mode_32 3
		.amdhsa_float_denorm_mode_16_64 3
		.amdhsa_dx10_clamp 1
		.amdhsa_ieee_mode 1
		.amdhsa_fp16_overflow 0
		.amdhsa_tg_split 0
		.amdhsa_exception_fp_ieee_invalid_op 0
		.amdhsa_exception_fp_denorm_src 0
		.amdhsa_exception_fp_ieee_div_zero 0
		.amdhsa_exception_fp_ieee_overflow 0
		.amdhsa_exception_fp_ieee_underflow 0
		.amdhsa_exception_fp_ieee_inexact 0
		.amdhsa_exception_int_div_zero 0
	.end_amdhsa_kernel
	.section	.text._Z11qssa_kernelIdEvPT_S1_S1_,"axG",@progbits,_Z11qssa_kernelIdEvPT_S1_S1_,comdat
.Lfunc_end43:
	.size	_Z11qssa_kernelIdEvPT_S1_S1_, .Lfunc_end43-_Z11qssa_kernelIdEvPT_S1_S1_
                                        ; -- End function
	.set _Z11qssa_kernelIdEvPT_S1_S1_.num_vgpr, 128
	.set _Z11qssa_kernelIdEvPT_S1_S1_.num_agpr, 0
	.set _Z11qssa_kernelIdEvPT_S1_S1_.numbered_sgpr, 22
	.set _Z11qssa_kernelIdEvPT_S1_S1_.num_named_barrier, 0
	.set _Z11qssa_kernelIdEvPT_S1_S1_.private_seg_size, 20
	.set _Z11qssa_kernelIdEvPT_S1_S1_.uses_vcc, 1
	.set _Z11qssa_kernelIdEvPT_S1_S1_.uses_flat_scratch, 0
	.set _Z11qssa_kernelIdEvPT_S1_S1_.has_dyn_sized_stack, 0
	.set _Z11qssa_kernelIdEvPT_S1_S1_.has_recursion, 0
	.set _Z11qssa_kernelIdEvPT_S1_S1_.has_indirect_call, 0
	.section	.AMDGPU.csdata,"",@progbits
; Kernel info:
; codeLenInByte = 12588
; TotalNumSgprs: 28
; NumVgprs: 128
; NumAgprs: 0
; TotalNumVgprs: 128
; ScratchSize: 20
; MemoryBound: 1
; FloatMode: 240
; IeeeMode: 1
; LDSByteSize: 0 bytes/workgroup (compile time only)
; SGPRBlocks: 3
; VGPRBlocks: 15
; NumSGPRsForWavesPerEU: 28
; NumVGPRsForWavesPerEU: 128
; AccumOffset: 128
; Occupancy: 4
; WaveLimiterHint : 1
; COMPUTE_PGM_RSRC2:SCRATCH_EN: 1
; COMPUTE_PGM_RSRC2:USER_SGPR: 2
; COMPUTE_PGM_RSRC2:TRAP_HANDLER: 0
; COMPUTE_PGM_RSRC2:TGID_X_EN: 1
; COMPUTE_PGM_RSRC2:TGID_Y_EN: 0
; COMPUTE_PGM_RSRC2:TGID_Z_EN: 0
; COMPUTE_PGM_RSRC2:TIDIG_COMP_CNT: 0
; COMPUTE_PGM_RSRC3_GFX90A:ACCUM_OFFSET: 31
; COMPUTE_PGM_RSRC3_GFX90A:TG_SPLIT: 0
	.section	.text._Z12qssab_kernelIdEvPT_S1_S1_,"axG",@progbits,_Z12qssab_kernelIdEvPT_S1_S1_,comdat
	.protected	_Z12qssab_kernelIdEvPT_S1_S1_ ; -- Begin function _Z12qssab_kernelIdEvPT_S1_S1_
	.globl	_Z12qssab_kernelIdEvPT_S1_S1_
	.p2align	8
	.type	_Z12qssab_kernelIdEvPT_S1_S1_,@function
_Z12qssab_kernelIdEvPT_S1_S1_:          ; @_Z12qssab_kernelIdEvPT_S1_S1_
; %bb.0:
	s_load_dword s3, s[0:1], 0x24
	s_load_dword s6, s[0:1], 0x18
	s_load_dwordx2 s[4:5], s[0:1], 0x10
	v_mov_b32_e32 v17, 0
	s_waitcnt lgkmcnt(0)
	s_and_b32 s1, s3, 0xffff
	s_mul_i32 s0, s6, s1
	s_mul_i32 s3, s0, 0x57
	s_mul_i32 s2, s2, s1
	s_add_i32 s3, s3, s2
	v_add_u32_e32 v16, s3, v0
	v_mad_u64_u32 v[0:1], s[2:3], s0, 10, v[16:17]
	v_mov_b32_e32 v1, v17
	v_lshl_add_u64 v[2:3], v[0:1], 3, s[4:5]
	v_mad_u64_u32 v[0:1], s[2:3], s0, 12, v[0:1]
	v_lshl_add_u64 v[28:29], v[16:17], 3, s[4:5]
	v_mov_b32_e32 v1, v17
	v_lshl_add_u64 v[4:5], v[0:1], 3, s[4:5]
	global_load_dwordx2 v[6:7], v[28:29], off
	global_load_dwordx2 v[8:9], v[2:3], off
	;; [unrolled: 1-line block ×3, first 2 shown]
	v_lshl_add_u32 v16, s0, 3, v0
	v_lshl_add_u64 v[0:1], v[16:17], 3, s[4:5]
	s_mul_i32 s1, s0, 0xffffffe6
	v_add_u32_e32 v16, s1, v16
	v_lshl_add_u64 v[30:31], v[16:17], 3, s[4:5]
	v_subrev_u32_e32 v16, s0, v16
	v_lshl_add_u64 v[32:33], v[16:17], 3, s[4:5]
	s_mul_i32 s8, s0, 5
	s_mul_i32 s1, s0, 3
	;; [unrolled: 1-line block ×4, first 2 shown]
	s_waitcnt vmcnt(0)
	v_fmac_f64_e32 v[6:7], v[8:9], v[10:11]
	global_store_dwordx2 v[28:29], v[6:7], off
	global_load_dwordx2 v[4:5], v[2:3], off
	global_load_dwordx2 v[8:9], v[0:1], off
	s_waitcnt vmcnt(0)
	v_fma_f64 v[0:1], -v[4:5], v[8:9], 1.0
	v_div_scale_f64 v[2:3], s[2:3], v[0:1], v[0:1], 1.0
	v_rcp_f64_e32 v[4:5], v[2:3]
	v_div_scale_f64 v[8:9], vcc, 1.0, v[0:1], 1.0
	s_mul_i32 s3, s0, 0xffffffc6
	v_fma_f64 v[10:11], -v[2:3], v[4:5], 1.0
	v_fmac_f64_e32 v[4:5], v[4:5], v[10:11]
	v_fma_f64 v[10:11], -v[2:3], v[4:5], 1.0
	v_fmac_f64_e32 v[4:5], v[4:5], v[10:11]
	v_mul_f64 v[10:11], v[8:9], v[4:5]
	v_fma_f64 v[2:3], -v[2:3], v[10:11], v[8:9]
	v_div_fmas_f64 v[2:3], v[2:3], v[4:5], v[10:11]
	v_div_fixup_f64 v[2:3], v[2:3], v[0:1], 1.0
	v_mul_f64 v[0:1], v[6:7], v[2:3]
	global_store_dwordx2 v[28:29], v[0:1], off
	global_load_dwordx2 v[0:1], v[30:31], off
	v_add_u32_e32 v16, s3, v16
	s_mul_i32 s2, s0, 0xffffffeb
	s_waitcnt vmcnt(0)
	v_mul_f64 v[0:1], v[0:1], v[2:3]
	global_store_dwordx2 v[30:31], v[0:1], off
	global_load_dwordx2 v[4:5], v[32:33], off
	v_lshl_add_u64 v[0:1], v[16:17], 3, s[4:5]
	v_add_u32_e32 v16, s8, v16
	v_mad_u64_u32 v[8:9], s[6:7], s0, 17, v[16:17]
	v_mov_b32_e32 v9, v17
	v_lshl_add_u64 v[6:7], v[16:17], 3, s[4:5]
	v_lshl_add_u64 v[10:11], v[8:9], 3, s[4:5]
	v_add_u32_e32 v16, s1, v8
	v_lshl_add_u64 v[8:9], v[16:17], 3, s[4:5]
	v_add_u32_e32 v16, s2, v16
	s_lshl_b32 s2, s0, 1
	s_waitcnt vmcnt(0)
	v_mul_f64 v[2:3], v[2:3], v[4:5]
	global_store_dwordx2 v[32:33], v[2:3], off
	global_load_dwordx2 v[4:5], v[0:1], off
	s_nop 0
	global_load_dwordx2 v[2:3], v[6:7], off
	global_load_dwordx2 v[12:13], v[10:11], off
	s_waitcnt vmcnt(0)
	v_fmac_f64_e32 v[4:5], v[2:3], v[12:13]
	global_store_dwordx2 v[0:1], v[4:5], off
	global_load_dwordx2 v[2:3], v[6:7], off
	global_load_dwordx2 v[10:11], v[8:9], off
	s_waitcnt vmcnt(0)
	v_fma_f64 v[6:7], -v[2:3], v[10:11], 1.0
	v_div_scale_f64 v[8:9], s[6:7], v[6:7], v[6:7], 1.0
	v_rcp_f64_e32 v[10:11], v[8:9]
	v_div_scale_f64 v[12:13], vcc, 1.0, v[6:7], 1.0
	v_lshl_add_u64 v[2:3], v[16:17], 3, s[4:5]
	v_fma_f64 v[14:15], -v[8:9], v[10:11], 1.0
	v_fmac_f64_e32 v[10:11], v[10:11], v[14:15]
	v_fma_f64 v[14:15], -v[8:9], v[10:11], 1.0
	v_fmac_f64_e32 v[10:11], v[10:11], v[14:15]
	v_mul_f64 v[14:15], v[12:13], v[10:11]
	v_fma_f64 v[8:9], -v[8:9], v[14:15], v[12:13]
	v_div_fmas_f64 v[8:9], v[8:9], v[10:11], v[14:15]
	v_div_fixup_f64 v[6:7], v[8:9], v[6:7], 1.0
	v_mul_f64 v[4:5], v[4:5], v[6:7]
	global_store_dwordx2 v[0:1], v[4:5], off
	global_load_dwordx2 v[4:5], v[2:3], off
	v_subrev_u32_e32 v16, s2, v16
	v_lshl_add_u64 v[10:11], v[16:17], 3, s[4:5]
	v_subrev_u32_e32 v16, s0, v16
	v_lshl_add_u64 v[26:27], v[16:17], 3, s[4:5]
	v_add_u32_e32 v16, s9, v16
	v_lshl_add_u64 v[42:43], v[16:17], 3, s[4:5]
	v_subrev_u32_e32 v16, s2, v16
	v_lshl_add_u64 v[24:25], v[16:17], 3, s[4:5]
	v_add_u32_e32 v16, s8, v16
	s_waitcnt vmcnt(0)
	v_mul_f64 v[4:5], v[4:5], v[6:7]
	global_store_dwordx2 v[2:3], v[4:5], off
	global_load_dwordx2 v[4:5], v[10:11], off
	s_waitcnt vmcnt(0)
	v_mul_f64 v[4:5], v[6:7], v[4:5]
	global_store_dwordx2 v[10:11], v[4:5], off
	global_load_dwordx2 v[4:5], v[26:27], off
	;; [unrolled: 4-line block ×4, first 2 shown]
	v_lshl_add_u64 v[4:5], v[16:17], 3, s[4:5]
	v_add_u32_e32 v16, s12, v16
	v_mad_u64_u32 v[14:15], s[6:7], s0, 46, v[16:17]
	v_mov_b32_e32 v15, v17
	v_lshl_add_u64 v[12:13], v[16:17], 3, s[4:5]
	v_lshl_add_u64 v[20:21], v[14:15], 3, s[4:5]
	s_mul_i32 s6, s0, 0xffffffd0
	v_add_u32_e32 v16, s6, v14
	v_mad_u64_u32 v[14:15], s[6:7], s0, 55, v[16:17]
	v_mov_b32_e32 v15, v17
	v_lshl_add_u64 v[18:19], v[14:15], 3, s[4:5]
	s_mul_i32 s7, s0, -3
	s_mul_i32 s6, s0, 0xffffffc8
	s_waitcnt vmcnt(0)
	v_mul_f64 v[6:7], v[6:7], v[8:9]
	global_store_dwordx2 v[24:25], v[6:7], off
	global_load_dwordx2 v[6:7], v[4:5], off
	s_nop 0
	global_load_dwordx2 v[22:23], v[12:13], off
	global_load_dwordx2 v[34:35], v[20:21], off
	v_lshl_add_u64 v[8:9], v[16:17], 3, s[4:5]
	v_add_u32_e32 v16, s7, v14
	v_lshl_add_u64 v[36:37], v[16:17], 3, s[4:5]
	v_add_u32_e32 v16, s6, v16
	s_mul_i32 s6, s0, -5
	s_waitcnt vmcnt(0)
	v_fmac_f64_e32 v[6:7], v[22:23], v[34:35]
	global_store_dwordx2 v[4:5], v[6:7], off
	global_load_dwordx2 v[6:7], v[8:9], off
	s_nop 0
	global_load_dwordx2 v[22:23], v[18:19], off
	global_load_dwordx2 v[34:35], v[12:13], off
	s_waitcnt vmcnt(0)
	v_fmac_f64_e32 v[6:7], v[34:35], v[22:23]
	global_store_dwordx2 v[8:9], v[6:7], off
	global_load_dwordx2 v[6:7], v[12:13], off
	s_nop 0
	global_load_dwordx2 v[14:15], v[36:37], off
	global_load_dwordx2 v[22:23], v[4:5], off
	s_waitcnt vmcnt(1)
	v_fma_f64 v[12:13], -v[6:7], v[14:15], 1.0
	v_div_scale_f64 v[14:15], s[10:11], v[12:13], v[12:13], 1.0
	v_rcp_f64_e32 v[34:35], v[14:15]
	v_div_scale_f64 v[38:39], vcc, 1.0, v[12:13], 1.0
	v_lshl_add_u64 v[6:7], v[16:17], 3, s[4:5]
	v_fma_f64 v[40:41], -v[14:15], v[34:35], 1.0
	v_fmac_f64_e32 v[34:35], v[34:35], v[40:41]
	v_fma_f64 v[40:41], -v[14:15], v[34:35], 1.0
	v_fmac_f64_e32 v[34:35], v[34:35], v[40:41]
	v_mul_f64 v[40:41], v[38:39], v[34:35]
	v_fma_f64 v[14:15], -v[14:15], v[40:41], v[38:39]
	v_div_fmas_f64 v[14:15], v[14:15], v[34:35], v[40:41]
	v_div_fixup_f64 v[14:15], v[14:15], v[12:13], 1.0
	s_waitcnt vmcnt(0)
	v_mul_f64 v[12:13], v[22:23], v[14:15]
	global_store_dwordx2 v[4:5], v[12:13], off
	global_load_dwordx2 v[12:13], v[6:7], off
	v_subrev_u32_e32 v16, s0, v16
	v_lshl_add_u64 v[22:23], v[16:17], 3, s[4:5]
	v_subrev_u32_e32 v16, s0, v16
	v_lshl_add_u64 v[44:45], v[16:17], 3, s[4:5]
	v_add_u32_e32 v16, s9, v16
	v_lshl_add_u64 v[48:49], v[16:17], 3, s[4:5]
	s_waitcnt vmcnt(0)
	v_mul_f64 v[12:13], v[12:13], v[14:15]
	global_store_dwordx2 v[6:7], v[12:13], off
	global_load_dwordx2 v[12:13], v[8:9], off
	s_waitcnt vmcnt(0)
	v_mul_f64 v[12:13], v[14:15], v[12:13]
	global_store_dwordx2 v[8:9], v[12:13], off
	global_load_dwordx2 v[12:13], v[22:23], off
	;; [unrolled: 4-line block ×4, first 2 shown]
	v_mad_u64_u32 v[12:13], s[10:11], s0, 25, v[16:17]
	v_mov_b32_e32 v13, v17
	v_add_u32_e32 v16, s12, v12
	v_lshl_add_u64 v[12:13], v[12:13], 3, s[4:5]
	v_lshl_add_u64 v[38:39], v[16:17], 3, s[4:5]
	v_add_u32_e32 v16, s6, v16
	s_waitcnt vmcnt(0)
	v_mul_f64 v[14:15], v[14:15], v[34:35]
	global_store_dwordx2 v[48:49], v[14:15], off
	global_load_dwordx2 v[34:35], v[12:13], off
	global_load_dwordx2 v[40:41], v[38:39], off
	;; [unrolled: 1-line block ×3, first 2 shown]
	v_lshl_add_u64 v[14:15], v[16:17], 3, s[4:5]
	v_subrev_u32_e32 v16, s2, v16
	s_waitcnt vmcnt(0)
	v_fmac_f64_e32 v[34:35], v[40:41], v[46:47]
	global_store_dwordx2 v[12:13], v[34:35], off
	global_load_dwordx2 v[20:21], v[14:15], off
	s_nop 0
	global_load_dwordx2 v[34:35], v[38:39], off
	global_load_dwordx2 v[40:41], v[36:37], off
	s_waitcnt vmcnt(0)
	v_fmac_f64_e32 v[20:21], v[34:35], v[40:41]
	global_store_dwordx2 v[14:15], v[20:21], off
	global_load_dwordx2 v[20:21], v[38:39], off
	s_nop 0
	global_load_dwordx2 v[34:35], v[18:19], off
	global_load_dwordx2 v[36:37], v[12:13], off
	s_waitcnt vmcnt(1)
	v_fma_f64 v[18:19], -v[20:21], v[34:35], 1.0
	v_div_scale_f64 v[20:21], s[10:11], v[18:19], v[18:19], 1.0
	v_rcp_f64_e32 v[34:35], v[20:21]
	v_div_scale_f64 v[38:39], vcc, 1.0, v[18:19], 1.0
	v_fma_f64 v[40:41], -v[20:21], v[34:35], 1.0
	v_fmac_f64_e32 v[34:35], v[34:35], v[40:41]
	v_fma_f64 v[40:41], -v[20:21], v[34:35], 1.0
	v_fmac_f64_e32 v[34:35], v[34:35], v[40:41]
	v_mul_f64 v[40:41], v[38:39], v[34:35]
	v_fma_f64 v[20:21], -v[20:21], v[40:41], v[38:39]
	v_div_fmas_f64 v[20:21], v[20:21], v[34:35], v[40:41]
	v_div_fixup_f64 v[18:19], v[20:21], v[18:19], 1.0
	s_waitcnt vmcnt(0)
	v_mul_f64 v[20:21], v[36:37], v[18:19]
	global_store_dwordx2 v[12:13], v[20:21], off
	global_load_dwordx2 v[34:35], v[14:15], off
	v_lshl_add_u64 v[20:21], v[16:17], 3, s[4:5]
	v_subrev_u32_e32 v16, s0, v16
	v_lshl_add_u64 v[40:41], v[16:17], 3, s[4:5]
	v_add_u32_e32 v16, s8, v16
	v_lshl_add_u64 v[38:39], v[16:17], 3, s[4:5]
	s_mul_i32 s8, s0, 0xffffffef
	v_add_u32_e32 v16, s8, v16
	v_lshl_add_u64 v[36:37], v[16:17], 3, s[4:5]
	v_add_u32_e32 v16, s9, v16
	v_lshl_add_u64 v[46:47], v[16:17], 3, s[4:5]
	s_mul_i32 s8, s0, 0xffffffdf
	v_add_u32_e32 v16, s8, v16
	v_mad_u64_u32 v[54:55], s[8:9], s0, 28, v[16:17]
	v_mov_b32_e32 v55, v17
	s_waitcnt vmcnt(0)
	v_mul_f64 v[34:35], v[34:35], v[18:19]
	global_store_dwordx2 v[14:15], v[34:35], off
	global_load_dwordx2 v[34:35], v[20:21], off
	s_waitcnt vmcnt(0)
	v_mul_f64 v[34:35], v[18:19], v[34:35]
	global_store_dwordx2 v[20:21], v[34:35], off
	global_load_dwordx2 v[34:35], v[40:41], off
	;; [unrolled: 4-line block ×4, first 2 shown]
	s_nop 0
	global_load_dwordx2 v[34:35], v[24:25], off
	global_load_dwordx2 v[50:51], v[36:37], off
	s_waitcnt vmcnt(0)
	v_fmac_f64_e32 v[18:19], v[34:35], v[50:51]
	global_store_dwordx2 v[0:1], v[18:19], off
	global_load_dwordx2 v[34:35], v[24:25], off
	global_load_dwordx2 v[52:53], v[46:47], off
	v_lshl_add_u64 v[18:19], v[16:17], 3, s[4:5]
	v_lshl_add_u64 v[50:51], v[54:55], 3, s[4:5]
	v_add_u32_e32 v16, s0, v54
	v_lshl_add_u64 v[54:55], v[16:17], 3, s[4:5]
	s_waitcnt vmcnt(0)
	v_mul_f64 v[34:35], v[34:35], v[52:53]
	global_store_dwordx2 v[18:19], v[34:35], off
	global_load_dwordx2 v[34:35], v[10:11], off
	s_nop 0
	global_load_dwordx2 v[52:53], v[24:25], off
	global_load_dwordx2 v[56:57], v[50:51], off
	s_waitcnt vmcnt(0)
	v_fmac_f64_e32 v[34:35], v[52:53], v[56:57]
	global_store_dwordx2 v[10:11], v[34:35], off
	global_load_dwordx2 v[34:35], v[24:25], off
	s_nop 0
	global_load_dwordx2 v[52:53], v[54:55], off
	global_load_dwordx2 v[56:57], v[0:1], off
	s_waitcnt vmcnt(1)
	v_fma_f64 v[24:25], -v[34:35], v[52:53], 1.0
	v_div_scale_f64 v[34:35], s[8:9], v[24:25], v[24:25], 1.0
	v_rcp_f64_e32 v[52:53], v[34:35]
	s_nop 0
	v_fma_f64 v[58:59], -v[34:35], v[52:53], 1.0
	v_fmac_f64_e32 v[52:53], v[52:53], v[58:59]
	v_fma_f64 v[58:59], -v[34:35], v[52:53], 1.0
	v_fmac_f64_e32 v[52:53], v[52:53], v[58:59]
	v_div_scale_f64 v[58:59], vcc, 1.0, v[24:25], 1.0
	v_mul_f64 v[60:61], v[58:59], v[52:53]
	v_fma_f64 v[34:35], -v[34:35], v[60:61], v[58:59]
	s_nop 1
	v_div_fmas_f64 v[34:35], v[34:35], v[52:53], v[60:61]
	v_div_fixup_f64 v[24:25], v[34:35], v[24:25], 1.0
	s_waitcnt vmcnt(0)
	v_mul_f64 v[34:35], v[56:57], v[24:25]
	global_store_dwordx2 v[0:1], v[34:35], off
	global_load_dwordx2 v[34:35], v[2:3], off
	v_mad_u64_u32 v[56:57], s[8:9], s0, 11, v[16:17]
	v_mov_b32_e32 v57, v17
	v_add_u32_e32 v16, s3, v56
	s_lshl_b32 s3, s0, 2
	s_waitcnt vmcnt(0)
	v_mul_f64 v[34:35], v[34:35], v[24:25]
	global_store_dwordx2 v[2:3], v[34:35], off
	global_load_dwordx2 v[34:35], v[18:19], off
	s_waitcnt vmcnt(0)
	v_mul_f64 v[34:35], v[24:25], v[34:35]
	global_store_dwordx2 v[18:19], v[34:35], off
	global_load_dwordx2 v[34:35], v[10:11], off
	;; [unrolled: 4-line block ×5, first 2 shown]
	s_nop 0
	global_load_dwordx2 v[34:35], v[38:39], off
	global_load_dwordx2 v[52:53], v[36:37], off
	s_waitcnt vmcnt(0)
	v_fmac_f64_e32 v[24:25], v[34:35], v[52:53]
	global_store_dwordx2 v[12:13], v[24:25], off
	global_load_dwordx2 v[34:35], v[38:39], off
	global_load_dwordx2 v[52:53], v[54:55], off
	v_lshl_add_u64 v[24:25], v[56:57], 3, s[4:5]
	v_mad_u64_u32 v[56:57], s[8:9], s0, 6, v[16:17]
	v_mov_b32_e32 v57, v17
	s_waitcnt vmcnt(0)
	v_mul_f64 v[34:35], v[34:35], v[52:53]
	global_store_dwordx2 v[24:25], v[34:35], off
	global_load_dwordx2 v[34:35], v[20:21], off
	s_nop 0
	global_load_dwordx2 v[52:53], v[38:39], off
	global_load_dwordx2 v[58:59], v[50:51], off
	s_waitcnt vmcnt(0)
	v_fmac_f64_e32 v[34:35], v[52:53], v[58:59]
	global_store_dwordx2 v[20:21], v[34:35], off
	global_load_dwordx2 v[34:35], v[38:39], off
	s_nop 0
	global_load_dwordx2 v[52:53], v[46:47], off
	global_load_dwordx2 v[58:59], v[12:13], off
	s_waitcnt vmcnt(1)
	v_fma_f64 v[34:35], -v[34:35], v[52:53], 1.0
	v_div_scale_f64 v[38:39], s[8:9], v[34:35], v[34:35], 1.0
	v_rcp_f64_e32 v[52:53], v[38:39]
	s_nop 0
	v_fma_f64 v[60:61], -v[38:39], v[52:53], 1.0
	v_fmac_f64_e32 v[52:53], v[52:53], v[60:61]
	v_fma_f64 v[60:61], -v[38:39], v[52:53], 1.0
	v_fmac_f64_e32 v[52:53], v[52:53], v[60:61]
	v_div_scale_f64 v[60:61], vcc, 1.0, v[34:35], 1.0
	v_mul_f64 v[62:63], v[60:61], v[52:53]
	v_fma_f64 v[38:39], -v[38:39], v[62:63], v[60:61]
	s_nop 1
	v_div_fmas_f64 v[38:39], v[38:39], v[52:53], v[62:63]
	v_div_fixup_f64 v[38:39], v[38:39], v[34:35], 1.0
	s_waitcnt vmcnt(0)
	v_mul_f64 v[34:35], v[58:59], v[38:39]
	global_store_dwordx2 v[12:13], v[34:35], off
	global_load_dwordx2 v[34:35], v[14:15], off
	v_lshl_add_u64 v[58:59], v[56:57], 3, s[4:5]
	s_waitcnt vmcnt(0)
	v_mul_f64 v[34:35], v[34:35], v[38:39]
	global_store_dwordx2 v[14:15], v[34:35], off
	global_load_dwordx2 v[34:35], v[24:25], off
	s_waitcnt vmcnt(0)
	v_mul_f64 v[34:35], v[38:39], v[34:35]
	global_store_dwordx2 v[24:25], v[34:35], off
	global_load_dwordx2 v[34:35], v[20:21], off
	;; [unrolled: 4-line block ×3, first 2 shown]
	v_lshl_add_u64 v[34:35], v[16:17], 3, s[4:5]
	v_add_u32_e32 v16, s7, v56
	s_waitcnt vmcnt(0)
	v_mul_f64 v[38:39], v[38:39], v[52:53]
	global_store_dwordx2 v[40:41], v[38:39], off
	global_load_dwordx2 v[38:39], v[34:35], off
	s_nop 0
	global_load_dwordx2 v[52:53], v[58:59], off
	global_load_dwordx2 v[60:61], v[36:37], off
	v_lshl_add_u64 v[36:37], v[16:17], 3, s[4:5]
	v_add_u32_e32 v16, s3, v16
	s_waitcnt vmcnt(0)
	v_fmac_f64_e32 v[38:39], v[52:53], v[60:61]
	global_store_dwordx2 v[34:35], v[38:39], off
	global_load_dwordx2 v[52:53], v[36:37], off
	global_load_dwordx2 v[56:57], v[58:59], off
	;; [unrolled: 1-line block ×3, first 2 shown]
	v_lshl_add_u64 v[38:39], v[16:17], 3, s[4:5]
	v_add_u32_e32 v16, s7, v16
	s_waitcnt vmcnt(0)
	v_fmac_f64_e32 v[52:53], v[56:57], v[60:61]
	global_store_dwordx2 v[36:37], v[52:53], off
	global_load_dwordx2 v[52:53], v[38:39], off
	s_nop 0
	global_load_dwordx2 v[54:55], v[58:59], off
	global_load_dwordx2 v[56:57], v[46:47], off
	s_waitcnt vmcnt(0)
	v_fmac_f64_e32 v[52:53], v[54:55], v[56:57]
	global_store_dwordx2 v[38:39], v[52:53], off
	global_load_dwordx2 v[46:47], v[58:59], off
	s_nop 0
	global_load_dwordx2 v[52:53], v[50:51], off
	global_load_dwordx2 v[54:55], v[34:35], off
	s_waitcnt vmcnt(1)
	v_fma_f64 v[50:51], -v[46:47], v[52:53], 1.0
	v_div_scale_f64 v[46:47], s[8:9], v[50:51], v[50:51], 1.0
	v_rcp_f64_e32 v[52:53], v[46:47]
	v_div_scale_f64 v[56:57], vcc, 1.0, v[50:51], 1.0
	v_fma_f64 v[58:59], -v[46:47], v[52:53], 1.0
	v_fmac_f64_e32 v[52:53], v[52:53], v[58:59]
	v_fma_f64 v[58:59], -v[46:47], v[52:53], 1.0
	v_fmac_f64_e32 v[52:53], v[52:53], v[58:59]
	v_mul_f64 v[58:59], v[56:57], v[52:53]
	v_fma_f64 v[56:57], -v[46:47], v[58:59], v[56:57]
	v_div_fmas_f64 v[52:53], v[56:57], v[52:53], v[58:59]
	v_div_fixup_f64 v[52:53], v[52:53], v[50:51], 1.0
	s_waitcnt vmcnt(0)
	v_mul_f64 v[50:51], v[54:55], v[52:53]
	v_lshl_add_u64 v[46:47], v[16:17], 3, s[4:5]
	global_store_dwordx2 v[34:35], v[50:51], off
	global_load_dwordx2 v[50:51], v[46:47], off
	v_add_u32_e32 v16, s7, v16
	s_waitcnt vmcnt(0)
	v_mul_f64 v[50:51], v[50:51], v[52:53]
	global_store_dwordx2 v[46:47], v[50:51], off
	global_load_dwordx2 v[50:51], v[36:37], off
	s_waitcnt vmcnt(0)
	v_mul_f64 v[50:51], v[52:53], v[50:51]
	global_store_dwordx2 v[36:37], v[50:51], off
	global_load_dwordx2 v[54:55], v[38:39], off
	v_lshl_add_u64 v[50:51], v[16:17], 3, s[4:5]
	s_waitcnt vmcnt(0)
	v_mul_f64 v[54:55], v[52:53], v[54:55]
	global_store_dwordx2 v[38:39], v[54:55], off
	global_load_dwordx2 v[54:55], v[50:51], off
	s_waitcnt vmcnt(0)
	v_mul_f64 v[52:53], v[52:53], v[54:55]
	global_store_dwordx2 v[50:51], v[52:53], off
	global_load_dwordx2 v[52:53], v[4:5], off
	s_nop 0
	global_load_dwordx2 v[54:55], v[48:49], off
	global_load_dwordx2 v[56:57], v[28:29], off
	s_waitcnt vmcnt(0)
	v_fmac_f64_e32 v[52:53], v[54:55], v[56:57]
	global_store_dwordx2 v[4:5], v[52:53], off
	global_load_dwordx2 v[52:53], v[6:7], off
	s_nop 0
	global_load_dwordx2 v[54:55], v[48:49], off
	global_load_dwordx2 v[56:57], v[32:33], off
	s_waitcnt vmcnt(0)
	v_fmac_f64_e32 v[52:53], v[54:55], v[56:57]
	global_store_dwordx2 v[6:7], v[52:53], off
	global_load_dwordx2 v[52:53], v[48:49], off
	s_nop 0
	global_load_dwordx2 v[54:55], v[30:31], off
	global_load_dwordx2 v[56:57], v[4:5], off
	s_waitcnt vmcnt(1)
	v_fma_f64 v[48:49], -v[52:53], v[54:55], 1.0
	v_div_scale_f64 v[52:53], s[8:9], v[48:49], v[48:49], 1.0
	v_rcp_f64_e32 v[54:55], v[52:53]
	s_nop 0
	v_fma_f64 v[58:59], -v[52:53], v[54:55], 1.0
	v_fmac_f64_e32 v[54:55], v[54:55], v[58:59]
	v_fma_f64 v[58:59], -v[52:53], v[54:55], 1.0
	v_fmac_f64_e32 v[54:55], v[54:55], v[58:59]
	v_div_scale_f64 v[58:59], vcc, 1.0, v[48:49], 1.0
	v_mul_f64 v[60:61], v[58:59], v[54:55]
	v_fma_f64 v[52:53], -v[52:53], v[60:61], v[58:59]
	s_nop 1
	v_div_fmas_f64 v[52:53], v[52:53], v[54:55], v[60:61]
	v_div_fixup_f64 v[48:49], v[52:53], v[48:49], 1.0
	s_waitcnt vmcnt(0)
	v_mul_f64 v[52:53], v[56:57], v[48:49]
	global_store_dwordx2 v[4:5], v[52:53], off
	global_load_dwordx2 v[52:53], v[6:7], off
	s_waitcnt vmcnt(0)
	v_mul_f64 v[52:53], v[52:53], v[48:49]
	global_store_dwordx2 v[6:7], v[52:53], off
	global_load_dwordx2 v[52:53], v[8:9], off
	;; [unrolled: 4-line block ×5, first 2 shown]
	s_nop 0
	global_load_dwordx2 v[52:53], v[42:43], off
	global_load_dwordx2 v[54:55], v[28:29], off
	s_waitcnt vmcnt(0)
	v_fmac_f64_e32 v[48:49], v[52:53], v[54:55]
	global_store_dwordx2 v[0:1], v[48:49], off
	global_load_dwordx2 v[28:29], v[2:3], off
	s_nop 0
	global_load_dwordx2 v[48:49], v[42:43], off
	global_load_dwordx2 v[52:53], v[30:31], off
	s_waitcnt vmcnt(0)
	v_fmac_f64_e32 v[28:29], v[48:49], v[52:53]
	global_store_dwordx2 v[2:3], v[28:29], off
	global_load_dwordx2 v[28:29], v[42:43], off
	s_nop 0
	global_load_dwordx2 v[30:31], v[32:33], off
	global_load_dwordx2 v[48:49], v[0:1], off
	s_waitcnt vmcnt(1)
	v_fma_f64 v[28:29], -v[28:29], v[30:31], 1.0
	v_div_scale_f64 v[30:31], s[8:9], v[28:29], v[28:29], 1.0
	v_rcp_f64_e32 v[32:33], v[30:31]
	v_div_scale_f64 v[42:43], vcc, 1.0, v[28:29], 1.0
	v_fma_f64 v[52:53], -v[30:31], v[32:33], 1.0
	v_fmac_f64_e32 v[32:33], v[32:33], v[52:53]
	v_fma_f64 v[52:53], -v[30:31], v[32:33], 1.0
	v_fmac_f64_e32 v[32:33], v[32:33], v[52:53]
	v_mul_f64 v[52:53], v[42:43], v[32:33]
	v_fma_f64 v[30:31], -v[30:31], v[52:53], v[42:43]
	v_div_fmas_f64 v[30:31], v[30:31], v[32:33], v[52:53]
	v_div_fixup_f64 v[30:31], v[30:31], v[28:29], 1.0
	s_waitcnt vmcnt(0)
	v_mul_f64 v[28:29], v[48:49], v[30:31]
	global_store_dwordx2 v[0:1], v[28:29], off
	global_load_dwordx2 v[28:29], v[2:3], off
	v_mad_u64_u32 v[42:43], s[8:9], s0, -12, v[16:17]
	v_mov_b32_e32 v43, v17
	v_add_u32_e32 v16, s1, v42
	s_waitcnt vmcnt(0)
	v_mul_f64 v[28:29], v[28:29], v[30:31]
	global_store_dwordx2 v[2:3], v[28:29], off
	global_load_dwordx2 v[28:29], v[18:19], off
	s_waitcnt vmcnt(0)
	v_mul_f64 v[28:29], v[30:31], v[28:29]
	global_store_dwordx2 v[18:19], v[28:29], off
	global_load_dwordx2 v[28:29], v[10:11], off
	;; [unrolled: 4-line block ×3, first 2 shown]
	v_lshl_add_u64 v[28:29], v[42:43], 3, s[4:5]
	s_waitcnt vmcnt(0)
	v_mul_f64 v[30:31], v[30:31], v[32:33]
	global_store_dwordx2 v[26:27], v[30:31], off
	global_load_dwordx2 v[32:33], v[4:5], off
	global_load_dwordx2 v[48:49], v[44:45], off
	;; [unrolled: 1-line block ×3, first 2 shown]
	v_lshl_add_u64 v[30:31], v[16:17], 3, s[4:5]
	v_add_u32_e32 v16, s3, v16
	s_waitcnt vmcnt(0)
	v_fmac_f64_e32 v[32:33], v[48:49], v[52:53]
	global_store_dwordx2 v[4:5], v[32:33], off
	global_load_dwordx2 v[42:43], v[6:7], off
	global_load_dwordx2 v[48:49], v[44:45], off
	global_load_dwordx2 v[52:53], v[30:31], off
	v_lshl_add_u64 v[32:33], v[16:17], 3, s[4:5]
	v_add_u32_e32 v16, s6, v16
	s_waitcnt vmcnt(0)
	v_fmac_f64_e32 v[42:43], v[48:49], v[52:53]
	global_store_dwordx2 v[6:7], v[42:43], off
	global_load_dwordx2 v[48:49], v[8:9], off
	global_load_dwordx2 v[52:53], v[44:45], off
	;; [unrolled: 1-line block ×3, first 2 shown]
	v_lshl_add_u64 v[42:43], v[16:17], 3, s[4:5]
	v_add_u32_e32 v16, s2, v16
	v_lshl_add_u64 v[16:17], v[16:17], 3, s[4:5]
	s_waitcnt vmcnt(0)
	v_fmac_f64_e32 v[48:49], v[52:53], v[54:55]
	global_store_dwordx2 v[8:9], v[48:49], off
	global_load_dwordx2 v[48:49], v[22:23], off
	s_nop 0
	global_load_dwordx2 v[52:53], v[44:45], off
	global_load_dwordx2 v[54:55], v[42:43], off
	s_waitcnt vmcnt(0)
	v_fmac_f64_e32 v[48:49], v[52:53], v[54:55]
	global_store_dwordx2 v[22:23], v[48:49], off
	global_load_dwordx2 v[48:49], v[44:45], off
	s_nop 0
	global_load_dwordx2 v[52:53], v[16:17], off
	global_load_dwordx2 v[54:55], v[4:5], off
	s_waitcnt vmcnt(1)
	v_fma_f64 v[44:45], -v[48:49], v[52:53], 1.0
	v_div_scale_f64 v[48:49], s[0:1], v[44:45], v[44:45], 1.0
	v_rcp_f64_e32 v[52:53], v[48:49]
	v_div_scale_f64 v[56:57], vcc, 1.0, v[44:45], 1.0
	v_fma_f64 v[58:59], -v[48:49], v[52:53], 1.0
	v_fmac_f64_e32 v[52:53], v[52:53], v[58:59]
	v_fma_f64 v[58:59], -v[48:49], v[52:53], 1.0
	v_fmac_f64_e32 v[52:53], v[52:53], v[58:59]
	v_mul_f64 v[58:59], v[56:57], v[52:53]
	v_fma_f64 v[48:49], -v[48:49], v[58:59], v[56:57]
	v_div_fmas_f64 v[48:49], v[48:49], v[52:53], v[58:59]
	v_div_fixup_f64 v[44:45], v[48:49], v[44:45], 1.0
	s_waitcnt vmcnt(0)
	v_mul_f64 v[48:49], v[54:55], v[44:45]
	global_store_dwordx2 v[4:5], v[48:49], off
	global_load_dwordx2 v[48:49], v[6:7], off
	s_waitcnt vmcnt(0)
	v_mul_f64 v[48:49], v[48:49], v[44:45]
	global_store_dwordx2 v[6:7], v[48:49], off
	global_load_dwordx2 v[48:49], v[8:9], off
	s_waitcnt vmcnt(0)
	v_mul_f64 v[48:49], v[44:45], v[48:49]
	global_store_dwordx2 v[8:9], v[48:49], off
	global_load_dwordx2 v[48:49], v[22:23], off
	s_waitcnt vmcnt(0)
	v_mul_f64 v[44:45], v[44:45], v[48:49]
	global_store_dwordx2 v[22:23], v[44:45], off
	global_load_dwordx2 v[44:45], v[0:1], off
	s_nop 0
	global_load_dwordx2 v[48:49], v[26:27], off
	global_load_dwordx2 v[52:53], v[28:29], off
	s_waitcnt vmcnt(0)
	v_fmac_f64_e32 v[44:45], v[48:49], v[52:53]
	global_store_dwordx2 v[0:1], v[44:45], off
	global_load_dwordx2 v[44:45], v[2:3], off
	s_nop 0
	global_load_dwordx2 v[48:49], v[26:27], off
	global_load_dwordx2 v[52:53], v[16:17], off
	s_waitcnt vmcnt(0)
	v_fmac_f64_e32 v[44:45], v[48:49], v[52:53]
	global_store_dwordx2 v[2:3], v[44:45], off
	global_load_dwordx2 v[44:45], v[18:19], off
	s_nop 0
	global_load_dwordx2 v[48:49], v[32:33], off
	global_load_dwordx2 v[52:53], v[26:27], off
	s_waitcnt vmcnt(0)
	v_fmac_f64_e32 v[44:45], v[52:53], v[48:49]
	global_store_dwordx2 v[18:19], v[44:45], off
	global_load_dwordx2 v[44:45], v[10:11], off
	s_nop 0
	global_load_dwordx2 v[48:49], v[26:27], off
	global_load_dwordx2 v[52:53], v[42:43], off
	s_waitcnt vmcnt(0)
	v_fmac_f64_e32 v[44:45], v[48:49], v[52:53]
	global_store_dwordx2 v[10:11], v[44:45], off
	global_load_dwordx2 v[44:45], v[26:27], off
	s_nop 0
	global_load_dwordx2 v[48:49], v[30:31], off
	global_load_dwordx2 v[52:53], v[0:1], off
	s_waitcnt vmcnt(1)
	v_fma_f64 v[26:27], -v[44:45], v[48:49], 1.0
	v_div_scale_f64 v[44:45], s[0:1], v[26:27], v[26:27], 1.0
	v_rcp_f64_e32 v[48:49], v[44:45]
	v_div_scale_f64 v[54:55], vcc, 1.0, v[26:27], 1.0
	v_fma_f64 v[56:57], -v[44:45], v[48:49], 1.0
	v_fmac_f64_e32 v[48:49], v[48:49], v[56:57]
	v_fma_f64 v[56:57], -v[44:45], v[48:49], 1.0
	v_fmac_f64_e32 v[48:49], v[48:49], v[56:57]
	v_mul_f64 v[56:57], v[54:55], v[48:49]
	v_fma_f64 v[44:45], -v[44:45], v[56:57], v[54:55]
	v_div_fmas_f64 v[44:45], v[44:45], v[48:49], v[56:57]
	v_div_fixup_f64 v[26:27], v[44:45], v[26:27], 1.0
	s_waitcnt vmcnt(0)
	v_mul_f64 v[44:45], v[52:53], v[26:27]
	global_store_dwordx2 v[0:1], v[44:45], off
	global_load_dwordx2 v[44:45], v[2:3], off
	s_waitcnt vmcnt(0)
	v_mul_f64 v[44:45], v[44:45], v[26:27]
	global_store_dwordx2 v[2:3], v[44:45], off
	global_load_dwordx2 v[44:45], v[18:19], off
	s_waitcnt vmcnt(0)
	v_mul_f64 v[44:45], v[26:27], v[44:45]
	global_store_dwordx2 v[18:19], v[44:45], off
	global_load_dwordx2 v[44:45], v[10:11], off
	s_waitcnt vmcnt(0)
	v_mul_f64 v[26:27], v[26:27], v[44:45]
	global_store_dwordx2 v[10:11], v[26:27], off
	global_load_dwordx2 v[26:27], v[12:13], off
	s_nop 0
	global_load_dwordx2 v[44:45], v[40:41], off
	global_load_dwordx2 v[48:49], v[28:29], off
	s_waitcnt vmcnt(0)
	v_fmac_f64_e32 v[26:27], v[44:45], v[48:49]
	global_store_dwordx2 v[12:13], v[26:27], off
	global_load_dwordx2 v[26:27], v[14:15], off
	s_nop 0
	global_load_dwordx2 v[44:45], v[40:41], off
	global_load_dwordx2 v[48:49], v[16:17], off
	s_waitcnt vmcnt(0)
	v_fmac_f64_e32 v[26:27], v[44:45], v[48:49]
	global_store_dwordx2 v[14:15], v[26:27], off
	global_load_dwordx2 v[26:27], v[24:25], off
	s_nop 0
	global_load_dwordx2 v[44:45], v[30:31], off
	global_load_dwordx2 v[48:49], v[40:41], off
	;; [unrolled: 60-line block ×4, first 2 shown]
	s_waitcnt vmcnt(0)
	v_fmac_f64_e32 v[16:17], v[26:27], v[28:29]
	global_store_dwordx2 v[8:9], v[16:17], off
	global_load_dwordx2 v[16:17], v[22:23], off
	s_nop 0
	global_load_dwordx2 v[26:27], v[46:47], off
	global_load_dwordx2 v[28:29], v[4:5], off
	s_waitcnt vmcnt(1)
	v_fma_f64 v[16:17], -v[16:17], v[26:27], 1.0
	v_div_scale_f64 v[22:23], s[0:1], v[16:17], v[16:17], 1.0
	v_rcp_f64_e32 v[26:27], v[22:23]
	v_div_scale_f64 v[30:31], vcc, 1.0, v[16:17], 1.0
	v_fma_f64 v[32:33], -v[22:23], v[26:27], 1.0
	v_fmac_f64_e32 v[26:27], v[26:27], v[32:33]
	v_fma_f64 v[32:33], -v[22:23], v[26:27], 1.0
	v_fmac_f64_e32 v[26:27], v[26:27], v[32:33]
	v_mul_f64 v[32:33], v[30:31], v[26:27]
	v_fma_f64 v[22:23], -v[22:23], v[32:33], v[30:31]
	v_div_fmas_f64 v[22:23], v[22:23], v[26:27], v[32:33]
	v_div_fixup_f64 v[16:17], v[22:23], v[16:17], 1.0
	s_waitcnt vmcnt(0)
	v_mul_f64 v[22:23], v[28:29], v[16:17]
	global_store_dwordx2 v[4:5], v[22:23], off
	global_load_dwordx2 v[22:23], v[6:7], off
	s_waitcnt vmcnt(0)
	v_mul_f64 v[22:23], v[22:23], v[16:17]
	global_store_dwordx2 v[6:7], v[22:23], off
	global_load_dwordx2 v[22:23], v[8:9], off
	s_waitcnt vmcnt(0)
	v_mul_f64 v[16:17], v[16:17], v[22:23]
	global_store_dwordx2 v[8:9], v[16:17], off
	global_load_dwordx2 v[16:17], v[0:1], off
	s_nop 0
	global_load_dwordx2 v[22:23], v[10:11], off
	global_load_dwordx2 v[26:27], v[34:35], off
	s_waitcnt vmcnt(0)
	v_fmac_f64_e32 v[16:17], v[22:23], v[26:27]
	global_store_dwordx2 v[0:1], v[16:17], off
	global_load_dwordx2 v[16:17], v[2:3], off
	s_nop 0
	global_load_dwordx2 v[22:23], v[10:11], off
	global_load_dwordx2 v[26:27], v[46:47], off
	s_waitcnt vmcnt(0)
	v_fmac_f64_e32 v[16:17], v[22:23], v[26:27]
	global_store_dwordx2 v[2:3], v[16:17], off
	global_load_dwordx2 v[16:17], v[18:19], off
	s_nop 0
	global_load_dwordx2 v[22:23], v[38:39], off
	global_load_dwordx2 v[26:27], v[10:11], off
	s_waitcnt vmcnt(0)
	v_fmac_f64_e32 v[16:17], v[26:27], v[22:23]
	global_store_dwordx2 v[18:19], v[16:17], off
	global_load_dwordx2 v[16:17], v[10:11], off
	s_nop 0
	global_load_dwordx2 v[22:23], v[36:37], off
	global_load_dwordx2 v[26:27], v[0:1], off
	s_waitcnt vmcnt(1)
	v_fma_f64 v[10:11], -v[16:17], v[22:23], 1.0
	v_div_scale_f64 v[16:17], s[0:1], v[10:11], v[10:11], 1.0
	v_rcp_f64_e32 v[22:23], v[16:17]
	v_div_scale_f64 v[28:29], vcc, 1.0, v[10:11], 1.0
	v_fma_f64 v[30:31], -v[16:17], v[22:23], 1.0
	v_fmac_f64_e32 v[22:23], v[22:23], v[30:31]
	v_fma_f64 v[30:31], -v[16:17], v[22:23], 1.0
	v_fmac_f64_e32 v[22:23], v[22:23], v[30:31]
	v_mul_f64 v[30:31], v[28:29], v[22:23]
	v_fma_f64 v[16:17], -v[16:17], v[30:31], v[28:29]
	v_div_fmas_f64 v[16:17], v[16:17], v[22:23], v[30:31]
	v_div_fixup_f64 v[10:11], v[16:17], v[10:11], 1.0
	s_waitcnt vmcnt(0)
	v_mul_f64 v[16:17], v[26:27], v[10:11]
	global_store_dwordx2 v[0:1], v[16:17], off
	global_load_dwordx2 v[16:17], v[2:3], off
	s_waitcnt vmcnt(0)
	v_mul_f64 v[16:17], v[16:17], v[10:11]
	global_store_dwordx2 v[2:3], v[16:17], off
	global_load_dwordx2 v[16:17], v[18:19], off
	s_waitcnt vmcnt(0)
	v_mul_f64 v[10:11], v[10:11], v[16:17]
	global_store_dwordx2 v[18:19], v[10:11], off
	global_load_dwordx2 v[10:11], v[12:13], off
	s_nop 0
	global_load_dwordx2 v[16:17], v[20:21], off
	global_load_dwordx2 v[22:23], v[34:35], off
	s_waitcnt vmcnt(0)
	v_fmac_f64_e32 v[10:11], v[16:17], v[22:23]
	global_store_dwordx2 v[12:13], v[10:11], off
	global_load_dwordx2 v[10:11], v[14:15], off
	s_nop 0
	global_load_dwordx2 v[16:17], v[20:21], off
	global_load_dwordx2 v[22:23], v[46:47], off
	s_waitcnt vmcnt(0)
	v_fmac_f64_e32 v[10:11], v[16:17], v[22:23]
	global_store_dwordx2 v[14:15], v[10:11], off
	global_load_dwordx2 v[10:11], v[24:25], off
	s_nop 0
	global_load_dwordx2 v[16:17], v[36:37], off
	global_load_dwordx2 v[22:23], v[20:21], off
	s_waitcnt vmcnt(0)
	v_fmac_f64_e32 v[10:11], v[22:23], v[16:17]
	global_store_dwordx2 v[24:25], v[10:11], off
	global_load_dwordx2 v[10:11], v[20:21], off
	s_nop 0
	global_load_dwordx2 v[16:17], v[38:39], off
	global_load_dwordx2 v[22:23], v[12:13], off
	s_waitcnt vmcnt(1)
	v_fma_f64 v[10:11], -v[10:11], v[16:17], 1.0
	v_div_scale_f64 v[16:17], s[0:1], v[10:11], v[10:11], 1.0
	v_rcp_f64_e32 v[20:21], v[16:17]
	v_div_scale_f64 v[26:27], vcc, 1.0, v[10:11], 1.0
	v_fma_f64 v[28:29], -v[16:17], v[20:21], 1.0
	v_fmac_f64_e32 v[20:21], v[20:21], v[28:29]
	v_fma_f64 v[28:29], -v[16:17], v[20:21], 1.0
	v_fmac_f64_e32 v[20:21], v[20:21], v[28:29]
	v_mul_f64 v[28:29], v[26:27], v[20:21]
	v_fma_f64 v[16:17], -v[16:17], v[28:29], v[26:27]
	v_div_fmas_f64 v[16:17], v[16:17], v[20:21], v[28:29]
	v_div_fixup_f64 v[10:11], v[16:17], v[10:11], 1.0
	s_waitcnt vmcnt(0)
	v_mul_f64 v[16:17], v[22:23], v[10:11]
	global_store_dwordx2 v[12:13], v[16:17], off
	global_load_dwordx2 v[16:17], v[14:15], off
	s_waitcnt vmcnt(0)
	v_mul_f64 v[16:17], v[16:17], v[10:11]
	global_store_dwordx2 v[14:15], v[16:17], off
	global_load_dwordx2 v[16:17], v[24:25], off
	s_waitcnt vmcnt(0)
	v_mul_f64 v[10:11], v[10:11], v[16:17]
	global_store_dwordx2 v[24:25], v[10:11], off
	global_load_dwordx2 v[10:11], v[4:5], off
	s_nop 0
	global_load_dwordx2 v[16:17], v[8:9], off
	global_load_dwordx2 v[20:21], v[12:13], off
	s_waitcnt vmcnt(0)
	v_fmac_f64_e32 v[10:11], v[16:17], v[20:21]
	global_store_dwordx2 v[4:5], v[10:11], off
	global_load_dwordx2 v[10:11], v[6:7], off
	s_nop 0
	global_load_dwordx2 v[16:17], v[24:25], off
	global_load_dwordx2 v[20:21], v[8:9], off
	s_waitcnt vmcnt(0)
	v_fmac_f64_e32 v[10:11], v[20:21], v[16:17]
	global_store_dwordx2 v[6:7], v[10:11], off
	global_load_dwordx2 v[10:11], v[8:9], off
	s_nop 0
	global_load_dwordx2 v[16:17], v[14:15], off
	global_load_dwordx2 v[20:21], v[4:5], off
	s_waitcnt vmcnt(1)
	v_fma_f64 v[8:9], -v[10:11], v[16:17], 1.0
	v_div_scale_f64 v[10:11], s[0:1], v[8:9], v[8:9], 1.0
	v_rcp_f64_e32 v[16:17], v[10:11]
	v_div_scale_f64 v[22:23], vcc, 1.0, v[8:9], 1.0
	v_fma_f64 v[26:27], -v[10:11], v[16:17], 1.0
	v_fmac_f64_e32 v[16:17], v[16:17], v[26:27]
	v_fma_f64 v[26:27], -v[10:11], v[16:17], 1.0
	v_fmac_f64_e32 v[16:17], v[16:17], v[26:27]
	v_mul_f64 v[26:27], v[22:23], v[16:17]
	v_fma_f64 v[10:11], -v[10:11], v[26:27], v[22:23]
	v_div_fmas_f64 v[10:11], v[10:11], v[16:17], v[26:27]
	v_div_fixup_f64 v[8:9], v[10:11], v[8:9], 1.0
	s_waitcnt vmcnt(0)
	v_mul_f64 v[10:11], v[20:21], v[8:9]
	global_store_dwordx2 v[4:5], v[10:11], off
	global_load_dwordx2 v[10:11], v[6:7], off
	s_waitcnt vmcnt(0)
	v_mul_f64 v[8:9], v[10:11], v[8:9]
	global_store_dwordx2 v[6:7], v[8:9], off
	global_load_dwordx2 v[8:9], v[0:1], off
	s_nop 0
	global_load_dwordx2 v[10:11], v[18:19], off
	global_load_dwordx2 v[16:17], v[12:13], off
	s_waitcnt vmcnt(0)
	v_fmac_f64_e32 v[8:9], v[10:11], v[16:17]
	global_store_dwordx2 v[0:1], v[8:9], off
	global_load_dwordx2 v[8:9], v[2:3], off
	s_nop 0
	global_load_dwordx2 v[10:11], v[18:19], off
	global_load_dwordx2 v[12:13], v[14:15], off
	s_waitcnt vmcnt(0)
	v_fmac_f64_e32 v[8:9], v[10:11], v[12:13]
	global_store_dwordx2 v[2:3], v[8:9], off
	global_load_dwordx2 v[8:9], v[18:19], off
	s_nop 0
	global_load_dwordx2 v[10:11], v[24:25], off
	global_load_dwordx2 v[12:13], v[0:1], off
	s_waitcnt vmcnt(1)
	v_fma_f64 v[8:9], -v[8:9], v[10:11], 1.0
	v_div_scale_f64 v[10:11], s[0:1], v[8:9], v[8:9], 1.0
	v_rcp_f64_e32 v[14:15], v[10:11]
	v_div_scale_f64 v[16:17], vcc, 1.0, v[8:9], 1.0
	v_fma_f64 v[18:19], -v[10:11], v[14:15], 1.0
	v_fmac_f64_e32 v[14:15], v[14:15], v[18:19]
	v_fma_f64 v[18:19], -v[10:11], v[14:15], 1.0
	v_fmac_f64_e32 v[14:15], v[14:15], v[18:19]
	v_mul_f64 v[18:19], v[16:17], v[14:15]
	v_fma_f64 v[10:11], -v[10:11], v[18:19], v[16:17]
	v_div_fmas_f64 v[10:11], v[10:11], v[14:15], v[18:19]
	v_div_fixup_f64 v[8:9], v[10:11], v[8:9], 1.0
	s_waitcnt vmcnt(0)
	v_mul_f64 v[10:11], v[12:13], v[8:9]
	global_store_dwordx2 v[0:1], v[10:11], off
	global_load_dwordx2 v[10:11], v[2:3], off
	s_waitcnt vmcnt(0)
	v_mul_f64 v[8:9], v[10:11], v[8:9]
	global_store_dwordx2 v[2:3], v[8:9], off
	global_load_dwordx2 v[8:9], v[4:5], off
	s_nop 0
	global_load_dwordx2 v[10:11], v[6:7], off
	global_load_dwordx2 v[12:13], v[0:1], off
	s_waitcnt vmcnt(0)
	v_fmac_f64_e32 v[8:9], v[10:11], v[12:13]
	global_store_dwordx2 v[4:5], v[8:9], off
	global_load_dwordx2 v[0:1], v[6:7], off
	global_load_dwordx2 v[10:11], v[2:3], off
	s_waitcnt vmcnt(0)
	v_fma_f64 v[0:1], -v[0:1], v[10:11], 1.0
	v_div_scale_f64 v[2:3], s[0:1], v[0:1], v[0:1], 1.0
	v_rcp_f64_e32 v[6:7], v[2:3]
	v_div_scale_f64 v[10:11], vcc, 1.0, v[0:1], 1.0
	v_fma_f64 v[12:13], -v[2:3], v[6:7], 1.0
	v_fmac_f64_e32 v[6:7], v[6:7], v[12:13]
	v_fma_f64 v[12:13], -v[2:3], v[6:7], 1.0
	v_fmac_f64_e32 v[6:7], v[6:7], v[12:13]
	v_mul_f64 v[12:13], v[10:11], v[6:7]
	v_fma_f64 v[2:3], -v[2:3], v[12:13], v[10:11]
	v_div_fmas_f64 v[2:3], v[2:3], v[6:7], v[12:13]
	v_div_fixup_f64 v[0:1], v[2:3], v[0:1], 1.0
	v_mul_f64 v[0:1], v[8:9], v[0:1]
	global_store_dwordx2 v[4:5], v[0:1], off
	s_endpgm
	.section	.rodata,"a",@progbits
	.p2align	6, 0x0
	.amdhsa_kernel _Z12qssab_kernelIdEvPT_S1_S1_
		.amdhsa_group_segment_fixed_size 0
		.amdhsa_private_segment_fixed_size 0
		.amdhsa_kernarg_size 280
		.amdhsa_user_sgpr_count 2
		.amdhsa_user_sgpr_dispatch_ptr 0
		.amdhsa_user_sgpr_queue_ptr 0
		.amdhsa_user_sgpr_kernarg_segment_ptr 1
		.amdhsa_user_sgpr_dispatch_id 0
		.amdhsa_user_sgpr_kernarg_preload_length 0
		.amdhsa_user_sgpr_kernarg_preload_offset 0
		.amdhsa_user_sgpr_private_segment_size 0
		.amdhsa_uses_dynamic_stack 0
		.amdhsa_enable_private_segment 0
		.amdhsa_system_sgpr_workgroup_id_x 1
		.amdhsa_system_sgpr_workgroup_id_y 0
		.amdhsa_system_sgpr_workgroup_id_z 0
		.amdhsa_system_sgpr_workgroup_info 0
		.amdhsa_system_vgpr_workitem_id 0
		.amdhsa_next_free_vgpr 64
		.amdhsa_next_free_sgpr 13
		.amdhsa_accum_offset 64
		.amdhsa_reserve_vcc 1
		.amdhsa_float_round_mode_32 0
		.amdhsa_float_round_mode_16_64 0
		.amdhsa_float_denorm_mode_32 3
		.amdhsa_float_denorm_mode_16_64 3
		.amdhsa_dx10_clamp 1
		.amdhsa_ieee_mode 1
		.amdhsa_fp16_overflow 0
		.amdhsa_tg_split 0
		.amdhsa_exception_fp_ieee_invalid_op 0
		.amdhsa_exception_fp_denorm_src 0
		.amdhsa_exception_fp_ieee_div_zero 0
		.amdhsa_exception_fp_ieee_overflow 0
		.amdhsa_exception_fp_ieee_underflow 0
		.amdhsa_exception_fp_ieee_inexact 0
		.amdhsa_exception_int_div_zero 0
	.end_amdhsa_kernel
	.section	.text._Z12qssab_kernelIdEvPT_S1_S1_,"axG",@progbits,_Z12qssab_kernelIdEvPT_S1_S1_,comdat
.Lfunc_end44:
	.size	_Z12qssab_kernelIdEvPT_S1_S1_, .Lfunc_end44-_Z12qssab_kernelIdEvPT_S1_S1_
                                        ; -- End function
	.set _Z12qssab_kernelIdEvPT_S1_S1_.num_vgpr, 64
	.set _Z12qssab_kernelIdEvPT_S1_S1_.num_agpr, 0
	.set _Z12qssab_kernelIdEvPT_S1_S1_.numbered_sgpr, 13
	.set _Z12qssab_kernelIdEvPT_S1_S1_.num_named_barrier, 0
	.set _Z12qssab_kernelIdEvPT_S1_S1_.private_seg_size, 0
	.set _Z12qssab_kernelIdEvPT_S1_S1_.uses_vcc, 1
	.set _Z12qssab_kernelIdEvPT_S1_S1_.uses_flat_scratch, 0
	.set _Z12qssab_kernelIdEvPT_S1_S1_.has_dyn_sized_stack, 0
	.set _Z12qssab_kernelIdEvPT_S1_S1_.has_recursion, 0
	.set _Z12qssab_kernelIdEvPT_S1_S1_.has_indirect_call, 0
	.section	.AMDGPU.csdata,"",@progbits
; Kernel info:
; codeLenInByte = 7084
; TotalNumSgprs: 19
; NumVgprs: 64
; NumAgprs: 0
; TotalNumVgprs: 64
; ScratchSize: 0
; MemoryBound: 1
; FloatMode: 240
; IeeeMode: 1
; LDSByteSize: 0 bytes/workgroup (compile time only)
; SGPRBlocks: 2
; VGPRBlocks: 7
; NumSGPRsForWavesPerEU: 19
; NumVGPRsForWavesPerEU: 64
; AccumOffset: 64
; Occupancy: 8
; WaveLimiterHint : 1
; COMPUTE_PGM_RSRC2:SCRATCH_EN: 0
; COMPUTE_PGM_RSRC2:USER_SGPR: 2
; COMPUTE_PGM_RSRC2:TRAP_HANDLER: 0
; COMPUTE_PGM_RSRC2:TGID_X_EN: 1
; COMPUTE_PGM_RSRC2:TGID_Y_EN: 0
; COMPUTE_PGM_RSRC2:TGID_Z_EN: 0
; COMPUTE_PGM_RSRC2:TIDIG_COMP_CNT: 0
; COMPUTE_PGM_RSRC3_GFX90A:ACCUM_OFFSET: 15
; COMPUTE_PGM_RSRC3_GFX90A:TG_SPLIT: 0
	.section	.text._Z12qssa2_kernelIdEvPT_S1_PKS0_,"axG",@progbits,_Z12qssa2_kernelIdEvPT_S1_PKS0_,comdat
	.protected	_Z12qssa2_kernelIdEvPT_S1_PKS0_ ; -- Begin function _Z12qssa2_kernelIdEvPT_S1_PKS0_
	.globl	_Z12qssa2_kernelIdEvPT_S1_PKS0_
	.p2align	8
	.type	_Z12qssa2_kernelIdEvPT_S1_PKS0_,@function
_Z12qssa2_kernelIdEvPT_S1_PKS0_:        ; @_Z12qssa2_kernelIdEvPT_S1_PKS0_
; %bb.0:
	s_load_dword s3, s[0:1], 0x24
	s_load_dword s6, s[0:1], 0x18
	s_load_dwordx2 s[4:5], s[0:1], 0x10
	v_mov_b32_e32 v1, 0
	s_waitcnt lgkmcnt(0)
	s_and_b32 s3, s3, 0xffff
	s_mul_i32 s6, s6, s3
	s_mul_i32 s7, s6, 43
	s_mul_i32 s2, s2, s3
	s_add_i32 s7, s7, s2
	v_add_u32_e32 v0, s7, v0
	v_mad_u64_u32 v[2:3], s[2:3], s6, -11, v[0:1]
	s_lshl_b32 s8, s6, 2
	v_lshlrev_b64 v[48:49], 3, v[0:1]
	v_add_u32_e32 v0, s8, v2
	v_mad_u64_u32 v[16:17], s[2:3], s6, 40, v[0:1]
	v_lshlrev_b64 v[50:51], 3, v[0:1]
	v_add_u32_e32 v0, s8, v16
	v_mov_b32_e32 v17, v1
	v_lshlrev_b64 v[22:23], 3, v[0:1]
	v_subrev_u32_e32 v0, s6, v0
	s_mul_i32 s2, s6, 0xffffffc6
	v_lshl_add_u64 v[8:9], s[4:5], 0, v[48:49]
	v_mov_b32_e32 v3, v1
	v_lshlrev_b64 v[38:39], 3, v[16:17]
	v_lshlrev_b64 v[24:25], 3, v[0:1]
	v_add_u32_e32 v0, s2, v0
	v_lshl_add_u64 v[10:11], v[2:3], 3, s[4:5]
	v_lshl_add_u64 v[14:15], s[4:5], 0, v[50:51]
	;; [unrolled: 1-line block ×3, first 2 shown]
	global_load_dwordx2 v[4:5], v[8:9], off
	global_load_dwordx2 v[6:7], v[10:11], off
	;; [unrolled: 1-line block ×4, first 2 shown]
	v_lshl_add_u64 v[8:9], s[4:5], 0, v[22:23]
	v_lshl_add_u64 v[20:21], v[0:1], 3, s[4:5]
	v_add_u32_e32 v0, s8, v0
	v_lshl_add_u64 v[18:19], s[4:5], 0, v[24:25]
	v_lshl_add_u64 v[26:27], v[0:1], 3, s[4:5]
	global_load_dwordx2 v[16:17], v[8:9], off
	global_load_dwordx2 v[14:15], v[18:19], off
	;; [unrolled: 1-line block ×4, first 2 shown]
	v_subrev_u32_e32 v0, s6, v0
	v_lshl_add_u64 v[8:9], v[0:1], 3, s[4:5]
	v_add_u32_e32 v0, s8, v0
	s_mul_i32 s2, s6, 0xffffffee
	v_lshl_add_u64 v[18:19], v[0:1], 3, s[4:5]
	v_add_u32_e32 v0, s2, v0
	v_lshl_add_u64 v[20:21], v[0:1], 3, s[4:5]
	v_add_u32_e32 v0, s8, v0
	v_lshl_add_u64 v[28:29], v[0:1], 3, s[4:5]
	global_load_dwordx2 v[46:47], v[8:9], off
	global_load_dwordx2 v[52:53], v[18:19], off
	;; [unrolled: 1-line block ×4, first 2 shown]
	v_subrev_u32_e32 v0, s6, v0
	v_lshl_add_u64 v[8:9], v[0:1], 3, s[4:5]
	s_mul_i32 s7, s6, -5
	v_add_u32_e32 v0, s8, v0
	s_mul_i32 s10, s6, 0x4b
	v_lshl_add_u64 v[20:21], v[0:1], 3, s[4:5]
	v_add_u32_e32 v0, s7, v0
	v_lshl_add_u64 v[28:29], v[0:1], 3, s[4:5]
	v_add_u32_e32 v0, s10, v0
	v_lshlrev_b64 v[42:43], 3, v[0:1]
	v_add_u32_e32 v0, s8, v0
	s_mul_i32 s11, s6, 0xffffffe7
	v_lshlrev_b64 v[18:19], 3, v[0:1]
	v_subrev_u32_e32 v0, s6, v0
	global_load_dwordx2 v[56:57], v[8:9], off
	s_mul_i32 s9, s6, 3
	v_lshl_add_u64 v[30:31], s[4:5], 0, v[42:43]
	global_load_dwordx2 v[58:59], v[20:21], off
	global_load_dwordx2 v[60:61], v[28:29], off
	;; [unrolled: 1-line block ×3, first 2 shown]
	v_lshlrev_b64 v[20:21], 3, v[0:1]
	v_add_u32_e32 v0, s11, v0
	v_lshlrev_b64 v[34:35], 3, v[0:1]
	v_add_u32_e32 v0, s9, v0
	;; [unrolled: 2-line block ×4, first 2 shown]
	v_mad_u64_u32 v[40:41], s[10:11], s6, 31, v[0:1]
	v_lshlrev_b64 v[32:33], 3, v[0:1]
	v_add_u32_e32 v0, s8, v40
	s_mul_i32 s12, s6, 0xffffffcd
	v_lshl_add_u64 v[28:29], v[0:1], 3, s[4:5]
	v_add_u32_e32 v0, s9, v0
	s_load_dwordx4 s[0:3], s[0:1], 0x0
	s_mul_i32 s7, s6, 0xffffffac
	v_mov_b32_e32 v41, v1
	s_waitcnt lgkmcnt(0)
	v_lshl_add_u64 v[50:51], s[0:1], 0, v[50:51]
	v_lshl_add_u64 v[48:49], s[0:1], 0, v[48:49]
	;; [unrolled: 1-line block ×6, first 2 shown]
	s_waitcnt vmcnt(13)
	v_fmac_f64_e32 v[6:7], v[4:5], v[12:13]
	s_waitcnt vmcnt(11)
	v_fmac_f64_e32 v[2:3], v[4:5], v[16:17]
	v_lshlrev_b64 v[16:17], 3, v[0:1]
	v_add_u32_e32 v0, s12, v0
	s_waitcnt vmcnt(8)
	v_fmac_f64_e32 v[10:11], v[4:5], v[44:45]
	v_lshlrev_b64 v[44:45], 3, v[0:1]
	v_add_u32_e32 v0, s9, v0
	v_fmac_f64_e32 v[2:3], v[6:7], v[14:15]
	v_mad_u64_u32 v[14:15], s[10:11], s6, 52, v[0:1]
	v_mov_b32_e32 v15, v1
	s_waitcnt vmcnt(7)
	v_fmac_f64_e32 v[10:11], v[6:7], v[46:47]
	v_lshl_add_u64 v[46:47], v[0:1], 3, s[4:5]
	v_lshl_add_u32 v0, s6, 3, v14
	v_lshl_add_u64 v[12:13], v[0:1], 3, s[4:5]
	v_add_u32_e32 v0, s7, v0
	s_waitcnt vmcnt(6)
	v_fmac_f64_e32 v[10:11], v[2:3], v[52:53]
	v_lshl_add_u64 v[52:53], v[0:1], 3, s[0:1]
	s_waitcnt vmcnt(4)
	v_fmac_f64_e32 v[26:27], v[4:5], v[54:55]
	global_load_dwordx2 v[54:55], v[52:53], off
	v_add_u32_e32 v0, s6, v0
	s_lshl_b32 s7, s6, 1
	v_lshl_add_u64 v[14:15], v[14:15], 3, s[4:5]
	s_waitcnt vmcnt(4)
	v_fmac_f64_e32 v[26:27], v[6:7], v[56:57]
	s_waitcnt vmcnt(3)
	v_fmac_f64_e32 v[26:27], v[2:3], v[58:59]
	;; [unrolled: 2-line block ×3, first 2 shown]
	v_lshlrev_b64 v[56:57], 3, v[0:1]
	v_add_u32_e32 v0, s6, v0
	v_lshlrev_b64 v[58:59], 3, v[0:1]
	v_add_u32_e32 v0, s7, v0
	s_waitcnt vmcnt(0)
	v_mul_f64 v[54:55], v[26:27], v[54:55]
	global_store_dwordx2 v[52:53], v[54:55], off
	v_lshl_add_u64 v[52:53], s[0:1], 0, v[56:57]
	global_load_dwordx2 v[54:55], v[52:53], off
	v_lshl_add_u64 v[56:57], s[2:3], 0, v[56:57]
	s_waitcnt vmcnt(0)
	v_mul_f64 v[54:55], v[26:27], v[54:55]
	global_store_dwordx2 v[52:53], v[54:55], off
	v_lshl_add_u64 v[52:53], s[0:1], 0, v[58:59]
	global_load_dwordx2 v[54:55], v[52:53], off
	s_waitcnt vmcnt(0)
	v_mul_f64 v[54:55], v[26:27], v[54:55]
	global_store_dwordx2 v[52:53], v[54:55], off
	global_load_dwordx2 v[52:53], v[56:57], off
	s_waitcnt vmcnt(0)
	v_mul_f64 v[52:53], v[4:5], v[52:53]
	global_load_dwordx2 v[54:55], v[50:51], off
	s_waitcnt vmcnt(0)
	v_mul_f64 v[54:55], v[26:27], v[54:55]
	global_store_dwordx2 v[56:57], v[52:53], off
	v_lshlrev_b64 v[52:53], 3, v[0:1]
	v_lshl_add_u64 v[56:57], s[0:1], 0, v[52:53]
	global_store_dwordx2 v[50:51], v[54:55], off
	global_load_dwordx2 v[50:51], v[56:57], off
	v_add_u32_e32 v0, s6, v0
	v_lshl_add_u64 v[54:55], v[0:1], 3, s[0:1]
	v_add_u32_e32 v0, s6, v0
	v_lshl_add_u64 v[52:53], s[2:3], 0, v[52:53]
	s_waitcnt vmcnt(0)
	v_mul_f64 v[50:51], v[26:27], v[50:51]
	global_store_dwordx2 v[56:57], v[50:51], off
	global_load_dwordx2 v[56:57], v[54:55], off
	v_lshlrev_b64 v[50:51], 3, v[0:1]
	v_add_u32_e32 v0, s6, v0
	s_waitcnt vmcnt(0)
	v_mul_f64 v[56:57], v[26:27], v[56:57]
	global_store_dwordx2 v[54:55], v[56:57], off
	v_lshl_add_u64 v[54:55], s[0:1], 0, v[50:51]
	global_load_dwordx2 v[56:57], v[54:55], off
	v_lshl_add_u64 v[50:51], s[2:3], 0, v[50:51]
	s_waitcnt vmcnt(0)
	v_mul_f64 v[56:57], v[26:27], v[56:57]
	global_store_dwordx2 v[54:55], v[56:57], off
	v_lshl_add_u64 v[54:55], v[0:1], 3, s[0:1]
	global_load_dwordx2 v[56:57], v[54:55], off
	v_add_u32_e32 v0, s6, v0
	s_waitcnt vmcnt(0)
	v_mul_f64 v[56:57], v[4:5], v[56:57]
	global_store_dwordx2 v[54:55], v[56:57], off
	v_lshl_add_u64 v[54:55], v[0:1], 3, s[0:1]
	global_load_dwordx2 v[56:57], v[54:55], off
	v_add_u32_e32 v0, s6, v0
	;; [unrolled: 6-line block ×3, first 2 shown]
	s_waitcnt vmcnt(0)
	v_mul_f64 v[56:57], v[4:5], v[56:57]
	global_store_dwordx2 v[54:55], v[56:57], off
	global_load_dwordx2 v[54:55], v[48:49], off
	v_lshl_add_u64 v[56:57], v[0:1], 3, s[0:1]
	v_add_u32_e32 v0, s6, v0
	s_waitcnt vmcnt(0)
	v_mul_f64 v[54:55], v[4:5], v[54:55]
	global_store_dwordx2 v[48:49], v[54:55], off
	global_load_dwordx2 v[48:49], v[56:57], off
	v_lshl_add_u64 v[54:55], v[0:1], 3, s[0:1]
	v_add_u32_e32 v0, s6, v0
	;; [unrolled: 6-line block ×4, first 2 shown]
	s_waitcnt vmcnt(0)
	v_mul_f64 v[48:49], v[4:5], v[48:49]
	global_store_dwordx2 v[56:57], v[48:49], off
	global_load_dwordx2 v[48:49], v[54:55], off
	v_lshl_add_u64 v[56:57], s[2:3], 0, v[58:59]
	global_load_dwordx2 v[58:59], v[56:57], off
	s_waitcnt vmcnt(1)
	v_mul_f64 v[48:49], v[10:11], v[48:49]
	global_store_dwordx2 v[54:55], v[48:49], off
	v_lshl_add_u64 v[48:49], v[0:1], 3, s[0:1]
	global_load_dwordx2 v[54:55], v[48:49], off
	v_add_u32_e32 v0, s6, v0
	s_waitcnt vmcnt(2)
	v_mul_f64 v[58:59], v[10:11], v[58:59]
	global_store_dwordx2 v[56:57], v[58:59], off
	v_lshlrev_b64 v[56:57], 3, v[0:1]
	global_load_dwordx2 v[58:59], v[52:53], off
	v_add_u32_e32 v0, s6, v0
	s_waitcnt vmcnt(2)
	v_mul_f64 v[54:55], v[10:11], v[54:55]
	global_store_dwordx2 v[48:49], v[54:55], off
	v_lshl_add_u64 v[48:49], s[0:1], 0, v[56:57]
	global_load_dwordx2 v[54:55], v[48:49], off
	v_lshl_add_u64 v[56:57], s[2:3], 0, v[56:57]
	s_waitcnt vmcnt(2)
	v_mul_f64 v[58:59], v[4:5], v[58:59]
	global_store_dwordx2 v[52:53], v[58:59], off
	v_lshlrev_b64 v[52:53], 3, v[0:1]
	v_lshl_add_u64 v[58:59], s[0:1], 0, v[52:53]
	v_add_u32_e32 v0, s6, v0
	v_lshl_add_u64 v[52:53], s[2:3], 0, v[52:53]
	s_waitcnt vmcnt(1)
	v_mul_f64 v[54:55], v[10:11], v[54:55]
	global_store_dwordx2 v[48:49], v[54:55], off
	global_load_dwordx2 v[48:49], v[58:59], off
	v_lshl_add_u64 v[54:55], v[0:1], 3, s[0:1]
	v_add_u32_e32 v0, s6, v0
	s_waitcnt vmcnt(0)
	v_mul_f64 v[48:49], v[10:11], v[48:49]
	global_store_dwordx2 v[58:59], v[48:49], off
	global_load_dwordx2 v[48:49], v[54:55], off
	s_waitcnt vmcnt(0)
	v_mul_f64 v[48:49], v[10:11], v[48:49]
	global_load_dwordx2 v[58:59], v[50:51], off
	s_waitcnt vmcnt(0)
	v_mul_f64 v[58:59], v[4:5], v[58:59]
	global_store_dwordx2 v[54:55], v[48:49], off
	v_lshl_add_u64 v[48:49], v[0:1], 3, s[0:1]
	global_load_dwordx2 v[54:55], v[48:49], off
	v_add_u32_e32 v0, s6, v0
	global_store_dwordx2 v[50:51], v[58:59], off
	v_lshlrev_b64 v[50:51], 3, v[0:1]
	v_lshl_add_u64 v[58:59], s[0:1], 0, v[50:51]
	v_add_u32_e32 v0, s7, v0
	v_lshl_add_u64 v[50:51], s[2:3], 0, v[50:51]
	s_waitcnt vmcnt(1)
	v_mul_f64 v[54:55], v[10:11], v[54:55]
	global_store_dwordx2 v[48:49], v[54:55], off
	global_load_dwordx2 v[48:49], v[58:59], off
	v_lshl_add_u64 v[54:55], s[0:1], 0, v[44:45]
	s_waitcnt vmcnt(0)
	v_mul_f64 v[48:49], v[10:11], v[48:49]
	global_store_dwordx2 v[58:59], v[48:49], off
	global_load_dwordx2 v[48:49], v[54:55], off
	s_waitcnt vmcnt(0)
	v_mul_f64 v[48:49], v[10:11], v[48:49]
	global_load_dwordx2 v[58:59], v[56:57], off
	s_waitcnt vmcnt(0)
	v_mul_f64 v[58:59], v[4:5], v[58:59]
	global_store_dwordx2 v[54:55], v[48:49], off
	v_lshl_add_u64 v[48:49], v[0:1], 3, s[0:1]
	global_load_dwordx2 v[54:55], v[48:49], off
	v_add_u32_e32 v0, s9, v0
	global_store_dwordx2 v[56:57], v[58:59], off
	v_lshlrev_b64 v[56:57], 3, v[0:1]
	global_load_dwordx2 v[58:59], v[52:53], off
	v_add_u32_e32 v0, s6, v0
	s_waitcnt vmcnt(2)
	v_mul_f64 v[54:55], v[10:11], v[54:55]
	global_store_dwordx2 v[48:49], v[54:55], off
	v_lshl_add_u64 v[48:49], s[0:1], 0, v[56:57]
	global_load_dwordx2 v[54:55], v[48:49], off
	s_waitcnt vmcnt(2)
	v_mul_f64 v[58:59], v[4:5], v[58:59]
	global_store_dwordx2 v[52:53], v[58:59], off
	v_lshlrev_b64 v[52:53], 3, v[0:1]
	v_lshl_add_u64 v[58:59], s[0:1], 0, v[52:53]
	v_add_u32_e32 v0, s6, v0
	v_lshl_add_u64 v[56:57], s[2:3], 0, v[56:57]
	v_lshl_add_u64 v[52:53], s[2:3], 0, v[52:53]
	s_waitcnt vmcnt(1)
	v_mul_f64 v[54:55], v[6:7], v[54:55]
	global_store_dwordx2 v[48:49], v[54:55], off
	global_load_dwordx2 v[48:49], v[58:59], off
	s_waitcnt vmcnt(0)
	v_mul_f64 v[48:49], v[6:7], v[48:49]
	global_load_dwordx2 v[54:55], v[50:51], off
	s_waitcnt vmcnt(0)
	v_mul_f64 v[54:55], v[26:27], v[54:55]
	global_store_dwordx2 v[58:59], v[48:49], off
	v_lshl_add_u64 v[48:49], v[0:1], 3, s[0:1]
	global_load_dwordx2 v[58:59], v[48:49], off
	v_add_u32_e32 v0, s6, v0
	global_store_dwordx2 v[50:51], v[54:55], off
	v_lshlrev_b64 v[50:51], 3, v[0:1]
	v_lshl_add_u64 v[54:55], s[0:1], 0, v[50:51]
	v_add_u32_e32 v0, s6, v0
	v_lshl_add_u64 v[50:51], s[2:3], 0, v[50:51]
	s_waitcnt vmcnt(1)
	v_mul_f64 v[58:59], v[6:7], v[58:59]
	global_store_dwordx2 v[48:49], v[58:59], off
	global_load_dwordx2 v[48:49], v[54:55], off
	s_waitcnt vmcnt(0)
	v_mul_f64 v[48:49], v[6:7], v[48:49]
	global_load_dwordx2 v[58:59], v[56:57], off
	s_waitcnt vmcnt(0)
	v_mul_f64 v[58:59], v[10:11], v[58:59]
	global_store_dwordx2 v[54:55], v[48:49], off
	v_lshl_add_u64 v[48:49], v[0:1], 3, s[0:1]
	global_load_dwordx2 v[54:55], v[48:49], off
	v_add_u32_e32 v0, s6, v0
	global_store_dwordx2 v[56:57], v[58:59], off
	global_load_dwordx2 v[56:57], v[52:53], off
	v_lshl_add_u64 v[58:59], v[0:1], 3, s[0:1]
	v_add_u32_e32 v0, s6, v0
	s_waitcnt vmcnt(2)
	v_mul_f64 v[54:55], v[6:7], v[54:55]
	global_store_dwordx2 v[48:49], v[54:55], off
	global_load_dwordx2 v[48:49], v[58:59], off
	s_waitcnt vmcnt(2)
	v_mul_f64 v[54:55], v[26:27], v[56:57]
	global_store_dwordx2 v[52:53], v[54:55], off
	global_load_dwordx2 v[52:53], v[50:51], off
	v_lshl_add_u64 v[54:55], v[0:1], 3, s[0:1]
	v_add_u32_e32 v0, s7, v0
	v_lshlrev_b64 v[56:57], 3, v[0:1]
	v_add_u32_e32 v0, s9, v0
	s_waitcnt vmcnt(2)
	v_mul_f64 v[48:49], v[6:7], v[48:49]
	global_store_dwordx2 v[58:59], v[48:49], off
	global_load_dwordx2 v[48:49], v[54:55], off
	s_waitcnt vmcnt(2)
	v_mul_f64 v[52:53], v[4:5], v[52:53]
	v_lshl_add_u64 v[58:59], s[2:3], 0, v[56:57]
	global_store_dwordx2 v[50:51], v[52:53], off
	global_load_dwordx2 v[50:51], v[58:59], off
	v_lshl_add_u64 v[52:53], s[0:1], 0, v[34:35]
	v_lshl_add_u64 v[56:57], s[0:1], 0, v[56:57]
	s_waitcnt vmcnt(2)
	v_mul_f64 v[48:49], v[6:7], v[48:49]
	global_store_dwordx2 v[54:55], v[48:49], off
	global_load_dwordx2 v[48:49], v[52:53], off
	v_lshl_add_u64 v[54:55], s[2:3], 0, v[32:33]
	s_waitcnt vmcnt(2)
	v_mul_f64 v[50:51], v[10:11], v[50:51]
	global_store_dwordx2 v[58:59], v[50:51], off
	global_load_dwordx2 v[50:51], v[54:55], off
	s_waitcnt vmcnt(2)
	v_mul_f64 v[48:49], v[6:7], v[48:49]
	global_store_dwordx2 v[52:53], v[48:49], off
	global_load_dwordx2 v[48:49], v[56:57], off
	v_lshl_add_u64 v[52:53], s[2:3], 0, v[36:37]
	s_waitcnt vmcnt(2)
	v_mul_f64 v[50:51], v[10:11], v[50:51]
	global_store_dwordx2 v[54:55], v[50:51], off
	global_load_dwordx2 v[50:51], v[52:53], off
	v_lshl_add_u64 v[54:55], s[0:1], 0, v[32:33]
	;; [unrolled: 5-line block ×3, first 2 shown]
	global_load_dwordx2 v[44:45], v[56:57], off
	global_load_dwordx2 v[58:59], v[46:47], off
	v_lshl_add_u64 v[46:47], v[0:1], 3, s[0:1]
	v_add_u32_e32 v0, s6, v0
	s_waitcnt vmcnt(4)
	v_mul_f64 v[50:51], v[10:11], v[50:51]
	v_lshl_add_u64 v[56:57], v[0:1], 3, s[2:3]
	global_store_dwordx2 v[52:53], v[50:51], off
	global_load_dwordx2 v[50:51], v[56:57], off
	v_lshl_add_u64 v[52:53], s[0:1], 0, v[36:37]
	v_add_u32_e32 v0, s6, v0
	global_load_dwordx2 v[14:15], v[14:15], off
	s_waitcnt vmcnt(5)
	v_mul_f64 v[48:49], v[6:7], v[48:49]
	global_store_dwordx2 v[54:55], v[48:49], off
	global_load_dwordx2 v[48:49], v[52:53], off
	s_waitcnt vmcnt(5)
	v_fmac_f64_e32 v[44:45], v[6:7], v[58:59]
	v_lshl_add_u64 v[54:55], v[0:1], 3, s[2:3]
	v_add_u32_e32 v0, s7, v0
	v_lshl_add_u64 v[58:59], v[0:1], 3, s[2:3]
	v_add_u32_e32 v0, s6, v0
	s_waitcnt vmcnt(3)
	v_mul_f64 v[50:51], v[44:45], v[50:51]
	global_store_dwordx2 v[56:57], v[50:51], off
	global_load_dwordx2 v[50:51], v[54:55], off
	v_lshl_add_u64 v[56:57], s[2:3], 0, v[30:31]
	v_lshl_add_u64 v[60:61], v[0:1], 3, s[2:3]
	v_add_u32_e32 v0, s6, v0
	v_lshl_add_u64 v[62:63], v[0:1], 3, s[2:3]
	s_waitcnt vmcnt(2)
	v_mul_f64 v[48:49], v[6:7], v[48:49]
	global_store_dwordx2 v[52:53], v[48:49], off
	global_load_dwordx2 v[48:49], v[46:47], off
	v_mad_u64_u32 v[52:53], s[10:11], s6, 6, v[0:1]
	v_add_u32_e32 v0, s9, v52
	v_mov_b32_e32 v53, v1
	s_waitcnt vmcnt(2)
	v_mul_f64 v[50:51], v[4:5], v[50:51]
	global_store_dwordx2 v[54:55], v[50:51], off
	global_load_dwordx2 v[50:51], v[56:57], off
	s_waitcnt vmcnt(2)
	v_mul_f64 v[48:49], v[6:7], v[48:49]
	global_store_dwordx2 v[46:47], v[48:49], off
	global_load_dwordx2 v[54:55], v[38:39], off
	v_lshl_add_u64 v[48:49], v[0:1], 3, s[2:3]
	v_add_u32_e32 v0, s7, v0
	s_waitcnt vmcnt(2)
	v_mul_f64 v[46:47], v[4:5], v[50:51]
	global_store_dwordx2 v[56:57], v[46:47], off
	v_lshlrev_b64 v[46:47], 3, v[0:1]
	v_add_u32_e32 v0, s7, v0
	v_lshl_add_u64 v[56:57], s[0:1], 0, v[18:19]
	v_lshl_add_u64 v[18:19], s[4:5], 0, v[18:19]
	s_waitcnt vmcnt(1)
	v_mul_f64 v[50:51], v[26:27], v[54:55]
	global_store_dwordx2 v[38:39], v[50:51], off
	v_lshl_add_u64 v[38:39], s[0:1], 0, v[46:47]
	global_load_dwordx2 v[50:51], v[38:39], off
	v_lshl_add_u64 v[46:47], s[2:3], 0, v[46:47]
	s_waitcnt vmcnt(0)
	v_mul_f64 v[50:51], v[26:27], v[50:51]
	global_store_dwordx2 v[38:39], v[50:51], off
	global_load_dwordx2 v[38:39], v[42:43], off
	v_lshl_add_u64 v[50:51], v[0:1], 3, s[0:1]
	v_add_u32_e32 v0, s6, v0
	s_waitcnt vmcnt(0)
	v_mul_f64 v[38:39], v[4:5], v[38:39]
	global_store_dwordx2 v[42:43], v[38:39], off
	global_load_dwordx2 v[38:39], v[50:51], off
	s_nop 0
	global_load_dwordx2 v[42:43], v[58:59], off
	s_waitcnt vmcnt(1)
	v_mul_f64 v[38:39], v[4:5], v[38:39]
	global_store_dwordx2 v[50:51], v[38:39], off
	v_lshl_add_u64 v[38:39], s[0:1], 0, v[20:21]
	global_load_dwordx2 v[50:51], v[38:39], off
	s_waitcnt vmcnt(2)
	v_mul_f64 v[42:43], v[4:5], v[42:43]
	global_store_dwordx2 v[58:59], v[42:43], off
	global_load_dwordx2 v[54:55], v[60:61], off
	v_lshl_add_u64 v[20:21], s[4:5], 0, v[20:21]
	s_waitcnt vmcnt(2)
	v_mul_f64 v[42:43], v[10:11], v[50:51]
	global_store_dwordx2 v[38:39], v[42:43], off
	global_load_dwordx2 v[50:51], v[56:57], off
	v_lshl_add_u64 v[42:43], v[0:1], 3, s[2:3]
	v_add_u32_e32 v0, s8, v0
	s_waitcnt vmcnt(2)
	v_mul_f64 v[38:39], v[4:5], v[54:55]
	global_store_dwordx2 v[60:61], v[38:39], off
	v_lshl_add_u64 v[38:39], v[0:1], 3, s[2:3]
	v_add_u32_e32 v0, s7, v0
	v_lshl_add_u64 v[54:55], v[0:1], 3, s[0:1]
	v_add_u32_e32 v0, s6, v0
	s_waitcnt vmcnt(1)
	v_mul_f64 v[50:51], v[6:7], v[50:51]
	global_store_dwordx2 v[56:57], v[50:51], off
	global_load_dwordx2 v[50:51], v[54:55], off
	s_waitcnt vmcnt(0)
	v_mul_f64 v[50:51], v[44:45], v[50:51]
	global_load_dwordx2 v[56:57], v[62:63], off
	s_nop 0
	global_store_dwordx2 v[54:55], v[50:51], off
	v_lshl_add_u64 v[54:55], v[0:1], 3, s[0:1]
	global_load_dwordx2 v[58:59], v[54:55], off
	v_add_u32_e32 v0, s6, v0
	s_waitcnt vmcnt(2)
	v_mul_f64 v[50:51], v[4:5], v[56:57]
	global_store_dwordx2 v[62:63], v[50:51], off
	v_lshlrev_b64 v[50:51], 3, v[0:1]
	v_lshl_add_u64 v[56:57], s[0:1], 0, v[50:51]
	s_waitcnt vmcnt(1)
	v_mul_f64 v[58:59], v[44:45], v[58:59]
	global_store_dwordx2 v[54:55], v[58:59], off
	global_load_dwordx2 v[54:55], v[56:57], off
	v_lshlrev_b64 v[62:63], 3, v[40:41]
	v_lshl_add_u64 v[40:41], s[0:1], 0, v[62:63]
	v_add_u32_e32 v0, s7, v0
	s_waitcnt vmcnt(0)
	v_mul_f64 v[54:55], v[44:45], v[54:55]
	global_store_dwordx2 v[56:57], v[54:55], off
	global_load_dwordx2 v[54:55], v[40:41], off
	v_lshl_add_u64 v[56:57], v[0:1], 3, s[0:1]
	v_add_u32_e32 v0, s6, v0
	s_waitcnt vmcnt(0)
	v_mul_f64 v[54:55], v[44:45], v[54:55]
	global_store_dwordx2 v[40:41], v[54:55], off
	global_load_dwordx2 v[40:41], v[56:57], off
	;; [unrolled: 6-line block ×4, first 2 shown]
	v_lshl_add_u64 v[54:55], s[0:1], 0, v[16:17]
	v_lshl_add_u64 v[16:17], s[4:5], 0, v[16:17]
	s_waitcnt vmcnt(0)
	v_mul_f64 v[40:41], v[26:27], v[40:41]
	global_store_dwordx2 v[56:57], v[40:41], off
	global_load_dwordx2 v[40:41], v[54:55], off
	s_waitcnt vmcnt(0)
	v_mul_f64 v[40:41], v[10:11], v[40:41]
	global_load_dwordx2 v[56:57], v[24:25], off
	s_nop 0
	global_store_dwordx2 v[54:55], v[40:41], off
	v_lshl_add_u64 v[54:55], v[0:1], 3, s[0:1]
	global_load_dwordx2 v[58:59], v[54:55], off
	v_add_u32_e32 v0, s6, v0
	s_waitcnt vmcnt(2)
	v_mul_f64 v[40:41], v[10:11], v[56:57]
	global_store_dwordx2 v[24:25], v[40:41], off
	v_lshl_add_u64 v[40:41], v[0:1], 3, s[2:3]
	v_add_u32_e32 v0, s9, v0
	s_waitcnt vmcnt(1)
	v_mul_f64 v[56:57], v[6:7], v[58:59]
	v_lshl_add_u64 v[24:25], v[0:1], 3, s[0:1]
	global_store_dwordx2 v[54:55], v[56:57], off
	global_load_dwordx2 v[54:55], v[24:25], off
	v_add_u32_e32 v0, s6, v0
	v_lshlrev_b64 v[60:61], 3, v[0:1]
	global_load_dwordx2 v[56:57], v[22:23], off
	v_add_u32_e32 v0, s7, v0
	s_waitcnt vmcnt(1)
	v_mul_f64 v[26:27], v[26:27], v[54:55]
	global_store_dwordx2 v[24:25], v[26:27], off
	v_lshl_add_u64 v[24:25], s[0:1], 0, v[60:61]
	global_load_dwordx2 v[26:27], v[24:25], off
	s_waitcnt vmcnt(2)
	v_mul_f64 v[54:55], v[6:7], v[56:57]
	global_store_dwordx2 v[22:23], v[54:55], off
	v_lshl_add_u64 v[54:55], v[0:1], 3, s[2:3]
	v_add_u32_e32 v0, s6, v0
	v_lshl_add_u64 v[22:23], v[0:1], 3, s[0:1]
	v_add_u32_e32 v0, s7, v0
	;; [unrolled: 2-line block ×3, first 2 shown]
	v_lshlrev_b64 v[58:59], 3, v[0:1]
	v_add_u32_e32 v0, s7, v0
	v_lshl_add_u64 v[64:65], v[0:1], 3, s[0:1]
	v_add_u32_e32 v0, s6, v0
	s_waitcnt vmcnt(1)
	v_mul_f64 v[26:27], v[10:11], v[26:27]
	global_store_dwordx2 v[24:25], v[26:27], off
	global_load_dwordx2 v[24:25], v[22:23], off
	v_lshl_add_u64 v[26:27], s[4:5], 0, v[36:37]
	s_waitcnt vmcnt(0)
	v_mul_f64 v[24:25], v[2:3], v[24:25]
	global_store_dwordx2 v[22:23], v[24:25], off
	v_lshl_add_u64 v[22:23], s[0:1], 0, v[58:59]
	global_load_dwordx2 v[24:25], v[22:23], off
	s_waitcnt vmcnt(0)
	v_mul_f64 v[24:25], v[4:5], v[24:25]
	global_store_dwordx2 v[22:23], v[24:25], off
	v_lshl_add_u64 v[24:25], s[4:5], 0, v[34:35]
	global_load_dwordx2 v[22:23], v[24:25], off
	global_load_dwordx2 v[34:35], v[26:27], off
	v_lshl_add_u64 v[24:25], s[4:5], 0, v[30:31]
	v_lshl_add_u64 v[26:27], s[4:5], 0, v[32:33]
	global_load_dwordx2 v[30:31], v[24:25], off
	global_load_dwordx2 v[36:37], v[26:27], off
	v_lshl_add_u64 v[32:33], s[4:5], 0, v[62:63]
	s_waitcnt vmcnt(2)
	v_fmac_f64_e32 v[22:23], v[6:7], v[34:35]
	global_load_dwordx2 v[34:35], v[64:65], off
	s_waitcnt vmcnt(2)
	v_fmac_f64_e32 v[22:23], v[2:3], v[30:31]
	s_waitcnt vmcnt(1)
	v_fmac_f64_e32 v[22:23], v[10:11], v[36:37]
	global_load_dwordx2 v[24:25], v[32:33], off
	global_load_dwordx2 v[26:27], v[28:29], off
	v_lshlrev_b64 v[32:33], 3, v[0:1]
	v_lshl_add_u64 v[28:29], s[0:1], 0, v[32:33]
	v_add_u32_e32 v0, s6, v0
	v_lshl_add_u64 v[32:33], s[2:3], 0, v[32:33]
	s_waitcnt vmcnt(2)
	v_mul_f64 v[30:31], v[22:23], v[34:35]
	global_store_dwordx2 v[64:65], v[30:31], off
	global_load_dwordx2 v[30:31], v[28:29], off
	v_lshl_add_u64 v[34:35], v[52:53], 3, s[2:3]
	global_load_dwordx2 v[36:37], v[34:35], off
	s_waitcnt vmcnt(3)
	v_fmac_f64_e32 v[24:25], v[4:5], v[26:27]
	s_waitcnt vmcnt(1)
	v_mul_f64 v[30:31], v[22:23], v[30:31]
	global_store_dwordx2 v[28:29], v[30:31], off
	v_lshl_add_u64 v[28:29], v[0:1], 3, s[0:1]
	global_load_dwordx2 v[30:31], v[28:29], off
	s_waitcnt vmcnt(2)
	v_mul_f64 v[36:37], v[44:45], v[36:37]
	v_add_u32_e32 v0, s6, v0
	global_store_dwordx2 v[34:35], v[36:37], off
	v_lshlrev_b64 v[34:35], 3, v[0:1]
	global_load_dwordx2 v[36:37], v[48:49], off
	v_lshl_add_u64 v[52:53], s[0:1], 0, v[34:35]
	v_add_u32_e32 v0, s6, v0
	v_lshl_add_u64 v[34:35], s[2:3], 0, v[34:35]
	s_waitcnt vmcnt(2)
	v_mul_f64 v[30:31], v[22:23], v[30:31]
	global_store_dwordx2 v[28:29], v[30:31], off
	global_load_dwordx2 v[62:63], v[52:53], off
	v_lshl_add_u64 v[30:31], v[0:1], 3, s[2:3]
	v_add_u32_e32 v0, s8, v0
	s_waitcnt vmcnt(2)
	v_mul_f64 v[28:29], v[44:45], v[36:37]
	global_store_dwordx2 v[48:49], v[28:29], off
	v_lshl_add_u64 v[28:29], v[0:1], 3, s[2:3]
	v_add_u32_e32 v0, s7, v0
	v_lshl_add_u64 v[36:37], v[0:1], 3, s[0:1]
	v_add_u32_e32 v0, s6, v0
	global_load_dwordx2 v[48:49], v[46:47], off
	s_waitcnt vmcnt(2)
	v_mul_f64 v[44:45], v[22:23], v[62:63]
	global_store_dwordx2 v[52:53], v[44:45], off
	global_load_dwordx2 v[44:45], v[36:37], off
	s_waitcnt vmcnt(0)
	v_mul_f64 v[44:45], v[2:3], v[44:45]
	global_store_dwordx2 v[36:37], v[44:45], off
	v_lshl_add_u64 v[44:45], v[0:1], 3, s[0:1]
	global_load_dwordx2 v[52:53], v[44:45], off
	v_add_u32_e32 v0, s6, v0
	v_mul_f64 v[36:37], v[2:3], v[48:49]
	global_store_dwordx2 v[46:47], v[36:37], off
	v_lshlrev_b64 v[36:37], 3, v[0:1]
	v_lshl_add_u64 v[46:47], s[0:1], 0, v[36:37]
	v_add_u32_e32 v0, s6, v0
	s_waitcnt vmcnt(1)
	v_mul_f64 v[48:49], v[2:3], v[52:53]
	global_store_dwordx2 v[44:45], v[48:49], off
	global_load_dwordx2 v[44:45], v[46:47], off
	v_lshl_add_u64 v[48:49], v[0:1], 3, s[0:1]
	v_add_u32_e32 v0, s6, v0
	s_waitcnt vmcnt(0)
	v_mul_f64 v[44:45], v[2:3], v[44:45]
	global_store_dwordx2 v[46:47], v[44:45], off
	global_load_dwordx2 v[44:45], v[48:49], off
	s_waitcnt vmcnt(0)
	v_mul_f64 v[44:45], v[2:3], v[44:45]
	global_load_dwordx2 v[46:47], v[42:43], off
	s_nop 0
	global_store_dwordx2 v[48:49], v[44:45], off
	v_lshl_add_u64 v[44:45], v[0:1], 3, s[0:1]
	global_load_dwordx2 v[48:49], v[44:45], off
	global_load_dwordx2 v[52:53], v[18:19], off
	;; [unrolled: 1-line block ×3, first 2 shown]
	v_add_u32_e32 v0, s6, v0
	global_load_dwordx2 v[16:17], v[16:17], off
	s_waitcnt vmcnt(5)
	v_mul_f64 v[18:19], v[4:5], v[46:47]
	global_store_dwordx2 v[42:43], v[18:19], off
	global_load_dwordx2 v[20:21], v[38:39], off
	v_lshl_add_u64 v[18:19], v[0:1], 3, s[0:1]
	s_waitcnt vmcnt(5)
	v_mul_f64 v[42:43], v[2:3], v[48:49]
	global_store_dwordx2 v[44:45], v[42:43], off
	global_load_dwordx2 v[42:43], v[18:19], off
	s_waitcnt vmcnt(6)
	v_fmac_f64_e32 v[8:9], v[4:5], v[52:53]
	s_waitcnt vmcnt(5)
	v_fmac_f64_e32 v[8:9], v[6:7], v[62:63]
	v_lshl_add_u64 v[44:45], s[2:3], 0, v[50:51]
	v_add_u32_e32 v0, s6, v0
	v_lshl_add_u64 v[46:47], v[0:1], 3, s[0:1]
	v_add_u32_e32 v0, s6, v0
	s_waitcnt vmcnt(4)
	v_fmac_f64_e32 v[24:25], v[2:3], v[16:17]
	s_waitcnt vmcnt(2)
	v_mul_f64 v[20:21], v[8:9], v[20:21]
	global_store_dwordx2 v[38:39], v[20:21], off
	global_load_dwordx2 v[20:21], v[44:45], off
	s_waitcnt vmcnt(2)
	v_mul_f64 v[38:39], v[2:3], v[42:43]
	global_store_dwordx2 v[18:19], v[38:39], off
	global_load_dwordx2 v[38:39], v[46:47], off
	v_lshlrev_b64 v[18:19], 3, v[0:1]
	v_lshl_add_u64 v[42:43], s[0:1], 0, v[18:19]
	v_add_u32_e32 v0, s6, v0
	v_lshl_add_u64 v[18:19], s[2:3], 0, v[18:19]
	s_waitcnt vmcnt(2)
	v_mul_f64 v[20:21], v[6:7], v[20:21]
	global_store_dwordx2 v[44:45], v[20:21], off
	global_load_dwordx2 v[44:45], v[40:41], off
	s_waitcnt vmcnt(2)
	v_mul_f64 v[20:21], v[2:3], v[38:39]
	global_store_dwordx2 v[46:47], v[20:21], off
	global_load_dwordx2 v[38:39], v[42:43], off
	v_lshl_add_u64 v[46:47], s[2:3], 0, v[60:61]
	v_lshlrev_b64 v[20:21], 3, v[0:1]
	v_lshl_add_u64 v[48:49], s[0:1], 0, v[20:21]
	v_add_u32_e32 v0, s6, v0
	v_lshl_add_u64 v[20:21], s[2:3], 0, v[20:21]
	s_waitcnt vmcnt(2)
	v_mul_f64 v[44:45], v[6:7], v[44:45]
	global_store_dwordx2 v[40:41], v[44:45], off
	global_load_dwordx2 v[40:41], v[46:47], off
	s_waitcnt vmcnt(2)
	v_mul_f64 v[38:39], v[2:3], v[38:39]
	global_store_dwordx2 v[42:43], v[38:39], off
	global_load_dwordx2 v[42:43], v[48:49], off
	v_lshlrev_b64 v[38:39], 3, v[0:1]
	v_lshl_add_u64 v[44:45], s[0:1], 0, v[38:39]
	v_add_u32_e32 v0, s6, v0
	s_waitcnt vmcnt(2)
	v_mul_f64 v[40:41], v[2:3], v[40:41]
	global_store_dwordx2 v[46:47], v[40:41], off
	global_load_dwordx2 v[40:41], v[54:55], off
	v_lshl_add_u64 v[46:47], v[0:1], 3, s[0:1]
	s_waitcnt vmcnt(2)
	v_mul_f64 v[42:43], v[2:3], v[42:43]
	global_store_dwordx2 v[48:49], v[42:43], off
	global_load_dwordx2 v[42:43], v[44:45], off
	v_add_u32_e32 v0, s7, v0
	v_lshl_add_u64 v[48:49], v[0:1], 3, s[0:1]
	v_add_u32_e32 v0, s6, v0
	s_waitcnt vmcnt(2)
	v_mul_f64 v[40:41], v[22:23], v[40:41]
	global_store_dwordx2 v[54:55], v[40:41], off
	global_load_dwordx2 v[40:41], v[56:57], off
	s_waitcnt vmcnt(2)
	v_mul_f64 v[42:43], v[2:3], v[42:43]
	global_store_dwordx2 v[44:45], v[42:43], off
	global_load_dwordx2 v[42:43], v[46:47], off
	v_lshl_add_u64 v[44:45], s[2:3], 0, v[58:59]
	s_waitcnt vmcnt(2)
	v_mul_f64 v[40:41], v[10:11], v[40:41]
	global_store_dwordx2 v[56:57], v[40:41], off
	global_load_dwordx2 v[40:41], v[44:45], off
	s_waitcnt vmcnt(2)
	v_mul_f64 v[42:43], v[2:3], v[42:43]
	global_store_dwordx2 v[46:47], v[42:43], off
	global_load_dwordx2 v[42:43], v[48:49], off
	v_lshl_add_u64 v[46:47], v[0:1], 3, s[0:1]
	v_add_u32_e32 v0, s6, v0
	s_waitcnt vmcnt(2)
	v_mul_f64 v[40:41], v[2:3], v[40:41]
	global_store_dwordx2 v[44:45], v[40:41], off
	global_load_dwordx2 v[40:41], v[32:33], off
	v_lshl_add_u64 v[44:45], v[0:1], 3, s[0:1]
	s_waitcnt vmcnt(2)
	v_mul_f64 v[42:43], v[2:3], v[42:43]
	global_store_dwordx2 v[48:49], v[42:43], off
	global_load_dwordx2 v[42:43], v[46:47], off
	v_add_u32_e32 v0, s6, v0
	s_waitcnt vmcnt(2)
	v_mul_f64 v[40:41], v[10:11], v[40:41]
	global_store_dwordx2 v[32:33], v[40:41], off
	global_load_dwordx2 v[32:33], v[34:35], off
	s_waitcnt vmcnt(2)
	v_mul_f64 v[40:41], v[2:3], v[42:43]
	global_store_dwordx2 v[46:47], v[40:41], off
	global_load_dwordx2 v[40:41], v[44:45], off
	v_lshl_add_u64 v[42:43], v[0:1], 3, s[0:1]
	v_add_u32_e32 v0, s6, v0
	s_waitcnt vmcnt(2)
	v_mul_f64 v[32:33], v[10:11], v[32:33]
	global_store_dwordx2 v[34:35], v[32:33], off
	global_load_dwordx2 v[32:33], v[30:31], off
	s_waitcnt vmcnt(2)
	v_mul_f64 v[34:35], v[2:3], v[40:41]
	global_store_dwordx2 v[44:45], v[34:35], off
	global_load_dwordx2 v[34:35], v[42:43], off
	v_lshl_add_u64 v[40:41], v[0:1], 3, s[0:1]
	v_add_u32_e32 v0, s6, v0
	s_waitcnt vmcnt(2)
	v_mul_f64 v[16:17], v[24:25], v[32:33]
	global_store_dwordx2 v[30:31], v[16:17], off
	global_load_dwordx2 v[16:17], v[28:29], off
	v_lshl_add_u64 v[30:31], s[2:3], 0, v[36:37]
	s_waitcnt vmcnt(2)
	v_mul_f64 v[26:27], v[24:25], v[34:35]
	global_store_dwordx2 v[42:43], v[26:27], off
	global_load_dwordx2 v[26:27], v[40:41], off
	v_lshlrev_b64 v[32:33], 3, v[0:1]
	v_lshl_add_u64 v[34:35], s[0:1], 0, v[32:33]
	v_add_u32_e32 v0, s6, v0
	s_waitcnt vmcnt(2)
	v_mul_f64 v[16:17], v[10:11], v[16:17]
	global_store_dwordx2 v[28:29], v[16:17], off
	global_load_dwordx2 v[16:17], v[30:31], off
	v_lshl_add_u64 v[28:29], v[0:1], 3, s[0:1]
	s_waitcnt vmcnt(2)
	v_mul_f64 v[26:27], v[24:25], v[26:27]
	global_store_dwordx2 v[40:41], v[26:27], off
	global_load_dwordx2 v[26:27], v[34:35], off
	v_add_u32_e32 v0, s6, v0
	s_waitcnt vmcnt(2)
	v_mul_f64 v[16:17], v[22:23], v[16:17]
	global_store_dwordx2 v[30:31], v[16:17], off
	global_load_dwordx2 v[16:17], v[18:19], off
	v_lshl_add_u64 v[30:31], v[0:1], 3, s[0:1]
	s_waitcnt vmcnt(2)
	v_mul_f64 v[26:27], v[24:25], v[26:27]
	global_store_dwordx2 v[34:35], v[26:27], off
	global_load_dwordx2 v[26:27], v[28:29], off
	v_add_u32_e32 v0, s6, v0
	s_waitcnt vmcnt(2)
	v_mul_f64 v[16:17], v[24:25], v[16:17]
	global_store_dwordx2 v[18:19], v[16:17], off
	global_load_dwordx2 v[16:17], v[20:21], off
	s_waitcnt vmcnt(2)
	v_mul_f64 v[18:19], v[24:25], v[26:27]
	global_store_dwordx2 v[28:29], v[18:19], off
	global_load_dwordx2 v[18:19], v[30:31], off
	v_lshl_add_u64 v[26:27], s[2:3], 0, v[38:39]
	v_lshl_add_u64 v[28:29], v[0:1], 3, s[0:1]
	v_add_u32_e32 v0, s6, v0
	s_waitcnt vmcnt(2)
	v_mul_f64 v[16:17], v[4:5], v[16:17]
	global_store_dwordx2 v[20:21], v[16:17], off
	global_load_dwordx2 v[16:17], v[26:27], off
	v_lshl_add_u64 v[20:21], s[2:3], 0, v[32:33]
	s_waitcnt vmcnt(2)
	v_mul_f64 v[18:19], v[24:25], v[18:19]
	global_store_dwordx2 v[30:31], v[18:19], off
	global_load_dwordx2 v[18:19], v[28:29], off
	v_lshl_add_u64 v[30:31], v[0:1], 3, s[0:1]
	v_add_u32_e32 v0, s6, v0
	s_waitcnt vmcnt(2)
	v_mul_f64 v[16:17], v[24:25], v[16:17]
	global_store_dwordx2 v[26:27], v[16:17], off
	global_load_dwordx2 v[16:17], v[20:21], off
	v_lshl_add_u64 v[26:27], v[0:1], 3, s[0:1]
	s_waitcnt vmcnt(2)
	v_mul_f64 v[18:19], v[24:25], v[18:19]
	global_store_dwordx2 v[28:29], v[18:19], off
	global_load_dwordx2 v[18:19], v[30:31], off
	v_add_u32_e32 v0, s6, v0
	v_lshl_add_u64 v[28:29], v[0:1], 3, s[2:3]
	v_add_u32_e32 v0, s6, v0
	s_waitcnt vmcnt(2)
	v_mul_f64 v[16:17], v[4:5], v[16:17]
	global_store_dwordx2 v[20:21], v[16:17], off
	global_load_dwordx2 v[16:17], v[28:29], off
	v_lshl_add_u64 v[20:21], v[0:1], 3, s[2:3]
	s_waitcnt vmcnt(2)
	v_mul_f64 v[18:19], v[24:25], v[18:19]
	global_store_dwordx2 v[30:31], v[18:19], off
	global_load_dwordx2 v[18:19], v[26:27], off
	v_add_u32_e32 v0, s6, v0
	v_lshl_add_u64 v[30:31], v[0:1], 3, s[2:3]
	v_add_u32_e32 v0, s6, v0
	v_lshl_add_u64 v[32:33], v[0:1], 3, s[2:3]
	;; [unrolled: 2-line block ×6, first 2 shown]
	v_add_u32_e32 v0, s7, v0
	v_lshlrev_b64 v[42:43], 3, v[0:1]
	v_lshl_add_u64 v[44:45], s[0:1], 0, v[42:43]
	v_add_u32_e32 v0, s6, v0
	s_waitcnt vmcnt(2)
	v_mul_f64 v[16:17], v[22:23], v[16:17]
	global_store_dwordx2 v[28:29], v[16:17], off
	global_load_dwordx2 v[16:17], v[20:21], off
	s_waitcnt vmcnt(2)
	v_mul_f64 v[18:19], v[24:25], v[18:19]
	global_store_dwordx2 v[26:27], v[18:19], off
	global_load_dwordx2 v[18:19], v[44:45], off
	v_lshl_add_u64 v[24:25], v[0:1], 3, s[0:1]
	v_add_u32_e32 v0, s6, v0
	s_waitcnt vmcnt(2)
	v_mul_f64 v[16:17], v[8:9], v[16:17]
	global_store_dwordx2 v[20:21], v[16:17], off
	global_load_dwordx2 v[16:17], v[30:31], off
	v_lshlrev_b64 v[20:21], 3, v[0:1]
	s_waitcnt vmcnt(2)
	v_mul_f64 v[18:19], v[4:5], v[18:19]
	global_store_dwordx2 v[44:45], v[18:19], off
	global_load_dwordx2 v[18:19], v[24:25], off
	v_lshl_add_u64 v[26:27], s[0:1], 0, v[20:21]
	v_add_u32_e32 v0, s6, v0
	s_waitcnt vmcnt(2)
	v_mul_f64 v[16:17], v[2:3], v[16:17]
	global_store_dwordx2 v[30:31], v[16:17], off
	global_load_dwordx2 v[16:17], v[32:33], off
	s_waitcnt vmcnt(2)
	v_mul_f64 v[18:19], v[10:11], v[18:19]
	global_store_dwordx2 v[24:25], v[18:19], off
	global_load_dwordx2 v[18:19], v[26:27], off
	v_lshl_add_u64 v[24:25], v[0:1], 3, s[0:1]
	v_add_u32_e32 v0, s6, v0
	s_waitcnt vmcnt(2)
	v_mul_f64 v[16:17], v[2:3], v[16:17]
	global_store_dwordx2 v[32:33], v[16:17], off
	global_load_dwordx2 v[16:17], v[34:35], off
	s_waitcnt vmcnt(2)
	v_mul_f64 v[18:19], v[6:7], v[18:19]
	global_store_dwordx2 v[26:27], v[18:19], off
	global_load_dwordx2 v[18:19], v[24:25], off
	v_lshl_add_u64 v[26:27], v[0:1], 3, s[2:3]
	v_add_u32_e32 v0, s6, v0
	v_lshl_add_u64 v[28:29], v[0:1], 3, s[2:3]
	v_add_u32_e32 v0, s6, v0
	;; [unrolled: 2-line block ×3, first 2 shown]
	s_waitcnt vmcnt(2)
	v_mul_f64 v[16:17], v[4:5], v[16:17]
	global_store_dwordx2 v[34:35], v[16:17], off
	global_load_dwordx2 v[16:17], v[36:37], off
	s_waitcnt vmcnt(2)
	v_mul_f64 v[18:19], v[6:7], v[18:19]
	global_store_dwordx2 v[24:25], v[18:19], off
	global_load_dwordx2 v[18:19], v[30:31], off
	v_lshl_add_u64 v[24:25], v[0:1], 3, s[0:1]
	v_add_u32_e32 v0, s6, v0
	s_waitcnt vmcnt(2)
	v_mul_f64 v[10:11], v[10:11], v[16:17]
	global_store_dwordx2 v[36:37], v[10:11], off
	global_load_dwordx2 v[10:11], v[38:39], off
	s_waitcnt vmcnt(2)
	v_mul_f64 v[16:17], v[8:9], v[18:19]
	global_store_dwordx2 v[30:31], v[16:17], off
	global_load_dwordx2 v[16:17], v[24:25], off
	v_lshl_add_u64 v[18:19], v[0:1], 3, s[0:1]
	v_add_u32_e32 v0, s6, v0
	v_lshl_add_u64 v[30:31], v[0:1], 3, s[0:1]
	v_add_u32_e32 v0, s6, v0
	s_waitcnt vmcnt(2)
	v_mul_f64 v[10:11], v[2:3], v[10:11]
	global_store_dwordx2 v[38:39], v[10:11], off
	global_load_dwordx2 v[10:11], v[40:41], off
	s_waitcnt vmcnt(2)
	v_mul_f64 v[16:17], v[8:9], v[16:17]
	global_store_dwordx2 v[24:25], v[16:17], off
	global_load_dwordx2 v[16:17], v[18:19], off
	v_lshl_add_u64 v[24:25], s[2:3], 0, v[42:43]
	s_waitcnt vmcnt(2)
	v_mul_f64 v[10:11], v[2:3], v[10:11]
	global_store_dwordx2 v[40:41], v[10:11], off
	global_load_dwordx2 v[10:11], v[24:25], off
	s_waitcnt vmcnt(2)
	v_mul_f64 v[16:17], v[8:9], v[16:17]
	global_store_dwordx2 v[18:19], v[16:17], off
	global_load_dwordx2 v[16:17], v[30:31], off
	v_lshl_add_u64 v[18:19], s[2:3], 0, v[20:21]
	v_lshl_add_u64 v[20:21], v[0:1], 3, s[0:1]
	v_add_u32_e32 v0, s6, v0
	s_waitcnt vmcnt(2)
	v_mul_f64 v[10:11], v[8:9], v[10:11]
	global_store_dwordx2 v[24:25], v[10:11], off
	global_load_dwordx2 v[10:11], v[18:19], off
	v_lshl_add_u64 v[24:25], v[0:1], 3, s[0:1]
	s_waitcnt vmcnt(2)
	v_mul_f64 v[16:17], v[8:9], v[16:17]
	global_store_dwordx2 v[30:31], v[16:17], off
	global_load_dwordx2 v[16:17], v[20:21], off
	v_add_u32_e32 v0, s6, v0
	s_waitcnt vmcnt(2)
	v_mul_f64 v[10:11], v[22:23], v[10:11]
	global_store_dwordx2 v[18:19], v[10:11], off
	global_load_dwordx2 v[10:11], v[26:27], off
	s_waitcnt vmcnt(2)
	v_mul_f64 v[16:17], v[8:9], v[16:17]
	global_store_dwordx2 v[20:21], v[16:17], off
	global_load_dwordx2 v[16:17], v[24:25], off
	s_nop 0
	global_load_dwordx2 v[18:19], v[12:13], off
	v_lshl_add_u64 v[12:13], v[0:1], 3, s[0:1]
	v_add_u32_e32 v0, s6, v0
	s_waitcnt vmcnt(3)
	v_mul_f64 v[10:11], v[2:3], v[10:11]
	global_store_dwordx2 v[26:27], v[10:11], off
	global_load_dwordx2 v[10:11], v[28:29], off
	s_waitcnt vmcnt(3)
	v_mul_f64 v[16:17], v[8:9], v[16:17]
	global_store_dwordx2 v[24:25], v[16:17], off
	global_load_dwordx2 v[16:17], v[12:13], off
	s_waitcnt vmcnt(4)
	v_fmac_f64_e32 v[14:15], v[8:9], v[18:19]
	v_lshl_add_u64 v[18:19], v[0:1], 3, s[0:1]
	v_add_u32_e32 v0, s6, v0
	v_lshl_add_u64 v[20:21], v[0:1], 3, s[0:1]
	v_add_u32_e32 v0, s7, v0
	;; [unrolled: 2-line block ×3, first 2 shown]
	s_waitcnt vmcnt(2)
	v_mul_f64 v[10:11], v[14:15], v[10:11]
	global_store_dwordx2 v[28:29], v[10:11], off
	global_load_dwordx2 v[10:11], v[24:25], off
	s_waitcnt vmcnt(2)
	v_mul_f64 v[16:17], v[8:9], v[16:17]
	global_store_dwordx2 v[12:13], v[16:17], off
	global_load_dwordx2 v[12:13], v[18:19], off
	v_lshl_add_u64 v[16:17], v[0:1], 3, s[2:3]
	v_add_u32_e32 v0, s6, v0
	s_waitcnt vmcnt(2)
	v_mul_f64 v[10:11], v[8:9], v[10:11]
	global_store_dwordx2 v[24:25], v[10:11], off
	global_load_dwordx2 v[10:11], v[16:17], off
	s_waitcnt vmcnt(2)
	v_mul_f64 v[12:13], v[8:9], v[12:13]
	global_store_dwordx2 v[18:19], v[12:13], off
	global_load_dwordx2 v[12:13], v[20:21], off
	v_lshl_add_u64 v[18:19], v[0:1], 3, s[2:3]
	v_add_u32_e32 v0, s6, v0
	v_lshlrev_b64 v[24:25], 3, v[0:1]
	v_lshl_add_u64 v[26:27], s[0:1], 0, v[24:25]
	v_add_u32_e32 v0, s6, v0
	s_waitcnt vmcnt(2)
	v_mul_f64 v[10:11], v[8:9], v[10:11]
	global_store_dwordx2 v[16:17], v[10:11], off
	global_load_dwordx2 v[10:11], v[18:19], off
	s_waitcnt vmcnt(2)
	v_mul_f64 v[12:13], v[8:9], v[12:13]
	global_store_dwordx2 v[20:21], v[12:13], off
	global_load_dwordx2 v[12:13], v[26:27], off
	v_lshl_add_u64 v[20:21], v[0:1], 3, s[2:3]
	v_add_u32_e32 v0, s7, v0
	v_lshl_add_u64 v[16:17], s[2:3], 0, v[24:25]
	v_lshl_add_u64 v[24:25], v[0:1], 3, s[2:3]
	v_add_u32_e32 v0, s7, v0
	v_lshl_add_u64 v[28:29], v[0:1], 3, s[2:3]
	v_add_u32_e32 v0, s6, v0
	;; [unrolled: 2-line block ×3, first 2 shown]
	s_waitcnt vmcnt(2)
	v_mul_f64 v[10:11], v[8:9], v[10:11]
	global_store_dwordx2 v[18:19], v[10:11], off
	global_load_dwordx2 v[10:11], v[16:17], off
	s_waitcnt vmcnt(2)
	v_mul_f64 v[6:7], v[6:7], v[12:13]
	global_store_dwordx2 v[26:27], v[6:7], off
	global_load_dwordx2 v[6:7], v[30:31], off
	v_mad_u64_u32 v[12:13], s[4:5], s6, 9, v[0:1]
	v_mov_b32_e32 v13, v1
	v_lshlrev_b64 v[18:19], 3, v[12:13]
	v_lshl_add_u64 v[26:27], s[0:1], 0, v[18:19]
	s_waitcnt vmcnt(2)
	v_mul_f64 v[10:11], v[8:9], v[10:11]
	global_store_dwordx2 v[16:17], v[10:11], off
	global_load_dwordx2 v[10:11], v[20:21], off
	s_waitcnt vmcnt(2)
	v_mul_f64 v[4:5], v[4:5], v[6:7]
	global_store_dwordx2 v[30:31], v[4:5], off
	global_load_dwordx2 v[4:5], v[26:27], off
	v_lshl_add_u64 v[6:7], v[0:1], 3, s[2:3]
	v_add_u32_e32 v0, s6, v12
	v_lshl_add_u64 v[12:13], v[0:1], 3, s[0:1]
	v_add_u32_e32 v0, s6, v0
	v_lshlrev_b64 v[16:17], 3, v[0:1]
	v_add_u32_e32 v0, s6, v0
	s_waitcnt vmcnt(2)
	v_mul_f64 v[10:11], v[8:9], v[10:11]
	global_store_dwordx2 v[20:21], v[10:11], off
	global_load_dwordx2 v[10:11], v[24:25], off
	s_waitcnt vmcnt(2)
	v_mul_f64 v[4:5], v[14:15], v[4:5]
	global_store_dwordx2 v[26:27], v[4:5], off
	global_load_dwordx2 v[4:5], v[12:13], off
	v_lshl_add_u64 v[20:21], s[0:1], 0, v[16:17]
	s_waitcnt vmcnt(2)
	v_mul_f64 v[10:11], v[22:23], v[10:11]
	global_store_dwordx2 v[24:25], v[10:11], off
	global_load_dwordx2 v[10:11], v[28:29], off
	s_waitcnt vmcnt(2)
	v_mul_f64 v[4:5], v[14:15], v[4:5]
	global_store_dwordx2 v[12:13], v[4:5], off
	global_load_dwordx2 v[4:5], v[20:21], off
	v_lshl_add_u64 v[12:13], v[0:1], 3, s[0:1]
	v_add_u32_e32 v0, s6, v0
	s_waitcnt vmcnt(2)
	v_mul_f64 v[2:3], v[2:3], v[10:11]
	global_store_dwordx2 v[28:29], v[2:3], off
	global_load_dwordx2 v[2:3], v[6:7], off
	s_waitcnt vmcnt(2)
	v_mul_f64 v[4:5], v[14:15], v[4:5]
	global_store_dwordx2 v[20:21], v[4:5], off
	global_load_dwordx2 v[4:5], v[12:13], off
	v_lshl_add_u64 v[10:11], s[2:3], 0, v[18:19]
	v_lshl_add_u64 v[18:19], v[0:1], 3, s[0:1]
	v_add_u32_e32 v0, s6, v0
	s_waitcnt vmcnt(2)
	v_mul_f64 v[2:3], v[14:15], v[2:3]
	global_store_dwordx2 v[6:7], v[2:3], off
	global_load_dwordx2 v[2:3], v[10:11], off
	s_waitcnt vmcnt(2)
	v_mul_f64 v[4:5], v[14:15], v[4:5]
	global_store_dwordx2 v[12:13], v[4:5], off
	global_load_dwordx2 v[4:5], v[18:19], off
	v_lshl_add_u64 v[6:7], s[2:3], 0, v[16:17]
	v_lshlrev_b64 v[12:13], 3, v[0:1]
	v_lshl_add_u64 v[16:17], s[0:1], 0, v[12:13]
	v_add_u32_e32 v0, s6, v0
	v_lshl_add_u64 v[0:1], v[0:1], 3, s[0:1]
	s_waitcnt vmcnt(2)
	v_mul_f64 v[2:3], v[8:9], v[2:3]
	global_store_dwordx2 v[10:11], v[2:3], off
	global_load_dwordx2 v[2:3], v[6:7], off
	s_waitcnt vmcnt(2)
	v_mul_f64 v[4:5], v[14:15], v[4:5]
	global_store_dwordx2 v[18:19], v[4:5], off
	global_load_dwordx2 v[4:5], v[16:17], off
	v_lshl_add_u64 v[10:11], s[2:3], 0, v[12:13]
	s_waitcnt vmcnt(2)
	v_mul_f64 v[2:3], v[8:9], v[2:3]
	global_store_dwordx2 v[6:7], v[2:3], off
	global_load_dwordx2 v[2:3], v[10:11], off
	s_waitcnt vmcnt(2)
	v_mul_f64 v[4:5], v[14:15], v[4:5]
	global_store_dwordx2 v[16:17], v[4:5], off
	global_load_dwordx2 v[4:5], v[0:1], off
	s_waitcnt vmcnt(2)
	v_mul_f64 v[2:3], v[8:9], v[2:3]
	global_store_dwordx2 v[10:11], v[2:3], off
	s_waitcnt vmcnt(1)
	v_mul_f64 v[2:3], v[14:15], v[4:5]
	global_store_dwordx2 v[0:1], v[2:3], off
	s_endpgm
	.section	.rodata,"a",@progbits
	.p2align	6, 0x0
	.amdhsa_kernel _Z12qssa2_kernelIdEvPT_S1_PKS0_
		.amdhsa_group_segment_fixed_size 0
		.amdhsa_private_segment_fixed_size 0
		.amdhsa_kernarg_size 280
		.amdhsa_user_sgpr_count 2
		.amdhsa_user_sgpr_dispatch_ptr 0
		.amdhsa_user_sgpr_queue_ptr 0
		.amdhsa_user_sgpr_kernarg_segment_ptr 1
		.amdhsa_user_sgpr_dispatch_id 0
		.amdhsa_user_sgpr_kernarg_preload_length 0
		.amdhsa_user_sgpr_kernarg_preload_offset 0
		.amdhsa_user_sgpr_private_segment_size 0
		.amdhsa_uses_dynamic_stack 0
		.amdhsa_enable_private_segment 0
		.amdhsa_system_sgpr_workgroup_id_x 1
		.amdhsa_system_sgpr_workgroup_id_y 0
		.amdhsa_system_sgpr_workgroup_id_z 0
		.amdhsa_system_sgpr_workgroup_info 0
		.amdhsa_system_vgpr_workitem_id 0
		.amdhsa_next_free_vgpr 66
		.amdhsa_next_free_sgpr 13
		.amdhsa_accum_offset 68
		.amdhsa_reserve_vcc 0
		.amdhsa_float_round_mode_32 0
		.amdhsa_float_round_mode_16_64 0
		.amdhsa_float_denorm_mode_32 3
		.amdhsa_float_denorm_mode_16_64 3
		.amdhsa_dx10_clamp 1
		.amdhsa_ieee_mode 1
		.amdhsa_fp16_overflow 0
		.amdhsa_tg_split 0
		.amdhsa_exception_fp_ieee_invalid_op 0
		.amdhsa_exception_fp_denorm_src 0
		.amdhsa_exception_fp_ieee_div_zero 0
		.amdhsa_exception_fp_ieee_overflow 0
		.amdhsa_exception_fp_ieee_underflow 0
		.amdhsa_exception_fp_ieee_inexact 0
		.amdhsa_exception_int_div_zero 0
	.end_amdhsa_kernel
	.section	.text._Z12qssa2_kernelIdEvPT_S1_PKS0_,"axG",@progbits,_Z12qssa2_kernelIdEvPT_S1_PKS0_,comdat
.Lfunc_end45:
	.size	_Z12qssa2_kernelIdEvPT_S1_PKS0_, .Lfunc_end45-_Z12qssa2_kernelIdEvPT_S1_PKS0_
                                        ; -- End function
	.set _Z12qssa2_kernelIdEvPT_S1_PKS0_.num_vgpr, 66
	.set _Z12qssa2_kernelIdEvPT_S1_PKS0_.num_agpr, 0
	.set _Z12qssa2_kernelIdEvPT_S1_PKS0_.numbered_sgpr, 13
	.set _Z12qssa2_kernelIdEvPT_S1_PKS0_.num_named_barrier, 0
	.set _Z12qssa2_kernelIdEvPT_S1_PKS0_.private_seg_size, 0
	.set _Z12qssa2_kernelIdEvPT_S1_PKS0_.uses_vcc, 0
	.set _Z12qssa2_kernelIdEvPT_S1_PKS0_.uses_flat_scratch, 0
	.set _Z12qssa2_kernelIdEvPT_S1_PKS0_.has_dyn_sized_stack, 0
	.set _Z12qssa2_kernelIdEvPT_S1_PKS0_.has_recursion, 0
	.set _Z12qssa2_kernelIdEvPT_S1_PKS0_.has_indirect_call, 0
	.section	.AMDGPU.csdata,"",@progbits
; Kernel info:
; codeLenInByte = 7736
; TotalNumSgprs: 19
; NumVgprs: 66
; NumAgprs: 0
; TotalNumVgprs: 66
; ScratchSize: 0
; MemoryBound: 1
; FloatMode: 240
; IeeeMode: 1
; LDSByteSize: 0 bytes/workgroup (compile time only)
; SGPRBlocks: 2
; VGPRBlocks: 8
; NumSGPRsForWavesPerEU: 19
; NumVGPRsForWavesPerEU: 66
; AccumOffset: 68
; Occupancy: 7
; WaveLimiterHint : 1
; COMPUTE_PGM_RSRC2:SCRATCH_EN: 0
; COMPUTE_PGM_RSRC2:USER_SGPR: 2
; COMPUTE_PGM_RSRC2:TRAP_HANDLER: 0
; COMPUTE_PGM_RSRC2:TGID_X_EN: 1
; COMPUTE_PGM_RSRC2:TGID_Y_EN: 0
; COMPUTE_PGM_RSRC2:TGID_Z_EN: 0
; COMPUTE_PGM_RSRC2:TIDIG_COMP_CNT: 0
; COMPUTE_PGM_RSRC3_GFX90A:ACCUM_OFFSET: 16
; COMPUTE_PGM_RSRC3_GFX90A:TG_SPLIT: 0
	.section	.text._Z13rdwdot_kernelIdEvPKT_S2_PS0_S0_S2_,"axG",@progbits,_Z13rdwdot_kernelIdEvPKT_S2_PS0_S0_S2_,comdat
	.protected	_Z13rdwdot_kernelIdEvPKT_S2_PS0_S0_S2_ ; -- Begin function _Z13rdwdot_kernelIdEvPKT_S2_PS0_S0_S2_
	.globl	_Z13rdwdot_kernelIdEvPKT_S2_PS0_S0_S2_
	.p2align	8
	.type	_Z13rdwdot_kernelIdEvPKT_S2_PS0_S0_S2_,@function
_Z13rdwdot_kernelIdEvPKT_S2_PS0_S0_S2_: ; @_Z13rdwdot_kernelIdEvPKT_S2_PS0_S0_S2_
; %bb.0:
	s_load_dword s3, s[0:1], 0x34
	s_load_dword s12, s[0:1], 0x28
	s_load_dwordx8 s[4:11], s[0:1], 0x0
	v_mov_b32_e32 v1, 0
	v_mov_b32_e32 v3, v1
	s_waitcnt lgkmcnt(0)
	s_and_b32 s13, s3, 0xffff
	s_mul_i32 s3, s12, s13
	s_mul_i32 s2, s2, s13
	s_lshl_b32 s12, s3, 2
	v_add_u32_e32 v2, s2, v0
	v_add_u32_e32 v0, s12, v2
	v_lshlrev_b64 v[6:7], 3, v[0:1]
	v_add_u32_e32 v0, s3, v0
	v_lshlrev_b64 v[10:11], 3, v[0:1]
	;; [unrolled: 2-line block ×4, first 2 shown]
	v_add_u32_e32 v0, s12, v0
	v_lshl_add_u64 v[4:5], s[4:5], 0, v[6:7]
	v_lshl_add_u64 v[6:7], s[6:7], 0, v[6:7]
	;; [unrolled: 1-line block ×4, first 2 shown]
	v_lshlrev_b64 v[20:21], 3, v[0:1]
	global_load_dwordx2 v[4:5], v[4:5], off
	v_lshl_add_u64 v[12:13], s[4:5], 0, v[14:15]
	global_load_dwordx2 v[6:7], v[6:7], off
	v_lshl_add_u64 v[14:15], s[6:7], 0, v[14:15]
	;; [unrolled: 2-line block ×4, first 2 shown]
	v_lshl_add_u64 v[22:23], s[4:5], 0, v[20:21]
	v_lshl_add_u64 v[20:21], s[6:7], 0, v[20:21]
	v_add_u32_e32 v0, s3, v0
	global_load_dwordx2 v[12:13], v[12:13], off
	s_mul_i32 s2, s3, 6
	global_load_dwordx2 v[14:15], v[14:15], off
	s_mul_i32 s13, s3, 7
	;; [unrolled: 2-line block ×3, first 2 shown]
	global_load_dwordx2 v[26:27], v[20:21], off
	v_lshlrev_b64 v[20:21], 3, v[0:1]
	global_load_dwordx2 v[16:17], v[16:17], off
	v_add_u32_e32 v0, s3, v0
	global_load_dwordx2 v[24:25], v[22:23], off
	v_lshl_add_u64 v[22:23], s[4:5], 0, v[20:21]
	v_lshl_add_u64 v[20:21], s[6:7], 0, v[20:21]
	global_load_dwordx2 v[28:29], v[22:23], off
	global_load_dwordx2 v[30:31], v[20:21], off
	v_lshlrev_b64 v[20:21], 3, v[2:3]
	v_lshl_add_u64 v[32:33], s[4:5], 0, v[20:21]
	v_lshl_add_u64 v[34:35], s[6:7], 0, v[20:21]
	global_load_dwordx2 v[20:21], v[32:33], off
	global_load_dwordx2 v[22:23], v[34:35], off
	v_lshlrev_b64 v[32:33], 3, v[0:1]
	v_add_u32_e32 v0, s3, v0
	v_lshl_add_u64 v[34:35], s[4:5], 0, v[32:33]
	v_lshl_add_u64 v[32:33], s[6:7], 0, v[32:33]
	v_lshlrev_b64 v[36:37], 3, v[0:1]
	v_add_u32_e32 v0, s3, v2
	global_load_dwordx2 v[38:39], v[34:35], off
	global_load_dwordx2 v[40:41], v[32:33], off
	v_lshl_add_u64 v[32:33], s[4:5], 0, v[36:37]
	v_lshlrev_b64 v[2:3], 3, v[0:1]
	v_add_u32_e32 v0, s3, v0
	v_lshl_add_u64 v[34:35], s[6:7], 0, v[36:37]
	global_load_dwordx2 v[36:37], v[32:33], off
	global_load_dwordx2 v[42:43], v[34:35], off
	v_lshl_add_u64 v[32:33], s[4:5], 0, v[2:3]
	v_lshlrev_b64 v[44:45], 3, v[0:1]
	v_lshl_add_u64 v[34:35], s[6:7], 0, v[2:3]
	global_load_dwordx2 v[46:47], v[32:33], off
	global_load_dwordx2 v[48:49], v[34:35], off
	v_lshl_add_u64 v[32:33], s[4:5], 0, v[44:45]
	v_add_u32_e32 v0, s2, v0
	v_lshl_add_u64 v[34:35], s[6:7], 0, v[44:45]
	global_load_dwordx2 v[50:51], v[32:33], off
	global_load_dwordx2 v[52:53], v[34:35], off
	v_lshlrev_b64 v[44:45], 3, v[0:1]
	v_add_u32_e32 v0, s3, v0
	v_lshl_add_u64 v[32:33], s[4:5], 0, v[44:45]
	v_lshl_add_u64 v[34:35], s[6:7], 0, v[44:45]
	v_lshlrev_b64 v[44:45], 3, v[0:1]
	global_load_dwordx2 v[54:55], v[32:33], off
	global_load_dwordx2 v[56:57], v[34:35], off
	v_lshl_add_u64 v[32:33], s[4:5], 0, v[44:45]
	v_add_u32_e32 v0, s13, v0
	global_load_dwordx2 v[32:33], v[32:33], off
	s_lshl_b32 s15, s3, 1
	s_mul_i32 s16, s3, 3
	s_lshl_b32 s17, s3, 3
	s_load_dwordx2 s[0:1], s[0:1], 0x20
	v_lshl_add_u64 v[2:3], s[8:9], 0, v[2:3]
	s_waitcnt lgkmcnt(0)
	s_load_dwordx2 s[0:1], s[0:1], 0x8
	s_waitcnt vmcnt(23)
	v_add_f64 v[4:5], v[4:5], -v[6:7]
	s_waitcnt vmcnt(21)
	v_add_f64 v[6:7], v[8:9], -v[10:11]
	v_add_f64 v[4:5], v[4:5], v[6:7]
	v_lshlrev_b64 v[10:11], 3, v[0:1]
	v_add_u32_e32 v0, s3, v0
	s_waitcnt vmcnt(19)
	v_add_f64 v[6:7], v[12:13], -v[14:15]
	v_add_f64 v[4:5], v[4:5], v[6:7]
	v_lshl_add_u64 v[12:13], s[4:5], 0, v[10:11]
	v_lshl_add_u64 v[10:11], s[6:7], 0, v[10:11]
	v_lshlrev_b64 v[14:15], 3, v[0:1]
	global_load_dwordx2 v[12:13], v[12:13], off
	s_waitcnt vmcnt(17)
	v_add_f64 v[6:7], v[16:17], -v[18:19]
	v_add_f64 v[4:5], v[4:5], v[6:7]
	s_waitcnt vmcnt(16)
	v_add_f64 v[6:7], v[24:25], -v[26:27]
	global_load_dwordx2 v[10:11], v[10:11], off
	v_lshl_add_u64 v[16:17], s[4:5], 0, v[14:15]
	v_lshl_add_u64 v[14:15], s[6:7], 0, v[14:15]
	s_waitcnt vmcnt(15)
	v_add_f64 v[8:9], v[28:29], -v[30:31]
	v_add_f64 v[6:7], v[6:7], v[8:9]
	v_lshl_add_u64 v[8:9], s[6:7], 0, v[44:45]
	global_load_dwordx2 v[8:9], v[8:9], off
	v_add_u32_e32 v0, s3, v0
	global_load_dwordx2 v[16:17], v[16:17], off
	v_lshlrev_b64 v[18:19], 3, v[0:1]
	global_load_dwordx2 v[14:15], v[14:15], off
	v_lshl_add_u64 v[24:25], s[4:5], 0, v[18:19]
	v_lshl_add_u64 v[18:19], s[6:7], 0, v[18:19]
	v_add_u32_e32 v0, s14, v0
	global_load_dwordx2 v[24:25], v[24:25], off
	v_lshlrev_b64 v[26:27], 3, v[0:1]
	global_load_dwordx2 v[18:19], v[18:19], off
	v_add_u32_e32 v0, s3, v0
	v_lshl_add_u64 v[28:29], s[4:5], 0, v[26:27]
	v_lshl_add_u64 v[26:27], s[6:7], 0, v[26:27]
	v_lshlrev_b64 v[30:31], 3, v[0:1]
	global_load_dwordx2 v[28:29], v[28:29], off
	v_lshl_add_u64 v[34:35], s[4:5], 0, v[30:31]
	global_load_dwordx2 v[26:27], v[26:27], off
	v_lshl_add_u64 v[30:31], s[6:7], 0, v[30:31]
	global_load_dwordx2 v[34:35], v[34:35], off
	v_add_u32_e32 v0, s14, v0
	global_load_dwordx2 v[30:31], v[30:31], off
	v_lshlrev_b64 v[44:45], 3, v[0:1]
	v_lshl_add_u64 v[58:59], s[4:5], 0, v[44:45]
	v_lshl_add_u64 v[44:45], s[6:7], 0, v[44:45]
	global_load_dwordx2 v[58:59], v[58:59], off
	s_waitcnt vmcnt(23)
	v_add_f64 v[20:21], v[20:21], -v[22:23]
	global_load_dwordx2 v[44:45], v[44:45], off
	s_waitcnt vmcnt(18)
	v_add_f64 v[22:23], v[46:47], -v[48:49]
	v_add_f64 v[20:21], v[22:23], -v[20:21]
	s_waitcnt vmcnt(16)
	v_add_f64 v[22:23], v[50:51], -v[52:53]
	v_add_f64 v[20:21], v[20:21], v[22:23]
	v_add_f64 v[20:21], v[20:21], -v[4:5]
	v_add_f64 v[38:39], v[38:39], -v[40:41]
	;; [unrolled: 1-line block ×3, first 2 shown]
	s_waitcnt vmcnt(14)
	v_add_f64 v[20:21], v[54:55], -v[56:57]
	v_add_f64 v[6:7], v[6:7], v[38:39]
	v_add_f64 v[36:37], v[36:37], -v[42:43]
	v_add_f64 v[4:5], v[4:5], -v[20:21]
	v_add_u32_e32 v0, s12, v0
	v_add_f64 v[6:7], v[6:7], v[36:37]
	s_waitcnt vmcnt(10)
	v_add_f64 v[8:9], v[32:33], -v[8:9]
	v_add_f64 v[4:5], v[4:5], -v[8:9]
	v_lshlrev_b64 v[8:9], 3, v[0:1]
	v_add_u32_e32 v0, s3, v0
	v_add_f64 v[4:5], v[4:5], -v[6:7]
	v_add_f64 v[6:7], v[12:13], -v[10:11]
	v_lshlrev_b64 v[12:13], 3, v[0:1]
	v_add_u32_e32 v0, s3, v0
	v_add_f64 v[4:5], v[4:5], -v[6:7]
	s_waitcnt vmcnt(8)
	v_add_f64 v[6:7], v[16:17], -v[14:15]
	v_lshlrev_b64 v[16:17], 3, v[0:1]
	v_add_u32_e32 v0, s3, v0
	v_lshl_add_u64 v[10:11], s[4:5], 0, v[8:9]
	v_lshl_add_u64 v[8:9], s[6:7], 0, v[8:9]
	v_lshlrev_b64 v[20:21], 3, v[0:1]
	global_load_dwordx2 v[10:11], v[10:11], off
	v_lshl_add_u64 v[14:15], s[4:5], 0, v[12:13]
	global_load_dwordx2 v[8:9], v[8:9], off
	v_lshl_add_u64 v[12:13], s[6:7], 0, v[12:13]
	v_lshl_add_u64 v[22:23], s[4:5], 0, v[20:21]
	;; [unrolled: 1-line block ×3, first 2 shown]
	v_add_f64 v[4:5], v[4:5], -v[6:7]
	global_load_dwordx2 v[14:15], v[14:15], off
	v_add_u32_e32 v0, s12, v0
	global_load_dwordx2 v[12:13], v[12:13], off
	s_nop 0
	global_load_dwordx2 v[20:21], v[20:21], off
	s_waitcnt vmcnt(11)
	v_add_f64 v[6:7], v[24:25], -v[18:19]
	v_lshl_add_u64 v[18:19], s[4:5], 0, v[16:17]
	v_lshl_add_u64 v[16:17], s[6:7], 0, v[16:17]
	global_load_dwordx2 v[18:19], v[18:19], off
	v_lshlrev_b64 v[24:25], 3, v[0:1]
	global_load_dwordx2 v[16:17], v[16:17], off
	v_add_u32_e32 v0, s3, v0
	v_add_f64 v[4:5], v[4:5], -v[6:7]
	s_waitcnt vmcnt(11)
	v_add_f64 v[6:7], v[28:29], -v[26:27]
	global_load_dwordx2 v[22:23], v[22:23], off
	v_lshl_add_u64 v[26:27], s[4:5], 0, v[24:25]
	v_lshl_add_u64 v[24:25], s[6:7], 0, v[24:25]
	v_lshlrev_b64 v[28:29], 3, v[0:1]
	v_add_u32_e32 v0, s15, v0
	v_add_f64 v[4:5], v[4:5], -v[6:7]
	s_waitcnt vmcnt(10)
	v_add_f64 v[6:7], v[34:35], -v[30:31]
	global_load_dwordx2 v[26:27], v[26:27], off
	v_lshl_add_u64 v[30:31], s[4:5], 0, v[28:29]
	global_load_dwordx2 v[24:25], v[24:25], off
	v_lshl_add_u64 v[28:29], s[6:7], 0, v[28:29]
	v_lshlrev_b64 v[32:33], 3, v[0:1]
	v_add_u32_e32 v0, s15, v0
	global_load_dwordx2 v[30:31], v[30:31], off
	v_lshl_add_u64 v[34:35], s[4:5], 0, v[32:33]
	global_load_dwordx2 v[28:29], v[28:29], off
	v_lshl_add_u64 v[32:33], s[6:7], 0, v[32:33]
	v_lshlrev_b64 v[36:37], 3, v[0:1]
	global_load_dwordx2 v[34:35], v[34:35], off
	v_lshl_add_u64 v[38:39], s[4:5], 0, v[36:37]
	global_load_dwordx2 v[32:33], v[32:33], off
	v_lshl_add_u64 v[36:37], s[6:7], 0, v[36:37]
	v_add_u32_e32 v0, s15, v0
	global_load_dwordx2 v[38:39], v[38:39], off
	v_lshlrev_b64 v[40:41], 3, v[0:1]
	global_load_dwordx2 v[36:37], v[36:37], off
	v_add_u32_e32 v0, s3, v0
	v_add_f64 v[4:5], v[4:5], -v[6:7]
	s_waitcnt vmcnt(16)
	v_add_f64 v[6:7], v[58:59], -v[44:45]
	v_lshl_add_u64 v[42:43], s[4:5], 0, v[40:41]
	v_lshl_add_u64 v[40:41], s[6:7], 0, v[40:41]
	v_lshlrev_b64 v[44:45], 3, v[0:1]
	v_add_u32_e32 v0, s3, v0
	global_load_dwordx2 v[42:43], v[42:43], off
	v_lshl_add_u64 v[46:47], s[4:5], 0, v[44:45]
	global_load_dwordx2 v[40:41], v[40:41], off
	v_lshl_add_u64 v[44:45], s[6:7], 0, v[44:45]
	v_lshlrev_b64 v[48:49], 3, v[0:1]
	v_add_u32_e32 v0, s15, v0
	global_load_dwordx2 v[46:47], v[46:47], off
	v_lshl_add_u64 v[50:51], s[4:5], 0, v[48:49]
	global_load_dwordx2 v[44:45], v[44:45], off
	v_lshl_add_u64 v[48:49], s[6:7], 0, v[48:49]
	v_lshlrev_b64 v[52:53], 3, v[0:1]
	global_load_dwordx2 v[50:51], v[50:51], off
	v_lshl_add_u64 v[54:55], s[4:5], 0, v[52:53]
	global_load_dwordx2 v[48:49], v[48:49], off
	v_lshl_add_u64 v[52:53], s[6:7], 0, v[52:53]
	v_add_u32_e32 v0, s3, v0
	global_load_dwordx2 v[54:55], v[54:55], off
	v_lshlrev_b64 v[56:57], 3, v[0:1]
	global_load_dwordx2 v[52:53], v[52:53], off
	v_lshl_add_u64 v[58:59], s[4:5], 0, v[56:57]
	v_lshl_add_u64 v[56:57], s[6:7], 0, v[56:57]
	global_load_dwordx2 v[58:59], v[58:59], off
	v_add_u32_e32 v0, s12, v0
	global_load_dwordx2 v[56:57], v[56:57], off
	v_add_f64 v[4:5], v[4:5], v[6:7]
	s_waitcnt vmcnt(24)
	v_add_f64 v[6:7], v[10:11], -v[8:9]
	v_lshlrev_b64 v[8:9], 3, v[0:1]
	v_add_u32_e32 v0, s16, v0
	v_add_f64 v[4:5], v[4:5], v[6:7]
	v_lshl_add_u64 v[10:11], s[4:5], 0, v[8:9]
	v_lshl_add_u64 v[8:9], s[6:7], 0, v[8:9]
	global_load_dwordx2 v[10:11], v[10:11], off
	s_waitcnt vmcnt(23)
	v_add_f64 v[6:7], v[14:15], -v[12:13]
	v_lshlrev_b64 v[12:13], 3, v[0:1]
	v_add_u32_e32 v0, s15, v0
	v_add_f64 v[4:5], v[4:5], v[6:7]
	global_load_dwordx2 v[8:9], v[8:9], off
	v_lshl_add_u64 v[14:15], s[4:5], 0, v[12:13]
	v_lshl_add_u64 v[12:13], s[6:7], 0, v[12:13]
	global_load_dwordx2 v[14:15], v[14:15], off
	s_waitcnt vmcnt(22)
	v_add_f64 v[6:7], v[18:19], -v[16:17]
	v_lshlrev_b64 v[16:17], 3, v[0:1]
	v_add_u32_e32 v0, s3, v0
	v_add_f64 v[4:5], v[4:5], v[6:7]
	s_waitcnt vmcnt(21)
	v_add_f64 v[6:7], v[22:23], -v[20:21]
	global_load_dwordx2 v[12:13], v[12:13], off
	v_lshl_add_u64 v[18:19], s[4:5], 0, v[16:17]
	v_lshl_add_u64 v[16:17], s[6:7], 0, v[16:17]
	v_lshlrev_b64 v[20:21], 3, v[0:1]
	v_add_u32_e32 v0, s3, v0
	v_add_f64 v[4:5], v[4:5], v[6:7]
	global_load_dwordx2 v[18:19], v[18:19], off
	v_lshl_add_u64 v[22:23], s[4:5], 0, v[20:21]
	s_waitcnt vmcnt(21)
	v_add_f64 v[6:7], v[26:27], -v[24:25]
	global_load_dwordx2 v[16:17], v[16:17], off
	v_lshl_add_u64 v[20:21], s[6:7], 0, v[20:21]
	v_lshlrev_b64 v[24:25], 3, v[0:1]
	v_add_u32_e32 v0, s3, v0
	v_add_f64 v[4:5], v[4:5], -v[6:7]
	s_waitcnt vmcnt(20)
	v_add_f64 v[6:7], v[30:31], -v[28:29]
	global_load_dwordx2 v[22:23], v[22:23], off
	v_lshl_add_u64 v[26:27], s[4:5], 0, v[24:25]
	global_load_dwordx2 v[20:21], v[20:21], off
	v_lshl_add_u64 v[24:25], s[6:7], 0, v[24:25]
	v_lshlrev_b64 v[28:29], 3, v[0:1]
	v_add_u32_e32 v0, s2, v0
	v_add_f64 v[4:5], v[4:5], -v[6:7]
	s_waitcnt vmcnt(20)
	v_add_f64 v[6:7], v[34:35], -v[32:33]
	global_load_dwordx2 v[26:27], v[26:27], off
	v_lshl_add_u64 v[30:31], s[4:5], 0, v[28:29]
	global_load_dwordx2 v[24:25], v[24:25], off
	v_lshl_add_u64 v[28:29], s[6:7], 0, v[28:29]
	v_lshlrev_b64 v[32:33], 3, v[0:1]
	v_add_u32_e32 v0, s3, v0
	v_add_f64 v[4:5], v[4:5], v[6:7]
	s_waitcnt vmcnt(20)
	v_add_f64 v[6:7], v[38:39], -v[36:37]
	global_load_dwordx2 v[30:31], v[30:31], off
	v_lshl_add_u64 v[34:35], s[4:5], 0, v[32:33]
	global_load_dwordx2 v[28:29], v[28:29], off
	v_lshl_add_u64 v[32:33], s[6:7], 0, v[32:33]
	v_lshlrev_b64 v[36:37], 3, v[0:1]
	global_load_dwordx2 v[34:35], v[34:35], off
	v_lshl_add_u64 v[38:39], s[4:5], 0, v[36:37]
	global_load_dwordx2 v[32:33], v[32:33], off
	v_lshl_add_u64 v[36:37], s[6:7], 0, v[36:37]
	v_add_f64 v[4:5], v[4:5], v[6:7]
	s_waitcnt vmcnt(22)
	v_add_f64 v[6:7], v[42:43], -v[40:41]
	global_load_dwordx2 v[38:39], v[38:39], off
	v_add_u32_e32 v0, s14, v0
	global_load_dwordx2 v[36:37], v[36:37], off
	v_add_f64 v[4:5], v[4:5], -v[6:7]
	s_waitcnt vmcnt(22)
	v_add_f64 v[6:7], v[46:47], -v[44:45]
	v_lshlrev_b64 v[40:41], 3, v[0:1]
	v_add_u32_e32 v0, s3, v0
	v_add_f64 v[4:5], v[4:5], v[6:7]
	s_waitcnt vmcnt(20)
	v_add_f64 v[6:7], v[50:51], -v[48:49]
	v_lshl_add_u64 v[42:43], s[4:5], 0, v[40:41]
	v_lshl_add_u64 v[40:41], s[6:7], 0, v[40:41]
	v_lshlrev_b64 v[44:45], 3, v[0:1]
	v_add_u32_e32 v0, s3, v0
	v_add_f64 v[4:5], v[4:5], v[6:7]
	s_waitcnt vmcnt(18)
	v_add_f64 v[6:7], v[54:55], -v[52:53]
	global_load_dwordx2 v[42:43], v[42:43], off
	v_lshl_add_u64 v[46:47], s[4:5], 0, v[44:45]
	global_load_dwordx2 v[40:41], v[40:41], off
	v_lshl_add_u64 v[44:45], s[6:7], 0, v[44:45]
	v_lshlrev_b64 v[48:49], 3, v[0:1]
	v_add_u32_e32 v0, s17, v0
	v_add_f64 v[4:5], v[4:5], v[6:7]
	global_load_dwordx2 v[46:47], v[46:47], off
	v_lshl_add_u64 v[50:51], s[4:5], 0, v[48:49]
	global_load_dwordx2 v[44:45], v[44:45], off
	v_lshl_add_u64 v[48:49], s[6:7], 0, v[48:49]
	v_lshlrev_b64 v[52:53], 3, v[0:1]
	v_add_u32_e32 v0, s12, v0
	v_add_f64 v[4:5], v[6:7], v[4:5]
	s_waitcnt vmcnt(20)
	v_add_f64 v[6:7], v[58:59], -v[56:57]
	global_load_dwordx2 v[50:51], v[50:51], off
	v_lshl_add_u64 v[54:55], s[4:5], 0, v[52:53]
	global_load_dwordx2 v[48:49], v[48:49], off
	v_lshl_add_u64 v[52:53], s[6:7], 0, v[52:53]
	v_lshlrev_b64 v[56:57], 3, v[0:1]
	global_load_dwordx2 v[54:55], v[54:55], off
	v_lshl_add_u64 v[58:59], s[4:5], 0, v[56:57]
	global_load_dwordx2 v[52:53], v[52:53], off
	v_lshl_add_u64 v[56:57], s[6:7], 0, v[56:57]
	global_load_dwordx2 v[58:59], v[58:59], off
	v_add_u32_e32 v0, s3, v0
	global_load_dwordx2 v[56:57], v[56:57], off
	v_add_f64 v[4:5], v[4:5], v[6:7]
	s_waitcnt vmcnt(24)
	v_add_f64 v[6:7], v[10:11], -v[8:9]
	v_lshlrev_b64 v[8:9], 3, v[0:1]
	v_add_u32_e32 v0, s15, v0
	v_add_f64 v[4:5], v[4:5], v[6:7]
	s_waitcnt vmcnt(22)
	v_add_f64 v[6:7], v[14:15], -v[12:13]
	v_lshl_add_u64 v[10:11], s[4:5], 0, v[8:9]
	v_lshl_add_u64 v[8:9], s[6:7], 0, v[8:9]
	v_lshlrev_b64 v[12:13], 3, v[0:1]
	v_add_u32_e32 v0, s15, v0
	v_add_f64 v[4:5], v[4:5], -v[6:7]
	s_waitcnt vmcnt(20)
	v_add_f64 v[6:7], v[18:19], -v[16:17]
	global_load_dwordx2 v[10:11], v[10:11], off
	v_lshl_add_u64 v[14:15], s[4:5], 0, v[12:13]
	global_load_dwordx2 v[8:9], v[8:9], off
	v_lshl_add_u64 v[12:13], s[6:7], 0, v[12:13]
	v_lshlrev_b64 v[16:17], 3, v[0:1]
	v_add_u32_e32 v0, s3, v0
	v_add_f64 v[4:5], v[4:5], v[6:7]
	s_waitcnt vmcnt(20)
	v_add_f64 v[6:7], v[22:23], -v[20:21]
	global_load_dwordx2 v[14:15], v[14:15], off
	v_lshl_add_u64 v[18:19], s[4:5], 0, v[16:17]
	global_load_dwordx2 v[12:13], v[12:13], off
	v_lshl_add_u64 v[16:17], s[6:7], 0, v[16:17]
	v_lshlrev_b64 v[20:21], 3, v[0:1]
	v_add_u32_e32 v0, s3, v0
	v_add_f64 v[4:5], v[4:5], v[6:7]
	;; [unrolled: 9-line block ×4, first 2 shown]
	s_waitcnt vmcnt(20)
	v_add_f64 v[6:7], v[34:35], -v[32:33]
	global_load_dwordx2 v[26:27], v[26:27], off
	v_lshl_add_u64 v[30:31], s[4:5], 0, v[28:29]
	global_load_dwordx2 v[24:25], v[24:25], off
	v_lshl_add_u64 v[28:29], s[6:7], 0, v[28:29]
	v_lshlrev_b64 v[32:33], 3, v[0:1]
	v_add_u32_e32 v0, s16, v0
	v_add_f64 v[4:5], v[4:5], -v[6:7]
	s_waitcnt vmcnt(20)
	v_add_f64 v[6:7], v[38:39], -v[36:37]
	global_load_dwordx2 v[30:31], v[30:31], off
	v_lshl_add_u64 v[34:35], s[4:5], 0, v[32:33]
	global_load_dwordx2 v[28:29], v[28:29], off
	v_lshl_add_u64 v[32:33], s[6:7], 0, v[32:33]
	v_lshlrev_b64 v[36:37], 3, v[0:1]
	global_load_dwordx2 v[34:35], v[34:35], off
	v_lshl_add_u64 v[38:39], s[4:5], 0, v[36:37]
	global_load_dwordx2 v[32:33], v[32:33], off
	v_lshl_add_u64 v[36:37], s[6:7], 0, v[36:37]
	global_load_dwordx2 v[38:39], v[38:39], off
	v_add_u32_e32 v0, s3, v0
	global_load_dwordx2 v[36:37], v[36:37], off
	v_add_f64 v[4:5], v[4:5], -v[6:7]
	s_waitcnt vmcnt(24)
	v_add_f64 v[6:7], v[42:43], -v[40:41]
	v_lshlrev_b64 v[40:41], 3, v[0:1]
	v_add_u32_e32 v0, s2, v0
	v_add_f64 v[4:5], v[4:5], v[6:7]
	s_waitcnt vmcnt(22)
	v_add_f64 v[6:7], v[46:47], -v[44:45]
	v_lshl_add_u64 v[42:43], s[4:5], 0, v[40:41]
	v_lshl_add_u64 v[40:41], s[6:7], 0, v[40:41]
	v_lshlrev_b64 v[44:45], 3, v[0:1]
	v_add_u32_e32 v0, s3, v0
	v_add_f64 v[4:5], v[4:5], -v[6:7]
	s_waitcnt vmcnt(20)
	v_add_f64 v[6:7], v[50:51], -v[48:49]
	global_load_dwordx2 v[42:43], v[42:43], off
	v_lshl_add_u64 v[46:47], s[4:5], 0, v[44:45]
	global_load_dwordx2 v[40:41], v[40:41], off
	v_lshl_add_u64 v[44:45], s[6:7], 0, v[44:45]
	v_lshlrev_b64 v[48:49], 3, v[0:1]
	v_add_u32_e32 v0, s15, v0
	v_add_f64 v[4:5], v[4:5], v[6:7]
	s_waitcnt vmcnt(20)
	v_add_f64 v[6:7], v[54:55], -v[52:53]
	global_load_dwordx2 v[46:47], v[46:47], off
	v_lshl_add_u64 v[50:51], s[4:5], 0, v[48:49]
	global_load_dwordx2 v[44:45], v[44:45], off
	v_lshl_add_u64 v[48:49], s[6:7], 0, v[48:49]
	v_lshlrev_b64 v[52:53], 3, v[0:1]
	v_add_u32_e32 v0, s2, v0
	v_add_f64 v[4:5], v[4:5], v[6:7]
	s_waitcnt vmcnt(20)
	v_add_f64 v[6:7], v[58:59], -v[56:57]
	global_load_dwordx2 v[50:51], v[50:51], off
	v_lshl_add_u64 v[54:55], s[4:5], 0, v[52:53]
	global_load_dwordx2 v[48:49], v[48:49], off
	v_lshl_add_u64 v[52:53], s[6:7], 0, v[52:53]
	v_lshlrev_b64 v[56:57], 3, v[0:1]
	global_load_dwordx2 v[54:55], v[54:55], off
	v_lshl_add_u64 v[58:59], s[4:5], 0, v[56:57]
	global_load_dwordx2 v[52:53], v[52:53], off
	v_lshl_add_u64 v[56:57], s[6:7], 0, v[56:57]
	global_load_dwordx2 v[58:59], v[58:59], off
	v_add_f64 v[4:5], v[4:5], v[6:7]
	global_load_dwordx2 v[56:57], v[56:57], off
	s_waitcnt vmcnt(24)
	v_add_f64 v[6:7], v[10:11], -v[8:9]
	v_add_u32_e32 v0, s15, v0
	v_add_f64 v[4:5], v[4:5], v[6:7]
	s_waitcnt vmcnt(22)
	v_add_f64 v[6:7], v[14:15], -v[12:13]
	v_lshlrev_b64 v[8:9], 3, v[0:1]
	v_add_u32_e32 v0, s3, v0
	v_add_f64 v[4:5], v[4:5], v[6:7]
	s_waitcnt vmcnt(20)
	v_add_f64 v[6:7], v[18:19], -v[16:17]
	v_lshlrev_b64 v[12:13], 3, v[0:1]
	v_add_u32_e32 v0, s3, v0
	v_add_f64 v[4:5], v[4:5], -v[6:7]
	v_lshl_add_u64 v[10:11], s[4:5], 0, v[8:9]
	v_lshl_add_u64 v[8:9], s[6:7], 0, v[8:9]
	v_lshlrev_b64 v[16:17], 3, v[0:1]
	s_waitcnt vmcnt(18)
	v_add_f64 v[6:7], v[22:23], -v[20:21]
	v_add_u32_e32 v0, s12, v0
	v_add_f64 v[4:5], v[4:5], -v[6:7]
	global_load_dwordx2 v[10:11], v[10:11], off
	v_lshl_add_u64 v[14:15], s[4:5], 0, v[12:13]
	global_load_dwordx2 v[8:9], v[8:9], off
	v_lshl_add_u64 v[12:13], s[6:7], 0, v[12:13]
	v_lshlrev_b64 v[20:21], 3, v[0:1]
	s_waitcnt vmcnt(18)
	v_add_f64 v[6:7], v[26:27], -v[24:25]
	v_add_u32_e32 v0, s3, v0
	v_add_f64 v[4:5], v[4:5], -v[6:7]
	global_load_dwordx2 v[14:15], v[14:15], off
	v_lshl_add_u64 v[18:19], s[4:5], 0, v[16:17]
	global_load_dwordx2 v[12:13], v[12:13], off
	v_lshl_add_u64 v[16:17], s[6:7], 0, v[16:17]
	v_lshlrev_b64 v[24:25], 3, v[0:1]
	s_waitcnt vmcnt(18)
	v_add_f64 v[6:7], v[30:31], -v[28:29]
	v_add_u32_e32 v0, s3, v0
	v_add_f64 v[4:5], v[4:5], -v[6:7]
	global_load_dwordx2 v[18:19], v[18:19], off
	v_lshl_add_u64 v[22:23], s[4:5], 0, v[20:21]
	s_waitcnt vmcnt(17)
	v_add_f64 v[6:7], v[34:35], -v[32:33]
	global_load_dwordx2 v[16:17], v[16:17], off
	v_lshl_add_u64 v[20:21], s[6:7], 0, v[20:21]
	v_lshlrev_b64 v[28:29], 3, v[0:1]
	v_add_u32_e32 v0, s3, v0
	v_add_f64 v[4:5], v[4:5], v[6:7]
	s_waitcnt vmcnt(16)
	v_add_f64 v[6:7], v[38:39], -v[36:37]
	global_load_dwordx2 v[22:23], v[22:23], off
	v_lshl_add_u64 v[26:27], s[4:5], 0, v[24:25]
	global_load_dwordx2 v[20:21], v[20:21], off
	v_lshl_add_u64 v[24:25], s[6:7], 0, v[24:25]
	v_mad_u64_u32 v[36:37], s[18:19], s3, 11, v[0:1]
	global_load_dwordx2 v[26:27], v[26:27], off
	v_lshl_add_u64 v[30:31], s[4:5], 0, v[28:29]
	global_load_dwordx2 v[24:25], v[24:25], off
	v_lshl_add_u64 v[28:29], s[6:7], 0, v[28:29]
	v_lshlrev_b64 v[32:33], 3, v[0:1]
	v_mov_b32_e32 v37, v1
	global_load_dwordx2 v[30:31], v[30:31], off
	v_lshl_add_u64 v[34:35], s[4:5], 0, v[32:33]
	global_load_dwordx2 v[28:29], v[28:29], off
	v_lshl_add_u64 v[32:33], s[6:7], 0, v[32:33]
	v_lshlrev_b64 v[38:39], 3, v[36:37]
	v_add_u32_e32 v0, s15, v36
	v_add_f64 v[4:5], v[4:5], -v[6:7]
	s_waitcnt vmcnt(20)
	v_add_f64 v[6:7], v[42:43], -v[40:41]
	global_load_dwordx2 v[34:35], v[34:35], off
	v_lshl_add_u64 v[40:41], s[4:5], 0, v[38:39]
	global_load_dwordx2 v[32:33], v[32:33], off
	v_lshl_add_u64 v[38:39], s[6:7], 0, v[38:39]
	v_lshlrev_b64 v[36:37], 3, v[0:1]
	v_add_u32_e32 v0, s3, v0
	v_add_f64 v[4:5], v[4:5], v[6:7]
	s_waitcnt vmcnt(20)
	v_add_f64 v[6:7], v[46:47], -v[44:45]
	global_load_dwordx2 v[40:41], v[40:41], off
	v_lshl_add_u64 v[42:43], s[4:5], 0, v[36:37]
	global_load_dwordx2 v[38:39], v[38:39], off
	v_lshl_add_u64 v[36:37], s[6:7], 0, v[36:37]
	v_lshlrev_b64 v[44:45], 3, v[0:1]
	v_add_u32_e32 v0, s3, v0
	v_add_f64 v[4:5], v[4:5], v[6:7]
	;; [unrolled: 9-line block ×4, first 2 shown]
	s_waitcnt vmcnt(20)
	v_add_f64 v[6:7], v[58:59], -v[56:57]
	global_load_dwordx2 v[50:51], v[50:51], off
	v_lshl_add_u64 v[54:55], s[4:5], 0, v[52:53]
	global_load_dwordx2 v[48:49], v[48:49], off
	v_lshl_add_u64 v[52:53], s[6:7], 0, v[52:53]
	v_lshlrev_b64 v[56:57], 3, v[0:1]
	global_load_dwordx2 v[54:55], v[54:55], off
	v_lshl_add_u64 v[58:59], s[4:5], 0, v[56:57]
	global_load_dwordx2 v[52:53], v[52:53], off
	v_lshl_add_u64 v[56:57], s[6:7], 0, v[56:57]
	global_load_dwordx2 v[58:59], v[58:59], off
	v_add_f64 v[4:5], v[4:5], v[6:7]
	global_load_dwordx2 v[56:57], v[56:57], off
	s_waitcnt vmcnt(24)
	v_add_f64 v[6:7], v[10:11], -v[8:9]
	v_add_f64 v[4:5], v[4:5], -v[6:7]
	s_waitcnt vmcnt(22)
	v_add_f64 v[6:7], v[14:15], -v[12:13]
	v_add_f64 v[4:5], v[4:5], -v[6:7]
	v_add_u32_e32 v0, s17, v0
	v_lshlrev_b64 v[8:9], 3, v[0:1]
	v_add_u32_e32 v0, s15, v0
	v_lshlrev_b64 v[10:11], 3, v[0:1]
	v_add_u32_e32 v0, s16, v0
	v_lshl_add_u64 v[12:13], s[4:5], 0, v[10:11]
	s_waitcnt vmcnt(20)
	v_add_f64 v[6:7], v[18:19], -v[16:17]
	v_add_f64 v[4:5], v[4:5], -v[6:7]
	v_lshl_add_u64 v[10:11], s[6:7], 0, v[10:11]
	v_lshlrev_b64 v[14:15], 3, v[0:1]
	v_add_u32_e32 v0, s3, v0
	global_load_dwordx2 v[12:13], v[12:13], off
	v_lshl_add_u64 v[16:17], s[4:5], 0, v[14:15]
	global_load_dwordx2 v[10:11], v[10:11], off
	s_waitcnt vmcnt(20)
	v_add_f64 v[6:7], v[22:23], -v[20:21]
	v_add_f64 v[4:5], v[4:5], -v[6:7]
	v_lshl_add_u64 v[14:15], s[6:7], 0, v[14:15]
	v_lshlrev_b64 v[18:19], 3, v[0:1]
	v_add_u32_e32 v0, s15, v0
	global_load_dwordx2 v[16:17], v[16:17], off
	s_waitcnt vmcnt(19)
	v_add_f64 v[6:7], v[26:27], -v[24:25]
	v_add_f64 v[4:5], v[4:5], -v[6:7]
	global_load_dwordx2 v[14:15], v[14:15], off
	v_lshl_add_u64 v[20:21], s[4:5], 0, v[18:19]
	v_lshl_add_u64 v[18:19], s[6:7], 0, v[18:19]
	v_lshlrev_b64 v[22:23], 3, v[0:1]
	s_waitcnt vmcnt(18)
	v_add_f64 v[6:7], v[30:31], -v[28:29]
	v_add_f64 v[4:5], v[4:5], -v[6:7]
	v_add_u32_e32 v0, s13, v0
	global_load_dwordx2 v[20:21], v[20:21], off
	v_lshl_add_u64 v[24:25], s[4:5], 0, v[22:23]
	global_load_dwordx2 v[18:19], v[18:19], off
	v_lshl_add_u64 v[22:23], s[6:7], 0, v[22:23]
	v_lshlrev_b64 v[26:27], 3, v[0:1]
	s_waitcnt vmcnt(18)
	v_add_f64 v[6:7], v[34:35], -v[32:33]
	v_add_f64 v[4:5], v[4:5], v[6:7]
	v_add_u32_e32 v0, s14, v0
	global_load_dwordx2 v[24:25], v[24:25], off
	v_lshl_add_u64 v[28:29], s[4:5], 0, v[26:27]
	global_load_dwordx2 v[22:23], v[22:23], off
	v_lshl_add_u64 v[26:27], s[6:7], 0, v[26:27]
	v_lshlrev_b64 v[30:31], 3, v[0:1]
	s_waitcnt vmcnt(18)
	v_add_f64 v[6:7], v[40:41], -v[38:39]
	v_add_f64 v[4:5], v[4:5], v[6:7]
	v_add_u32_e32 v0, s3, v0
	global_load_dwordx2 v[28:29], v[28:29], off
	v_lshl_add_u64 v[32:33], s[4:5], 0, v[30:31]
	global_load_dwordx2 v[26:27], v[26:27], off
	v_lshl_add_u64 v[30:31], s[6:7], 0, v[30:31]
	v_lshlrev_b64 v[34:35], 3, v[0:1]
	s_waitcnt vmcnt(18)
	v_add_f64 v[6:7], v[42:43], -v[36:37]
	v_add_f64 v[4:5], v[4:5], -v[6:7]
	v_add_u32_e32 v0, s12, v0
	global_load_dwordx2 v[32:33], v[32:33], off
	v_lshl_add_u64 v[36:37], s[4:5], 0, v[34:35]
	global_load_dwordx2 v[30:31], v[30:31], off
	v_lshl_add_u64 v[34:35], s[6:7], 0, v[34:35]
	v_lshlrev_b64 v[38:39], 3, v[0:1]
	s_waitcnt vmcnt(18)
	v_add_f64 v[6:7], v[46:47], -v[44:45]
	v_add_f64 v[4:5], v[4:5], -v[6:7]
	v_add_u32_e32 v0, s3, v0
	global_load_dwordx2 v[36:37], v[36:37], off
	v_lshl_add_u64 v[40:41], s[4:5], 0, v[38:39]
	global_load_dwordx2 v[34:35], v[34:35], off
	v_lshl_add_u64 v[38:39], s[6:7], 0, v[38:39]
	v_lshlrev_b64 v[42:43], 3, v[0:1]
	s_waitcnt vmcnt(18)
	v_add_f64 v[6:7], v[50:51], -v[48:49]
	v_add_f64 v[4:5], v[4:5], -v[6:7]
	v_add_u32_e32 v0, s3, v0
	global_load_dwordx2 v[40:41], v[40:41], off
	v_lshl_add_u64 v[44:45], s[4:5], 0, v[42:43]
	s_waitcnt vmcnt(17)
	v_add_f64 v[6:7], v[54:55], -v[52:53]
	v_add_f64 v[4:5], v[4:5], -v[6:7]
	global_load_dwordx2 v[38:39], v[38:39], off
	v_lshl_add_u64 v[42:43], s[6:7], 0, v[42:43]
	s_waitcnt vmcnt(16)
	v_add_f64 v[6:7], v[58:59], -v[56:57]
	v_add_f64 v[4:5], v[4:5], -v[6:7]
	v_lshl_add_u64 v[6:7], s[4:5], 0, v[8:9]
	v_lshl_add_u64 v[8:9], s[6:7], 0, v[8:9]
	global_load_dwordx2 v[6:7], v[6:7], off
	v_lshlrev_b64 v[46:47], 3, v[0:1]
	global_load_dwordx2 v[8:9], v[8:9], off
	v_add_u32_e32 v0, s3, v0
	global_load_dwordx2 v[44:45], v[44:45], off
	v_lshl_add_u64 v[48:49], s[4:5], 0, v[46:47]
	global_load_dwordx2 v[42:43], v[42:43], off
	v_lshl_add_u64 v[46:47], s[6:7], 0, v[46:47]
	v_lshlrev_b64 v[50:51], 3, v[0:1]
	v_add_u32_e32 v0, s2, v0
	global_load_dwordx2 v[48:49], v[48:49], off
	v_lshl_add_u64 v[52:53], s[4:5], 0, v[50:51]
	global_load_dwordx2 v[46:47], v[46:47], off
	v_lshl_add_u64 v[50:51], s[6:7], 0, v[50:51]
	v_lshlrev_b64 v[54:55], 3, v[0:1]
	v_add_u32_e32 v0, s3, v0
	global_load_dwordx2 v[52:53], v[52:53], off
	v_lshl_add_u64 v[56:57], s[4:5], 0, v[54:55]
	global_load_dwordx2 v[50:51], v[50:51], off
	v_lshl_add_u64 v[54:55], s[6:7], 0, v[54:55]
	v_lshlrev_b64 v[0:1], 3, v[0:1]
	global_load_dwordx2 v[56:57], v[56:57], off
	v_lshl_add_u64 v[58:59], s[4:5], 0, v[0:1]
	global_load_dwordx2 v[54:55], v[54:55], off
	v_lshl_add_u64 v[0:1], s[6:7], 0, v[0:1]
	global_load_dwordx2 v[58:59], v[58:59], off
	s_waitcnt vmcnt(9)
	v_add_f64 v[6:7], v[6:7], -v[8:9]
	global_load_dwordx2 v[0:1], v[0:1], off
	v_add_f64 v[4:5], v[4:5], v[6:7]
	v_add_f64 v[6:7], v[12:13], -v[10:11]
	v_add_f64 v[4:5], v[4:5], v[6:7]
	v_add_f64 v[6:7], v[16:17], -v[14:15]
	v_add_f64 v[4:5], v[4:5], -v[6:7]
	;; [unrolled: 1-line block ×5, first 2 shown]
	v_add_f64 v[4:5], v[4:5], v[6:7]
	v_add_f64 v[6:7], v[28:29], -v[26:27]
	v_add_f64 v[4:5], v[4:5], -v[6:7]
	;; [unrolled: 1-line block ×8, first 2 shown]
	s_waitcnt vmcnt(8)
	v_add_f64 v[6:7], v[44:45], -v[42:43]
	v_add_f64 v[4:5], v[4:5], -v[6:7]
	s_waitcnt vmcnt(6)
	v_add_f64 v[6:7], v[48:49], -v[46:47]
	v_add_f64 v[4:5], v[4:5], -v[6:7]
	s_waitcnt vmcnt(4)
	v_add_f64 v[6:7], v[52:53], -v[50:51]
	v_add_f64 v[4:5], v[4:5], v[6:7]
	s_waitcnt vmcnt(2)
	v_add_f64 v[6:7], v[56:57], -v[54:55]
	v_add_f64 v[4:5], v[4:5], -v[6:7]
	s_waitcnt vmcnt(0)
	v_add_f64 v[0:1], v[58:59], -v[0:1]
	v_add_f64 v[0:1], v[4:5], -v[0:1]
	v_mul_f64 v[0:1], s[10:11], v[0:1]
	s_waitcnt lgkmcnt(0)
	v_mul_f64 v[0:1], s[0:1], v[0:1]
	global_store_dwordx2 v[2:3], v[0:1], off
	s_endpgm
	.section	.rodata,"a",@progbits
	.p2align	6, 0x0
	.amdhsa_kernel _Z13rdwdot_kernelIdEvPKT_S2_PS0_S0_S2_
		.amdhsa_group_segment_fixed_size 0
		.amdhsa_private_segment_fixed_size 0
		.amdhsa_kernarg_size 296
		.amdhsa_user_sgpr_count 2
		.amdhsa_user_sgpr_dispatch_ptr 0
		.amdhsa_user_sgpr_queue_ptr 0
		.amdhsa_user_sgpr_kernarg_segment_ptr 1
		.amdhsa_user_sgpr_dispatch_id 0
		.amdhsa_user_sgpr_kernarg_preload_length 0
		.amdhsa_user_sgpr_kernarg_preload_offset 0
		.amdhsa_user_sgpr_private_segment_size 0
		.amdhsa_uses_dynamic_stack 0
		.amdhsa_enable_private_segment 0
		.amdhsa_system_sgpr_workgroup_id_x 1
		.amdhsa_system_sgpr_workgroup_id_y 0
		.amdhsa_system_sgpr_workgroup_id_z 0
		.amdhsa_system_sgpr_workgroup_info 0
		.amdhsa_system_vgpr_workitem_id 0
		.amdhsa_next_free_vgpr 60
		.amdhsa_next_free_sgpr 20
		.amdhsa_accum_offset 60
		.amdhsa_reserve_vcc 0
		.amdhsa_float_round_mode_32 0
		.amdhsa_float_round_mode_16_64 0
		.amdhsa_float_denorm_mode_32 3
		.amdhsa_float_denorm_mode_16_64 3
		.amdhsa_dx10_clamp 1
		.amdhsa_ieee_mode 1
		.amdhsa_fp16_overflow 0
		.amdhsa_tg_split 0
		.amdhsa_exception_fp_ieee_invalid_op 0
		.amdhsa_exception_fp_denorm_src 0
		.amdhsa_exception_fp_ieee_div_zero 0
		.amdhsa_exception_fp_ieee_overflow 0
		.amdhsa_exception_fp_ieee_underflow 0
		.amdhsa_exception_fp_ieee_inexact 0
		.amdhsa_exception_int_div_zero 0
	.end_amdhsa_kernel
	.section	.text._Z13rdwdot_kernelIdEvPKT_S2_PS0_S0_S2_,"axG",@progbits,_Z13rdwdot_kernelIdEvPKT_S2_PS0_S0_S2_,comdat
.Lfunc_end46:
	.size	_Z13rdwdot_kernelIdEvPKT_S2_PS0_S0_S2_, .Lfunc_end46-_Z13rdwdot_kernelIdEvPKT_S2_PS0_S0_S2_
                                        ; -- End function
	.set _Z13rdwdot_kernelIdEvPKT_S2_PS0_S0_S2_.num_vgpr, 60
	.set _Z13rdwdot_kernelIdEvPKT_S2_PS0_S0_S2_.num_agpr, 0
	.set _Z13rdwdot_kernelIdEvPKT_S2_PS0_S0_S2_.numbered_sgpr, 20
	.set _Z13rdwdot_kernelIdEvPKT_S2_PS0_S0_S2_.num_named_barrier, 0
	.set _Z13rdwdot_kernelIdEvPKT_S2_PS0_S0_S2_.private_seg_size, 0
	.set _Z13rdwdot_kernelIdEvPKT_S2_PS0_S0_S2_.uses_vcc, 0
	.set _Z13rdwdot_kernelIdEvPKT_S2_PS0_S0_S2_.uses_flat_scratch, 0
	.set _Z13rdwdot_kernelIdEvPKT_S2_PS0_S0_S2_.has_dyn_sized_stack, 0
	.set _Z13rdwdot_kernelIdEvPKT_S2_PS0_S0_S2_.has_recursion, 0
	.set _Z13rdwdot_kernelIdEvPKT_S2_PS0_S0_S2_.has_indirect_call, 0
	.section	.AMDGPU.csdata,"",@progbits
; Kernel info:
; codeLenInByte = 5556
; TotalNumSgprs: 26
; NumVgprs: 60
; NumAgprs: 0
; TotalNumVgprs: 60
; ScratchSize: 0
; MemoryBound: 0
; FloatMode: 240
; IeeeMode: 1
; LDSByteSize: 0 bytes/workgroup (compile time only)
; SGPRBlocks: 3
; VGPRBlocks: 7
; NumSGPRsForWavesPerEU: 26
; NumVGPRsForWavesPerEU: 60
; AccumOffset: 60
; Occupancy: 8
; WaveLimiterHint : 0
; COMPUTE_PGM_RSRC2:SCRATCH_EN: 0
; COMPUTE_PGM_RSRC2:USER_SGPR: 2
; COMPUTE_PGM_RSRC2:TRAP_HANDLER: 0
; COMPUTE_PGM_RSRC2:TGID_X_EN: 1
; COMPUTE_PGM_RSRC2:TGID_Y_EN: 0
; COMPUTE_PGM_RSRC2:TGID_Z_EN: 0
; COMPUTE_PGM_RSRC2:TIDIG_COMP_CNT: 0
; COMPUTE_PGM_RSRC3_GFX90A:ACCUM_OFFSET: 14
; COMPUTE_PGM_RSRC3_GFX90A:TG_SPLIT: 0
	.section	.text._Z14rdwdot2_kernelIdEvPKT_S2_PS0_S0_S2_,"axG",@progbits,_Z14rdwdot2_kernelIdEvPKT_S2_PS0_S0_S2_,comdat
	.protected	_Z14rdwdot2_kernelIdEvPKT_S2_PS0_S0_S2_ ; -- Begin function _Z14rdwdot2_kernelIdEvPKT_S2_PS0_S0_S2_
	.globl	_Z14rdwdot2_kernelIdEvPKT_S2_PS0_S0_S2_
	.p2align	8
	.type	_Z14rdwdot2_kernelIdEvPKT_S2_PS0_S0_S2_,@function
_Z14rdwdot2_kernelIdEvPKT_S2_PS0_S0_S2_: ; @_Z14rdwdot2_kernelIdEvPKT_S2_PS0_S0_S2_
; %bb.0:
	s_load_dword s3, s[0:1], 0x34
	s_load_dword s12, s[0:1], 0x28
	s_load_dwordx8 s[4:11], s[0:1], 0x0
	v_mov_b32_e32 v1, 0
	s_load_dwordx2 s[0:1], s[0:1], 0x20
	s_waitcnt lgkmcnt(0)
	s_and_b32 s13, s3, 0xffff
	s_mul_i32 s3, s12, s13
	s_mul_i32 s12, s3, 0x78
	;; [unrolled: 1-line block ×3, first 2 shown]
	s_add_i32 s12, s12, s2
	v_add_u32_e32 v0, s12, v0
	v_lshlrev_b64 v[4:5], 3, v[0:1]
	v_lshl_add_u64 v[2:3], s[4:5], 0, v[4:5]
	v_lshl_add_u64 v[4:5], s[6:7], 0, v[4:5]
	global_load_dwordx2 v[2:3], v[2:3], off
	v_mad_u64_u32 v[6:7], s[12:13], s3, 25, v[0:1]
	global_load_dwordx2 v[4:5], v[4:5], off
	v_mov_b32_e32 v7, v1
	v_lshlrev_b64 v[8:9], 3, v[6:7]
	v_mad_u64_u32 v[10:11], s[12:13], s3, 19, v[6:7]
	s_lshl_b32 s2, s3, 1
	v_lshl_add_u64 v[12:13], s[4:5], 0, v[8:9]
	v_mov_b32_e32 v11, v1
	v_lshl_add_u64 v[14:15], s[6:7], 0, v[8:9]
	v_add_u32_e32 v0, s2, v10
	global_load_dwordx2 v[6:7], v[12:13], off
	global_load_dwordx2 v[8:9], v[14:15], off
	v_lshlrev_b64 v[10:11], 3, v[10:11]
	v_lshlrev_b64 v[12:13], 3, v[0:1]
	v_mad_u64_u32 v[14:15], s[12:13], s3, 18, v[0:1]
	v_lshl_add_u64 v[16:17], s[4:5], 0, v[10:11]
	v_lshl_add_u64 v[10:11], s[6:7], 0, v[10:11]
	;; [unrolled: 1-line block ×4, first 2 shown]
	v_mov_b32_e32 v15, v1
	global_load_dwordx2 v[20:21], v[16:17], off
	global_load_dwordx2 v[22:23], v[10:11], off
	;; [unrolled: 1-line block ×4, first 2 shown]
	v_add_u32_e32 v0, s3, v14
	v_lshlrev_b64 v[10:11], 3, v[14:15]
	v_lshlrev_b64 v[12:13], 3, v[0:1]
	v_add_u32_e32 v0, s3, v0
	v_lshl_add_u64 v[14:15], s[4:5], 0, v[10:11]
	v_lshl_add_u64 v[10:11], s[6:7], 0, v[10:11]
	;; [unrolled: 1-line block ×4, first 2 shown]
	v_lshlrev_b64 v[18:19], 3, v[0:1]
	v_add_u32_e32 v0, s3, v0
	global_load_dwordx2 v[28:29], v[14:15], off
	global_load_dwordx2 v[30:31], v[10:11], off
	;; [unrolled: 1-line block ×4, first 2 shown]
	v_lshl_add_u64 v[10:11], s[4:5], 0, v[18:19]
	v_lshl_add_u64 v[12:13], s[6:7], 0, v[18:19]
	v_lshlrev_b64 v[14:15], 3, v[0:1]
	v_add_u32_e32 v0, s3, v0
	global_load_dwordx2 v[16:17], v[10:11], off
	global_load_dwordx2 v[18:19], v[12:13], off
	v_lshl_add_u64 v[10:11], s[4:5], 0, v[14:15]
	v_lshl_add_u64 v[12:13], s[6:7], 0, v[14:15]
	v_lshlrev_b64 v[14:15], 3, v[0:1]
	s_mul_i32 s14, s3, 3
	global_load_dwordx2 v[36:37], v[10:11], off
	global_load_dwordx2 v[38:39], v[12:13], off
	v_lshl_add_u64 v[10:11], s[4:5], 0, v[14:15]
	v_add_u32_e32 v0, s14, v0
	v_lshl_add_u64 v[12:13], s[6:7], 0, v[14:15]
	global_load_dwordx2 v[40:41], v[10:11], off
	global_load_dwordx2 v[42:43], v[12:13], off
	v_lshlrev_b64 v[14:15], 3, v[0:1]
	v_lshl_add_u64 v[10:11], s[4:5], 0, v[14:15]
	v_add_u32_e32 v0, s14, v0
	v_lshl_add_u64 v[12:13], s[6:7], 0, v[14:15]
	global_load_dwordx2 v[44:45], v[10:11], off
	global_load_dwordx2 v[46:47], v[12:13], off
	v_lshlrev_b64 v[14:15], 3, v[0:1]
	v_add_u32_e32 v0, s3, v0
	v_lshl_add_u64 v[10:11], s[4:5], 0, v[14:15]
	v_lshl_add_u64 v[12:13], s[6:7], 0, v[14:15]
	v_lshlrev_b64 v[14:15], 3, v[0:1]
	v_add_u32_e32 v0, s3, v0
	global_load_dwordx2 v[48:49], v[10:11], off
	global_load_dwordx2 v[50:51], v[12:13], off
	v_lshl_add_u64 v[10:11], s[4:5], 0, v[14:15]
	v_lshl_add_u64 v[12:13], s[6:7], 0, v[14:15]
	global_load_dwordx2 v[52:53], v[10:11], off
	global_load_dwordx2 v[54:55], v[12:13], off
	s_mul_i32 s12, s3, 0xffffff46
	s_waitcnt vmcnt(22)
	v_add_f64 v[2:3], v[2:3], -v[4:5]
	v_lshlrev_b64 v[4:5], 3, v[0:1]
	v_lshl_add_u64 v[10:11], s[4:5], 0, v[4:5]
	v_lshl_add_u64 v[4:5], s[6:7], 0, v[4:5]
	global_load_dwordx2 v[56:57], v[10:11], off
	global_load_dwordx2 v[58:59], v[4:5], off
	v_add_u32_e32 v0, s3, v0
	v_lshlrev_b64 v[4:5], 3, v[0:1]
	v_lshl_add_u64 v[10:11], s[4:5], 0, v[4:5]
	v_lshl_add_u64 v[4:5], s[6:7], 0, v[4:5]
	v_lshl_add_u32 v0, s3, 3, v0
	global_load_dwordx2 v[62:63], v[4:5], off
	v_lshlrev_b64 v[4:5], 3, v[0:1]
	global_load_dwordx2 v[60:61], v[10:11], off
	v_lshl_add_u64 v[10:11], s[4:5], 0, v[4:5]
	v_lshl_add_u64 v[4:5], s[6:7], 0, v[4:5]
	global_load_dwordx2 v[64:65], v[10:11], off
	global_load_dwordx2 v[66:67], v[4:5], off
	s_waitcnt vmcnt(26)
	v_add_f64 v[4:5], v[6:7], -v[8:9]
	v_add_u32_e32 v0, s12, v0
	s_mul_i32 s12, s3, 0x7d
	v_add_f64 v[2:3], v[2:3], v[4:5]
	s_waitcnt vmcnt(24)
	v_add_f64 v[4:5], v[20:21], -v[22:23]
	v_lshl_add_u64 v[22:23], v[0:1], 3, s[8:9]
	v_add_u32_e32 v0, s12, v0
	v_add_f64 v[2:3], v[2:3], v[4:5]
	s_waitcnt vmcnt(22)
	v_add_f64 v[4:5], v[24:25], -v[26:27]
	v_lshlrev_b64 v[24:25], 3, v[0:1]
	v_lshl_add_u64 v[26:27], s[4:5], 0, v[24:25]
	s_waitcnt vmcnt(20)
	v_add_f64 v[10:11], v[28:29], -v[30:31]
	v_lshl_add_u64 v[24:25], s[6:7], 0, v[24:25]
	v_mad_u64_u32 v[28:29], s[12:13], s3, 45, v[0:1]
	global_load_dwordx2 v[26:27], v[26:27], off
	v_mov_b32_e32 v29, v1
	global_load_dwordx2 v[24:25], v[24:25], off
	v_lshlrev_b64 v[30:31], 3, v[28:29]
	v_add_u32_e32 v0, s3, v28
	v_add_f64 v[2:3], v[2:3], v[4:5]
	s_waitcnt vmcnt(20)
	v_add_f64 v[4:5], v[32:33], -v[34:35]
	v_lshl_add_u64 v[32:33], s[4:5], 0, v[30:31]
	v_lshl_add_u64 v[30:31], s[6:7], 0, v[30:31]
	v_lshlrev_b64 v[28:29], 3, v[0:1]
	v_add_f64 v[2:3], v[2:3], -v[10:11]
	global_load_dwordx2 v[32:33], v[32:33], off
	v_lshl_add_u64 v[34:35], s[4:5], 0, v[28:29]
	global_load_dwordx2 v[30:31], v[30:31], off
	v_lshl_add_u64 v[28:29], s[6:7], 0, v[28:29]
	v_add_u32_e32 v0, s2, v0
	v_add_f64 v[2:3], v[2:3], -v[4:5]
	s_waitcnt vmcnt(18)
	v_add_f64 v[4:5], v[36:37], -v[38:39]
	global_load_dwordx2 v[34:35], v[34:35], off
	v_lshlrev_b64 v[36:37], 3, v[0:1]
	global_load_dwordx2 v[28:29], v[28:29], off
	v_add_u32_e32 v0, s3, v0
	v_add_f64 v[14:15], v[16:17], -v[18:19]
	s_waitcnt vmcnt(18)
	v_add_f64 v[16:17], v[40:41], -v[42:43]
	v_lshl_add_u64 v[38:39], s[4:5], 0, v[36:37]
	v_lshl_add_u64 v[36:37], s[6:7], 0, v[36:37]
	v_lshlrev_b64 v[40:41], 3, v[0:1]
	global_load_dwordx2 v[38:39], v[38:39], off
	v_lshl_add_u64 v[42:43], s[4:5], 0, v[40:41]
	global_load_dwordx2 v[36:37], v[36:37], off
	v_lshl_add_u64 v[40:41], s[6:7], 0, v[40:41]
	global_load_dwordx2 v[42:43], v[42:43], off
	s_waitcnt vmcnt(19)
	v_add_f64 v[12:13], v[44:45], -v[46:47]
	global_load_dwordx2 v[40:41], v[40:41], off
	v_mad_u64_u32 v[44:45], s[12:13], s3, 6, v[0:1]
	v_mov_b32_e32 v45, v1
	v_add_f64 v[2:3], v[2:3], -v[14:15]
	v_lshlrev_b64 v[46:47], 3, v[44:45]
	v_add_u32_e32 v0, s2, v44
	v_add_f64 v[18:19], v[2:3], -v[4:5]
	s_waitcnt vmcnt(18)
	v_add_f64 v[2:3], v[48:49], -v[50:51]
	v_lshl_add_u64 v[48:49], s[4:5], 0, v[46:47]
	v_lshl_add_u64 v[46:47], s[6:7], 0, v[46:47]
	v_lshlrev_b64 v[44:45], 3, v[0:1]
	v_add_u32_e32 v0, s3, v0
	s_waitcnt vmcnt(16)
	v_add_f64 v[4:5], v[52:53], -v[54:55]
	global_load_dwordx2 v[48:49], v[48:49], off
	v_lshl_add_u64 v[50:51], s[4:5], 0, v[44:45]
	global_load_dwordx2 v[46:47], v[46:47], off
	v_lshl_add_u64 v[44:45], s[6:7], 0, v[44:45]
	v_lshlrev_b64 v[52:53], 3, v[0:1]
	v_add_u32_e32 v0, s2, v0
	s_waitcnt vmcnt(16)
	v_add_f64 v[6:7], v[56:57], -v[58:59]
	global_load_dwordx2 v[50:51], v[50:51], off
	v_lshl_add_u64 v[54:55], s[4:5], 0, v[52:53]
	global_load_dwordx2 v[44:45], v[44:45], off
	v_lshl_add_u64 v[52:53], s[6:7], 0, v[52:53]
	v_lshlrev_b64 v[56:57], 3, v[0:1]
	global_load_dwordx2 v[54:55], v[54:55], off
	v_lshl_add_u64 v[58:59], s[4:5], 0, v[56:57]
	global_load_dwordx2 v[52:53], v[52:53], off
	v_lshl_add_u64 v[56:57], s[6:7], 0, v[56:57]
	global_load_dwordx2 v[58:59], v[58:59], off
	v_add_f64 v[18:19], v[18:19], -v[16:17]
	global_load_dwordx2 v[56:57], v[56:57], off
	v_add_f64 v[18:19], v[18:19], v[12:13]
	v_add_f64 v[18:19], v[18:19], v[2:3]
	;; [unrolled: 1-line block ×3, first 2 shown]
	s_load_dwordx4 s[4:7], s[0:1], 0x98
	s_waitcnt vmcnt(20)
	v_add_f64 v[8:9], v[60:61], -v[62:63]
	v_add_f64 v[18:19], v[18:19], v[6:7]
	s_waitcnt vmcnt(18)
	v_add_f64 v[20:21], v[64:65], -v[66:67]
	v_add_f64 v[18:19], v[18:19], v[8:9]
	v_add_f64 v[18:19], v[18:19], v[20:21]
	v_mul_f64 v[18:19], s[10:11], v[18:19]
	s_waitcnt lgkmcnt(0)
	v_mul_f64 v[18:19], s[4:5], v[18:19]
	global_store_dwordx2 v[22:23], v[18:19], off
	s_mul_i32 s0, s3, 0xffffff48
	v_add_u32_e32 v0, s0, v0
	s_waitcnt vmcnt(17)
	v_add_f64 v[18:19], v[26:27], -v[24:25]
	v_add_f64 v[10:11], v[10:11], v[18:19]
	v_add_f64 v[10:11], v[14:15], v[10:11]
	v_add_f64 v[10:11], v[16:17], v[10:11]
	s_waitcnt vmcnt(15)
	v_add_f64 v[14:15], v[32:33], -v[30:31]
	v_add_f64 v[10:11], v[10:11], -v[14:15]
	s_waitcnt vmcnt(13)
	v_add_f64 v[14:15], v[34:35], -v[28:29]
	v_add_f64 v[10:11], v[10:11], -v[14:15]
	;; [unrolled: 1-line block ×3, first 2 shown]
	s_waitcnt vmcnt(11)
	v_add_f64 v[12:13], v[38:39], -v[36:37]
	v_add_f64 v[10:11], v[10:11], -v[12:13]
	s_waitcnt vmcnt(9)
	v_add_f64 v[12:13], v[42:43], -v[40:41]
	v_add_f64 v[10:11], v[10:11], -v[12:13]
	;; [unrolled: 1-line block ×6, first 2 shown]
	s_waitcnt vmcnt(7)
	v_add_f64 v[4:5], v[48:49], -v[46:47]
	v_add_f64 v[2:3], v[4:5], v[2:3]
	s_waitcnt vmcnt(5)
	v_add_f64 v[4:5], v[50:51], -v[44:45]
	v_add_f64 v[2:3], v[4:5], v[2:3]
	;; [unrolled: 3-line block ×4, first 2 shown]
	v_mul_f64 v[2:3], s[10:11], v[2:3]
	v_mul_f64 v[2:3], s[6:7], v[2:3]
	v_lshl_add_u64 v[4:5], v[0:1], 3, s[8:9]
	v_add_u32_e32 v0, s3, v0
	global_store_dwordx2 v[4:5], v[2:3], off
	v_lshl_add_u64 v[2:3], v[0:1], 3, s[8:9]
	v_mov_b32_e32 v0, v1
	global_store_dwordx2 v[2:3], v[0:1], off
	s_endpgm
	.section	.rodata,"a",@progbits
	.p2align	6, 0x0
	.amdhsa_kernel _Z14rdwdot2_kernelIdEvPKT_S2_PS0_S0_S2_
		.amdhsa_group_segment_fixed_size 0
		.amdhsa_private_segment_fixed_size 0
		.amdhsa_kernarg_size 296
		.amdhsa_user_sgpr_count 2
		.amdhsa_user_sgpr_dispatch_ptr 0
		.amdhsa_user_sgpr_queue_ptr 0
		.amdhsa_user_sgpr_kernarg_segment_ptr 1
		.amdhsa_user_sgpr_dispatch_id 0
		.amdhsa_user_sgpr_kernarg_preload_length 0
		.amdhsa_user_sgpr_kernarg_preload_offset 0
		.amdhsa_user_sgpr_private_segment_size 0
		.amdhsa_uses_dynamic_stack 0
		.amdhsa_enable_private_segment 0
		.amdhsa_system_sgpr_workgroup_id_x 1
		.amdhsa_system_sgpr_workgroup_id_y 0
		.amdhsa_system_sgpr_workgroup_id_z 0
		.amdhsa_system_sgpr_workgroup_info 0
		.amdhsa_system_vgpr_workitem_id 0
		.amdhsa_next_free_vgpr 68
		.amdhsa_next_free_sgpr 15
		.amdhsa_accum_offset 68
		.amdhsa_reserve_vcc 0
		.amdhsa_float_round_mode_32 0
		.amdhsa_float_round_mode_16_64 0
		.amdhsa_float_denorm_mode_32 3
		.amdhsa_float_denorm_mode_16_64 3
		.amdhsa_dx10_clamp 1
		.amdhsa_ieee_mode 1
		.amdhsa_fp16_overflow 0
		.amdhsa_tg_split 0
		.amdhsa_exception_fp_ieee_invalid_op 0
		.amdhsa_exception_fp_denorm_src 0
		.amdhsa_exception_fp_ieee_div_zero 0
		.amdhsa_exception_fp_ieee_overflow 0
		.amdhsa_exception_fp_ieee_underflow 0
		.amdhsa_exception_fp_ieee_inexact 0
		.amdhsa_exception_int_div_zero 0
	.end_amdhsa_kernel
	.section	.text._Z14rdwdot2_kernelIdEvPKT_S2_PS0_S0_S2_,"axG",@progbits,_Z14rdwdot2_kernelIdEvPKT_S2_PS0_S0_S2_,comdat
.Lfunc_end47:
	.size	_Z14rdwdot2_kernelIdEvPKT_S2_PS0_S0_S2_, .Lfunc_end47-_Z14rdwdot2_kernelIdEvPKT_S2_PS0_S0_S2_
                                        ; -- End function
	.set _Z14rdwdot2_kernelIdEvPKT_S2_PS0_S0_S2_.num_vgpr, 68
	.set _Z14rdwdot2_kernelIdEvPKT_S2_PS0_S0_S2_.num_agpr, 0
	.set _Z14rdwdot2_kernelIdEvPKT_S2_PS0_S0_S2_.numbered_sgpr, 15
	.set _Z14rdwdot2_kernelIdEvPKT_S2_PS0_S0_S2_.num_named_barrier, 0
	.set _Z14rdwdot2_kernelIdEvPKT_S2_PS0_S0_S2_.private_seg_size, 0
	.set _Z14rdwdot2_kernelIdEvPKT_S2_PS0_S0_S2_.uses_vcc, 0
	.set _Z14rdwdot2_kernelIdEvPKT_S2_PS0_S0_S2_.uses_flat_scratch, 0
	.set _Z14rdwdot2_kernelIdEvPKT_S2_PS0_S0_S2_.has_dyn_sized_stack, 0
	.set _Z14rdwdot2_kernelIdEvPKT_S2_PS0_S0_S2_.has_recursion, 0
	.set _Z14rdwdot2_kernelIdEvPKT_S2_PS0_S0_S2_.has_indirect_call, 0
	.section	.AMDGPU.csdata,"",@progbits
; Kernel info:
; codeLenInByte = 1836
; TotalNumSgprs: 21
; NumVgprs: 68
; NumAgprs: 0
; TotalNumVgprs: 68
; ScratchSize: 0
; MemoryBound: 0
; FloatMode: 240
; IeeeMode: 1
; LDSByteSize: 0 bytes/workgroup (compile time only)
; SGPRBlocks: 2
; VGPRBlocks: 8
; NumSGPRsForWavesPerEU: 21
; NumVGPRsForWavesPerEU: 68
; AccumOffset: 68
; Occupancy: 7
; WaveLimiterHint : 0
; COMPUTE_PGM_RSRC2:SCRATCH_EN: 0
; COMPUTE_PGM_RSRC2:USER_SGPR: 2
; COMPUTE_PGM_RSRC2:TRAP_HANDLER: 0
; COMPUTE_PGM_RSRC2:TGID_X_EN: 1
; COMPUTE_PGM_RSRC2:TGID_Y_EN: 0
; COMPUTE_PGM_RSRC2:TGID_Z_EN: 0
; COMPUTE_PGM_RSRC2:TIDIG_COMP_CNT: 0
; COMPUTE_PGM_RSRC3_GFX90A:ACCUM_OFFSET: 16
; COMPUTE_PGM_RSRC3_GFX90A:TG_SPLIT: 0
	.section	.text._Z14rdwdot3_kernelIdEvPKT_S2_PS0_S0_S2_,"axG",@progbits,_Z14rdwdot3_kernelIdEvPKT_S2_PS0_S0_S2_,comdat
	.protected	_Z14rdwdot3_kernelIdEvPKT_S2_PS0_S0_S2_ ; -- Begin function _Z14rdwdot3_kernelIdEvPKT_S2_PS0_S0_S2_
	.globl	_Z14rdwdot3_kernelIdEvPKT_S2_PS0_S0_S2_
	.p2align	8
	.type	_Z14rdwdot3_kernelIdEvPKT_S2_PS0_S0_S2_,@function
_Z14rdwdot3_kernelIdEvPKT_S2_PS0_S0_S2_: ; @_Z14rdwdot3_kernelIdEvPKT_S2_PS0_S0_S2_
; %bb.0:
	s_load_dword s3, s[0:1], 0x34
	s_load_dword s22, s[0:1], 0x28
	s_load_dwordx8 s[4:11], s[0:1], 0x0
	v_mov_b32_e32 v1, 0
	s_load_dwordx2 s[20:21], s[0:1], 0x20
	s_waitcnt lgkmcnt(0)
	s_and_b32 s3, s3, 0xffff
	s_mul_i32 s22, s22, s3
	s_mul_i32 s12, s22, 0x71
	;; [unrolled: 1-line block ×3, first 2 shown]
	s_add_i32 s12, s12, s2
	v_add_u32_e32 v0, s12, v0
	s_lshl_b32 s13, s22, 3
	v_lshlrev_b64 v[4:5], 3, v[0:1]
	v_add_u32_e32 v0, s13, v0
	s_mul_i32 s2, s22, 0xffffffa5
	v_lshlrev_b64 v[8:9], 3, v[0:1]
	v_add_u32_e32 v0, s2, v0
	s_mul_i32 s3, s22, 6
	v_lshlrev_b64 v[12:13], 3, v[0:1]
	v_add_u32_e32 v0, s3, v0
	v_lshl_add_u64 v[2:3], s[4:5], 0, v[4:5]
	v_lshl_add_u64 v[4:5], s[6:7], 0, v[4:5]
	;; [unrolled: 1-line block ×4, first 2 shown]
	v_lshlrev_b64 v[16:17], 3, v[0:1]
	global_load_dwordx2 v[2:3], v[2:3], off
	v_lshl_add_u64 v[10:11], s[4:5], 0, v[12:13]
	global_load_dwordx2 v[4:5], v[4:5], off
	v_lshl_add_u64 v[12:13], s[6:7], 0, v[12:13]
	global_load_dwordx2 v[6:7], v[6:7], off
	v_lshl_add_u64 v[14:15], s[4:5], 0, v[16:17]
	global_load_dwordx2 v[8:9], v[8:9], off
	v_lshl_add_u64 v[16:17], s[6:7], 0, v[16:17]
	global_load_dwordx2 v[10:11], v[10:11], off
	s_lshl_b32 s24, s22, 2
	global_load_dwordx2 v[12:13], v[12:13], off
	v_add_u32_e32 v0, s24, v0
	global_load_dwordx2 v[14:15], v[14:15], off
	v_lshlrev_b64 v[18:19], 3, v[0:1]
	global_load_dwordx2 v[16:17], v[16:17], off
	v_lshl_add_u64 v[20:21], s[4:5], 0, v[18:19]
	v_lshl_add_u64 v[18:19], s[6:7], 0, v[18:19]
	global_load_dwordx2 v[22:23], v[20:21], off
	global_load_dwordx2 v[24:25], v[18:19], off
	s_mul_i32 s2, s22, 12
	s_lshl_b32 s23, s22, 1
	v_add_u32_e32 v0, s2, v0
	v_lshlrev_b64 v[18:19], 3, v[0:1]
	v_add_u32_e32 v0, s23, v0
	s_mul_i32 s12, s22, 7
	v_lshl_add_u64 v[26:27], s[4:5], 0, v[18:19]
	v_lshl_add_u64 v[28:29], s[6:7], 0, v[18:19]
	v_lshlrev_b64 v[30:31], 3, v[0:1]
	v_add_u32_e32 v0, s13, v0
	global_load_dwordx2 v[18:19], v[26:27], off
	global_load_dwordx2 v[20:21], v[28:29], off
	v_lshl_add_u64 v[26:27], s[4:5], 0, v[30:31]
	v_lshl_add_u64 v[28:29], s[6:7], 0, v[30:31]
	v_lshlrev_b64 v[30:31], 3, v[0:1]
	v_add_u32_e32 v0, s12, v0
	global_load_dwordx2 v[32:33], v[26:27], off
	global_load_dwordx2 v[34:35], v[28:29], off
	;; [unrolled: 6-line block ×6, first 2 shown]
	v_lshl_add_u64 v[26:27], s[4:5], 0, v[30:31]
	v_lshl_add_u64 v[28:29], s[6:7], 0, v[30:31]
	global_load_dwordx2 v[30:31], v[26:27], off
	global_load_dwordx2 v[52:53], v[28:29], off
	s_mul_i32 s27, s22, 3
	s_mul_i32 s26, s22, 39
	;; [unrolled: 1-line block ×5, first 2 shown]
	s_waitcnt vmcnt(22)
	v_add_f64 v[2:3], v[2:3], -v[4:5]
	s_waitcnt vmcnt(20)
	v_add_f64 v[4:5], v[6:7], -v[8:9]
	v_add_f64 v[2:3], v[2:3], -v[4:5]
	s_waitcnt vmcnt(18)
	v_add_f64 v[4:5], v[10:11], -v[12:13]
	s_waitcnt vmcnt(16)
	v_add_f64 v[6:7], v[14:15], -v[16:17]
	v_add_f64 v[16:17], v[4:5], v[6:7]
	v_lshlrev_b64 v[4:5], 3, v[0:1]
	v_lshl_add_u64 v[6:7], s[4:5], 0, v[4:5]
	v_lshl_add_u64 v[4:5], s[6:7], 0, v[4:5]
	v_add_u32_e32 v0, s22, v0
	global_load_dwordx2 v[26:27], v[4:5], off
	v_lshlrev_b64 v[4:5], 3, v[0:1]
	s_waitcnt vmcnt(15)
	v_add_f64 v[22:23], v[22:23], -v[24:25]
	global_load_dwordx2 v[24:25], v[6:7], off
	v_lshl_add_u64 v[6:7], s[4:5], 0, v[4:5]
	v_lshl_add_u64 v[4:5], s[6:7], 0, v[4:5]
	v_add_u32_e32 v0, s22, v0
	global_load_dwordx2 v[54:55], v[4:5], off
	v_lshlrev_b64 v[4:5], 3, v[0:1]
	v_add_u32_e32 v0, s22, v0
	v_lshlrev_b64 v[8:9], 3, v[0:1]
	v_add_u32_e32 v0, s23, v0
	v_lshlrev_b64 v[14:15], 3, v[0:1]
	v_lshl_add_u64 v[12:13], s[4:5], 0, v[14:15]
	global_load_dwordx2 v[28:29], v[6:7], off
	v_lshl_add_u64 v[10:11], s[6:7], 0, v[8:9]
	global_load_dwordx2 v[12:13], v[12:13], off
	v_lshl_add_u64 v[6:7], s[4:5], 0, v[4:5]
	v_lshl_add_u64 v[4:5], s[6:7], 0, v[4:5]
	global_load_dwordx2 v[56:57], v[6:7], off
	global_load_dwordx2 v[58:59], v[4:5], off
	v_lshl_add_u64 v[4:5], s[4:5], 0, v[8:9]
	global_load_dwordx2 v[6:7], v[4:5], off
	global_load_dwordx2 v[8:9], v[10:11], off
	v_lshl_add_u64 v[14:15], s[6:7], 0, v[14:15]
	global_load_dwordx2 v[14:15], v[14:15], off
	v_add_f64 v[16:17], v[16:17], v[22:23]
	s_waitcnt vmcnt(22)
	v_add_f64 v[18:19], v[18:19], -v[20:21]
	v_add_f64 v[16:17], v[16:17], v[18:19]
	s_waitcnt vmcnt(20)
	v_add_f64 v[18:19], v[32:33], -v[34:35]
	;; [unrolled: 3-line block ×5, first 2 shown]
	v_add_f64 v[16:17], v[16:17], -v[18:19]
	s_waitcnt vmcnt(12)
	v_add_f64 v[18:19], v[48:49], -v[50:51]
	v_add_f64 v[16:17], v[16:17], -v[18:19]
	s_waitcnt vmcnt(10)
	v_add_f64 v[18:19], v[30:31], -v[52:53]
	v_add_f64 v[16:17], v[16:17], -v[18:19]
	v_add_u32_e32 v0, s24, v0
	s_waitcnt vmcnt(8)
	v_add_f64 v[18:19], v[24:25], -v[26:27]
	v_add_f64 v[16:17], v[16:17], -v[18:19]
	s_waitcnt vmcnt(6)
	v_add_f64 v[18:19], v[28:29], -v[54:55]
	v_add_f64 v[16:17], v[16:17], -v[18:19]
	;; [unrolled: 3-line block ×3, first 2 shown]
	global_load_dwordx2 v[16:17], v[4:5], off
	global_load_dwordx2 v[20:21], v[10:11], off
	s_waitcnt vmcnt(3)
	v_add_f64 v[4:5], v[6:7], -v[8:9]
	v_add_f64 v[4:5], v[18:19], -v[4:5]
	s_waitcnt vmcnt(2)
	v_add_f64 v[6:7], v[12:13], -v[14:15]
	v_add_f64 v[4:5], v[4:5], v[6:7]
	v_lshlrev_b64 v[6:7], 3, v[0:1]
	v_lshl_add_u64 v[8:9], s[4:5], 0, v[6:7]
	v_lshl_add_u64 v[6:7], s[6:7], 0, v[6:7]
	v_add_u32_e32 v0, s12, v0
	global_load_dwordx2 v[8:9], v[8:9], off
	v_lshlrev_b64 v[10:11], 3, v[0:1]
	global_load_dwordx2 v[6:7], v[6:7], off
	v_add_u32_e32 v0, s3, v0
	v_lshl_add_u64 v[12:13], s[4:5], 0, v[10:11]
	v_lshl_add_u64 v[10:11], s[6:7], 0, v[10:11]
	v_lshlrev_b64 v[14:15], 3, v[0:1]
	v_add_u32_e32 v0, s27, v0
	global_load_dwordx2 v[12:13], v[12:13], off
	v_lshl_add_u64 v[18:19], s[4:5], 0, v[14:15]
	global_load_dwordx2 v[10:11], v[10:11], off
	v_lshl_add_u64 v[14:15], s[6:7], 0, v[14:15]
	v_lshlrev_b64 v[22:23], 3, v[0:1]
	v_add_u32_e32 v0, s22, v0
	global_load_dwordx2 v[18:19], v[18:19], off
	v_lshl_add_u64 v[24:25], s[4:5], 0, v[22:23]
	global_load_dwordx2 v[14:15], v[14:15], off
	;; [unrolled: 6-line block ×4, first 2 shown]
	v_lshl_add_u64 v[30:31], s[6:7], 0, v[30:31]
	v_mad_u64_u32 v[38:39], s[12:13], s22, 14, v[0:1]
	global_load_dwordx2 v[32:33], v[32:33], off
	v_lshlrev_b64 v[34:35], 3, v[0:1]
	global_load_dwordx2 v[30:31], v[30:31], off
	v_mov_b32_e32 v39, v1
	v_lshl_add_u64 v[36:37], s[4:5], 0, v[34:35]
	v_lshl_add_u64 v[34:35], s[6:7], 0, v[34:35]
	v_lshlrev_b64 v[40:41], 3, v[38:39]
	v_add_u32_e32 v0, s3, v38
	global_load_dwordx2 v[36:37], v[36:37], off
	v_lshl_add_u64 v[42:43], s[4:5], 0, v[40:41]
	global_load_dwordx2 v[34:35], v[34:35], off
	v_lshl_add_u64 v[40:41], s[6:7], 0, v[40:41]
	v_lshlrev_b64 v[38:39], 3, v[0:1]
	v_add_u32_e32 v0, s2, v0
	global_load_dwordx2 v[42:43], v[42:43], off
	v_lshl_add_u64 v[44:45], s[4:5], 0, v[38:39]
	global_load_dwordx2 v[40:41], v[40:41], off
	;; [unrolled: 6-line block ×3, first 2 shown]
	v_lshl_add_u64 v[46:47], s[6:7], 0, v[46:47]
	v_lshlrev_b64 v[50:51], 3, v[0:1]
	global_load_dwordx2 v[48:49], v[48:49], off
	v_lshl_add_u64 v[52:53], s[4:5], 0, v[50:51]
	global_load_dwordx2 v[46:47], v[46:47], off
	v_lshl_add_u64 v[50:51], s[6:7], 0, v[50:51]
	global_load_dwordx2 v[52:53], v[52:53], off
	v_mad_u64_u32 v[54:55], s[12:13], s22, 11, v[0:1]
	global_load_dwordx2 v[50:51], v[50:51], off
	v_mov_b32_e32 v55, v1
	v_lshlrev_b64 v[56:57], 3, v[54:55]
	v_lshl_add_u64 v[58:59], s[4:5], 0, v[56:57]
	v_lshl_add_u64 v[56:57], s[6:7], 0, v[56:57]
	global_load_dwordx2 v[58:59], v[58:59], off
	s_waitcnt vmcnt(21)
	v_add_f64 v[6:7], v[8:9], -v[6:7]
	global_load_dwordx2 v[56:57], v[56:57], off
	v_mad_u64_u32 v[8:9], s[12:13], s22, 13, v[54:55]
	v_mov_b32_e32 v9, v1
	v_add_f64 v[4:5], v[4:5], v[6:7]
	v_add_u32_e32 v0, s27, v8
	s_mul_i32 s12, s22, 0xffffff41
	s_waitcnt vmcnt(20)
	v_add_f64 v[6:7], v[12:13], -v[10:11]
	v_lshlrev_b64 v[10:11], 3, v[8:9]
	v_add_f64 v[4:5], v[4:5], -v[6:7]
	v_lshl_add_u64 v[12:13], s[4:5], 0, v[10:11]
	v_lshl_add_u64 v[10:11], s[6:7], 0, v[10:11]
	v_lshlrev_b64 v[8:9], 3, v[0:1]
	s_waitcnt vmcnt(18)
	v_add_f64 v[6:7], v[18:19], -v[14:15]
	v_add_u32_e32 v0, s12, v0
	v_add_f64 v[4:5], v[4:5], v[6:7]
	global_load_dwordx2 v[12:13], v[12:13], off
	v_lshl_add_u64 v[14:15], s[4:5], 0, v[8:9]
	global_load_dwordx2 v[10:11], v[10:11], off
	s_waitcnt vmcnt(18)
	v_add_f64 v[6:7], v[24:25], -v[22:23]
	v_lshl_add_u64 v[8:9], s[6:7], 0, v[8:9]
	v_mad_u64_u32 v[22:23], s[12:13], s22, 44, v[0:1]
	v_add_f64 v[4:5], v[4:5], v[6:7]
	global_load_dwordx2 v[14:15], v[14:15], off
	s_waitcnt vmcnt(17)
	v_add_f64 v[6:7], v[28:29], -v[26:27]
	global_load_dwordx2 v[8:9], v[8:9], off
	v_lshl_add_u64 v[18:19], v[0:1], 3, s[8:9]
	v_add_u32_e32 v0, s22, v22
	v_add_f64 v[4:5], v[4:5], v[6:7]
	v_mov_b32_e32 v23, v1
	s_waitcnt vmcnt(16)
	v_add_f64 v[6:7], v[32:33], -v[30:31]
	v_mad_u64_u32 v[32:33], s[12:13], s22, 53, v[0:1]
	v_lshlrev_b64 v[24:25], 3, v[22:23]
	v_lshlrev_b64 v[22:23], 3, v[0:1]
	v_mov_b32_e32 v33, v1
	v_add_f64 v[4:5], v[4:5], v[6:7]
	v_lshl_add_u64 v[28:29], s[4:5], 0, v[24:25]
	s_waitcnt vmcnt(14)
	v_add_f64 v[6:7], v[36:37], -v[34:35]
	v_lshl_add_u64 v[24:25], s[6:7], 0, v[24:25]
	v_lshl_add_u64 v[30:31], s[4:5], 0, v[22:23]
	v_lshl_add_u64 v[22:23], s[6:7], 0, v[22:23]
	v_lshlrev_b64 v[34:35], 3, v[32:33]
	v_add_u32_e32 v0, s23, v32
	v_add_f64 v[4:5], v[4:5], v[6:7]
	s_waitcnt vmcnt(12)
	v_add_f64 v[6:7], v[42:43], -v[40:41]
	global_load_dwordx2 v[28:29], v[28:29], off
	v_lshl_add_u64 v[36:37], s[4:5], 0, v[34:35]
	global_load_dwordx2 v[24:25], v[24:25], off
	v_lshl_add_u64 v[34:35], s[6:7], 0, v[34:35]
	global_load_dwordx2 v[30:31], v[30:31], off
	v_lshlrev_b64 v[32:33], 3, v[0:1]
	global_load_dwordx2 v[22:23], v[22:23], off
	v_add_f64 v[4:5], v[4:5], v[6:7]
	s_waitcnt vmcnt(14)
	v_add_f64 v[26:27], v[44:45], -v[38:39]
	global_load_dwordx2 v[38:39], v[36:37], off
	global_load_dwordx2 v[40:41], v[34:35], off
	v_lshl_add_u64 v[42:43], s[4:5], 0, v[32:33]
	v_lshl_add_u64 v[32:33], s[6:7], 0, v[32:33]
	v_add_u32_e32 v0, s23, v0
	v_add_f64 v[4:5], v[4:5], v[26:27]
	s_waitcnt vmcnt(14)
	v_add_f64 v[6:7], v[48:49], -v[46:47]
	global_load_dwordx2 v[44:45], v[42:43], off
	global_load_dwordx2 v[46:47], v[32:33], off
	v_lshlrev_b64 v[48:49], 3, v[0:1]
	v_add_f64 v[4:5], v[4:5], v[6:7]
	s_waitcnt vmcnt(14)
	v_add_f64 v[6:7], v[52:53], -v[50:51]
	v_lshl_add_u64 v[50:51], s[4:5], 0, v[48:49]
	v_lshl_add_u64 v[48:49], s[6:7], 0, v[48:49]
	global_load_dwordx2 v[50:51], v[50:51], off
	v_add_u32_e32 v0, s22, v0
	global_load_dwordx2 v[48:49], v[48:49], off
	v_lshlrev_b64 v[52:53], 3, v[0:1]
	v_lshl_add_u64 v[54:55], s[4:5], 0, v[52:53]
	v_lshl_add_u64 v[52:53], s[6:7], 0, v[52:53]
	v_add_f64 v[4:5], v[4:5], v[6:7]
	s_load_dwordx8 s[12:19], s[20:21], 0x60
	v_add_u32_e32 v0, s22, v0
	s_waitcnt vmcnt(14)
	v_add_f64 v[6:7], v[58:59], -v[56:57]
	global_load_dwordx2 v[56:57], v[54:55], off
	global_load_dwordx2 v[58:59], v[52:53], off
	v_add_f64 v[4:5], v[4:5], v[6:7]
	s_waitcnt vmcnt(14)
	v_add_f64 v[6:7], v[12:13], -v[10:11]
	v_add_f64 v[4:5], v[4:5], v[6:7]
	s_waitcnt vmcnt(12)
	v_add_f64 v[6:7], v[14:15], -v[8:9]
	v_add_f64 v[4:5], v[4:5], v[6:7]
	v_mul_f64 v[4:5], s[10:11], v[4:5]
	s_waitcnt lgkmcnt(0)
	v_mul_f64 v[4:5], s[12:13], v[4:5]
	global_store_dwordx2 v[18:19], v[4:5], off
	s_waitcnt vmcnt(11)
	v_add_f64 v[4:5], v[28:29], -v[24:25]
	s_waitcnt vmcnt(9)
	v_add_f64 v[6:7], v[30:31], -v[22:23]
	v_add_f64 v[8:9], v[4:5], v[6:7]
	v_lshlrev_b64 v[22:23], 3, v[0:1]
	v_add_u32_e32 v0, s22, v0
	s_waitcnt vmcnt(7)
	v_add_f64 v[10:11], v[38:39], -v[40:41]
	v_add_f64 v[12:13], v[8:9], v[10:11]
	v_lshl_add_u64 v[24:25], s[4:5], 0, v[22:23]
	v_lshl_add_u64 v[22:23], s[6:7], 0, v[22:23]
	v_lshlrev_b64 v[28:29], 3, v[0:1]
	v_add_u32_e32 v0, s22, v0
	global_load_dwordx2 v[4:5], v[36:37], off
	global_load_dwordx2 v[6:7], v[34:35], off
	s_waitcnt vmcnt(7)
	v_add_f64 v[14:15], v[44:45], -v[46:47]
	v_add_f64 v[12:13], v[12:13], v[14:15]
	v_add_f64 v[2:3], v[12:13], -v[2:3]
	global_load_dwordx2 v[8:9], v[42:43], off
	global_load_dwordx2 v[10:11], v[32:33], off
	v_lshl_add_u64 v[30:31], s[4:5], 0, v[28:29]
	v_lshl_add_u64 v[28:29], s[6:7], 0, v[28:29]
	v_lshlrev_b64 v[36:37], 3, v[0:1]
	v_add_u32_e32 v0, s22, v0
	s_waitcnt vmcnt(7)
	v_add_f64 v[12:13], v[50:51], -v[48:49]
	v_add_f64 v[14:15], v[2:3], v[12:13]
	global_load_dwordx2 v[2:3], v[54:55], off
	global_load_dwordx2 v[12:13], v[52:53], off
	;; [unrolled: 1-line block ×4, first 2 shown]
	v_lshl_add_u64 v[38:39], s[4:5], 0, v[36:37]
	global_load_dwordx2 v[24:25], v[24:25], off
	v_lshl_add_u64 v[36:37], s[6:7], 0, v[36:37]
	global_load_dwordx2 v[22:23], v[22:23], off
	v_lshlrev_b64 v[40:41], 3, v[0:1]
	v_add_u32_e32 v0, s22, v0
	global_load_dwordx2 v[38:39], v[38:39], off
	v_lshl_add_u64 v[42:43], s[4:5], 0, v[40:41]
	global_load_dwordx2 v[36:37], v[36:37], off
	v_lshl_add_u64 v[40:41], s[6:7], 0, v[40:41]
	v_lshlrev_b64 v[44:45], 3, v[0:1]
	v_add_u32_e32 v0, s2, v0
	global_load_dwordx2 v[42:43], v[42:43], off
	v_lshl_add_u64 v[46:47], s[4:5], 0, v[44:45]
	global_load_dwordx2 v[40:41], v[40:41], off
	v_lshl_add_u64 v[44:45], s[6:7], 0, v[44:45]
	;; [unrolled: 6-line block ×3, first 2 shown]
	v_lshlrev_b64 v[52:53], 3, v[0:1]
	v_add_u32_e32 v0, s22, v0
	s_waitcnt vmcnt(17)
	v_add_f64 v[18:19], v[56:57], -v[58:59]
	global_load_dwordx2 v[50:51], v[50:51], off
	v_lshl_add_u64 v[54:55], s[4:5], 0, v[52:53]
	global_load_dwordx2 v[48:49], v[48:49], off
	v_lshl_add_u64 v[52:53], s[6:7], 0, v[52:53]
	v_lshlrev_b64 v[56:57], 3, v[0:1]
	global_load_dwordx2 v[54:55], v[54:55], off
	v_lshl_add_u64 v[58:59], s[4:5], 0, v[56:57]
	global_load_dwordx2 v[52:53], v[52:53], off
	v_lshl_add_u64 v[56:57], s[6:7], 0, v[56:57]
	global_load_dwordx2 v[58:59], v[58:59], off
	v_add_f64 v[14:15], v[14:15], -v[18:19]
	global_load_dwordx2 v[56:57], v[56:57], off
	v_add_u32_e32 v0, s3, v0
	s_waitcnt vmcnt(20)
	v_add_f64 v[4:5], v[4:5], -v[6:7]
	s_waitcnt vmcnt(16)
	v_add_f64 v[2:3], v[2:3], -v[12:13]
	;; [unrolled: 2-line block ×3, first 2 shown]
	v_add_f64 v[22:23], v[14:15], -v[18:19]
	v_add_f64 v[24:25], v[32:33], -v[34:35]
	;; [unrolled: 1-line block ×3, first 2 shown]
	global_load_dwordx2 v[14:15], v[30:31], off
	global_load_dwordx2 v[18:19], v[28:29], off
	s_waitcnt vmcnt(12)
	v_add_f64 v[24:25], v[38:39], -v[36:37]
	v_add_f64 v[22:23], v[22:23], -v[24:25]
	s_waitcnt vmcnt(10)
	v_add_f64 v[24:25], v[42:43], -v[40:41]
	v_add_f64 v[22:23], v[22:23], -v[24:25]
	;; [unrolled: 3-line block ×3, first 2 shown]
	s_waitcnt vmcnt(6)
	v_add_f64 v[24:25], v[50:51], -v[48:49]
	v_add_f64 v[22:23], v[22:23], v[24:25]
	s_waitcnt vmcnt(4)
	v_add_f64 v[24:25], v[54:55], -v[52:53]
	v_add_f64 v[22:23], v[22:23], v[24:25]
	;; [unrolled: 3-line block ×3, first 2 shown]
	v_lshlrev_b64 v[24:25], 3, v[0:1]
	v_lshl_add_u64 v[28:29], s[4:5], 0, v[24:25]
	v_lshl_add_u64 v[24:25], s[6:7], 0, v[24:25]
	v_add_u32_e32 v0, s0, v0
	s_mul_i32 s0, s22, 0x4d
	global_load_dwordx2 v[28:29], v[28:29], off
	v_lshl_add_u64 v[30:31], v[0:1], 3, s[8:9]
	global_load_dwordx2 v[24:25], v[24:25], off
	v_add_u32_e32 v0, s0, v0
	v_lshlrev_b64 v[32:33], 3, v[0:1]
	v_add_u32_e32 v0, s22, v0
	v_lshlrev_b64 v[36:37], 3, v[0:1]
	v_add_u32_e32 v0, s27, v0
	v_lshl_add_u64 v[34:35], s[4:5], 0, v[32:33]
	v_lshl_add_u64 v[32:33], s[6:7], 0, v[32:33]
	v_lshlrev_b64 v[40:41], 3, v[0:1]
	v_add_u32_e32 v0, s1, v0
	global_load_dwordx2 v[34:35], v[34:35], off
	v_lshl_add_u64 v[38:39], s[4:5], 0, v[36:37]
	global_load_dwordx2 v[32:33], v[32:33], off
	v_lshl_add_u64 v[36:37], s[6:7], 0, v[36:37]
	v_mad_u64_u32 v[52:53], s[12:13], s22, 27, v[0:1]
	global_load_dwordx2 v[38:39], v[38:39], off
	v_lshl_add_u64 v[42:43], s[4:5], 0, v[40:41]
	global_load_dwordx2 v[36:37], v[36:37], off
	v_lshl_add_u64 v[40:41], s[6:7], 0, v[40:41]
	v_lshlrev_b64 v[48:49], 3, v[0:1]
	v_mov_b32_e32 v53, v1
	global_load_dwordx2 v[44:45], v[42:43], off
	global_load_dwordx2 v[46:47], v[40:41], off
	v_lshl_add_u64 v[50:51], s[4:5], 0, v[48:49]
	v_lshl_add_u64 v[48:49], s[6:7], 0, v[48:49]
	v_lshlrev_b64 v[54:55], 3, v[52:53]
	v_add_u32_e32 v0, s1, v52
	global_load_dwordx2 v[50:51], v[50:51], off
	v_lshl_add_u64 v[56:57], s[4:5], 0, v[54:55]
	global_load_dwordx2 v[48:49], v[48:49], off
	v_lshl_add_u64 v[54:55], s[6:7], 0, v[54:55]
	v_lshlrev_b64 v[52:53], 3, v[0:1]
	global_load_dwordx2 v[56:57], v[56:57], off
	v_lshl_add_u64 v[58:59], s[4:5], 0, v[52:53]
	global_load_dwordx2 v[54:55], v[54:55], off
	v_lshl_add_u64 v[52:53], s[6:7], 0, v[52:53]
	global_load_dwordx2 v[58:59], v[58:59], off
	v_add_u32_e32 v0, s22, v0
	global_load_dwordx2 v[52:53], v[52:53], off
	s_mul_i32 s1, s22, 0xffffff50
	s_waitcnt vmcnt(12)
	v_add_f64 v[24:25], v[28:29], -v[24:25]
	v_add_f64 v[22:23], v[22:23], v[24:25]
	v_mul_f64 v[22:23], s[10:11], v[22:23]
	v_mul_f64 v[22:23], s[14:15], v[22:23]
	global_store_dwordx2 v[30:31], v[22:23], off
	s_mul_i32 s14, s22, 15
	s_waitcnt vmcnt(11)
	v_add_f64 v[22:23], v[34:35], -v[32:33]
	v_lshlrev_b64 v[32:33], 3, v[0:1]
	v_add_u32_e32 v0, s2, v0
	v_lshl_add_u64 v[34:35], s[4:5], 0, v[32:33]
	v_lshl_add_u64 v[32:33], s[6:7], 0, v[32:33]
	s_waitcnt vmcnt(9)
	v_add_f64 v[24:25], v[38:39], -v[36:37]
	v_lshlrev_b64 v[36:37], 3, v[0:1]
	v_add_u32_e32 v0, s22, v0
	v_add_f64 v[28:29], v[22:23], v[24:25]
	global_load_dwordx2 v[22:23], v[42:43], off
	global_load_dwordx2 v[24:25], v[40:41], off
	s_waitcnt vmcnt(9)
	v_add_f64 v[30:31], v[44:45], -v[46:47]
	global_load_dwordx2 v[34:35], v[34:35], off
	v_lshl_add_u64 v[38:39], s[4:5], 0, v[36:37]
	global_load_dwordx2 v[32:33], v[32:33], off
	v_lshl_add_u64 v[36:37], s[6:7], 0, v[36:37]
	v_lshlrev_b64 v[40:41], 3, v[0:1]
	v_add_u32_e32 v0, s22, v0
	v_add_f64 v[28:29], v[28:29], v[30:31]
	s_waitcnt vmcnt(9)
	v_add_f64 v[30:31], v[50:51], -v[48:49]
	global_load_dwordx2 v[38:39], v[38:39], off
	v_lshl_add_u64 v[42:43], s[4:5], 0, v[40:41]
	global_load_dwordx2 v[36:37], v[36:37], off
	v_lshl_add_u64 v[40:41], s[6:7], 0, v[40:41]
	v_lshlrev_b64 v[44:45], 3, v[0:1]
	v_add_u32_e32 v0, s22, v0
	v_add_f64 v[28:29], v[28:29], v[30:31]
	;; [unrolled: 9-line block ×3, first 2 shown]
	s_waitcnt vmcnt(9)
	v_add_f64 v[30:31], v[58:59], -v[52:53]
	global_load_dwordx2 v[46:47], v[46:47], off
	v_lshl_add_u64 v[50:51], s[4:5], 0, v[48:49]
	global_load_dwordx2 v[44:45], v[44:45], off
	v_lshl_add_u64 v[48:49], s[6:7], 0, v[48:49]
	v_lshlrev_b64 v[52:53], 3, v[0:1]
	global_load_dwordx2 v[50:51], v[50:51], off
	v_lshl_add_u64 v[54:55], s[4:5], 0, v[52:53]
	global_load_dwordx2 v[48:49], v[48:49], off
	v_lshl_add_u64 v[52:53], s[6:7], 0, v[52:53]
	v_add_u32_e32 v0, s23, v0
	global_load_dwordx2 v[54:55], v[54:55], off
	v_lshlrev_b64 v[56:57], 3, v[0:1]
	global_load_dwordx2 v[52:53], v[52:53], off
	v_lshl_add_u64 v[58:59], s[4:5], 0, v[56:57]
	v_lshl_add_u64 v[56:57], s[6:7], 0, v[56:57]
	global_load_dwordx2 v[58:59], v[58:59], off
	v_add_f64 v[28:29], v[28:29], v[30:31]
	global_load_dwordx2 v[56:57], v[56:57], off
	v_add_u32_e32 v0, s22, v0
	s_waitcnt vmcnt(14)
	v_add_f64 v[22:23], v[22:23], -v[24:25]
	s_waitcnt vmcnt(12)
	v_add_f64 v[30:31], v[34:35], -v[32:33]
	v_add_f64 v[28:29], v[28:29], v[30:31]
	s_waitcnt vmcnt(10)
	v_add_f64 v[30:31], v[38:39], -v[36:37]
	v_add_f64 v[28:29], v[28:29], -v[30:31]
	s_waitcnt vmcnt(8)
	v_add_f64 v[30:31], v[42:43], -v[40:41]
	v_add_f64 v[28:29], v[28:29], -v[30:31]
	;; [unrolled: 3-line block ×5, first 2 shown]
	v_add_f64 v[26:27], v[28:29], -v[26:27]
	s_waitcnt vmcnt(0)
	v_add_f64 v[28:29], v[58:59], -v[56:57]
	v_add_f64 v[26:27], v[26:27], -v[28:29]
	v_lshlrev_b64 v[28:29], 3, v[0:1]
	v_add_u32_e32 v0, s22, v0
	v_lshlrev_b64 v[34:35], 3, v[0:1]
	v_add_u32_e32 v0, s22, v0
	;; [unrolled: 2-line block ×4, first 2 shown]
	v_lshlrev_b64 v[48:49], 3, v[0:1]
	v_lshl_add_u64 v[30:31], s[4:5], 0, v[28:29]
	v_lshl_add_u64 v[28:29], s[6:7], 0, v[28:29]
	;; [unrolled: 1-line block ×5, first 2 shown]
	global_load_dwordx2 v[58:59], v[30:31], off
	v_lshl_add_u64 v[36:37], s[6:7], 0, v[34:35]
	global_load_dwordx2 v[28:29], v[28:29], off
	v_lshl_add_u64 v[40:41], s[6:7], 0, v[40:41]
	;; [unrolled: 2-line block ×3, first 2 shown]
	global_load_dwordx2 v[42:43], v[42:43], off
	v_add_u32_e32 v0, s22, v0
	global_load_dwordx2 v[46:47], v[46:47], off
	v_lshl_add_u64 v[30:31], s[4:5], 0, v[34:35]
	global_load_dwordx2 v[32:33], v[30:31], off
	global_load_dwordx2 v[34:35], v[36:37], off
	v_lshl_add_u64 v[48:49], s[6:7], 0, v[48:49]
	global_load_dwordx2 v[40:41], v[40:41], off
	v_lshlrev_b64 v[52:53], 3, v[0:1]
	global_load_dwordx2 v[44:45], v[44:45], off
	v_lshl_add_u64 v[50:51], s[4:5], 0, v[52:53]
	global_load_dwordx2 v[48:49], v[48:49], off
	v_lshl_add_u64 v[52:53], s[6:7], 0, v[52:53]
	global_load_dwordx2 v[50:51], v[50:51], off
	v_add_u32_e32 v0, s22, v0
	global_load_dwordx2 v[52:53], v[52:53], off
	v_lshlrev_b64 v[56:57], 3, v[0:1]
	v_lshl_add_u64 v[54:55], s[4:5], 0, v[56:57]
	v_lshl_add_u64 v[56:57], s[6:7], 0, v[56:57]
	global_load_dwordx2 v[54:55], v[54:55], off
	v_add_u32_e32 v0, s22, v0
	global_load_dwordx2 v[56:57], v[56:57], off
	s_waitcnt vmcnt(12)
	v_add_f64 v[28:29], v[58:59], -v[28:29]
	v_add_f64 v[58:59], v[26:27], -v[28:29]
	global_load_dwordx2 v[26:27], v[30:31], off
	global_load_dwordx2 v[28:29], v[36:37], off
	s_waitcnt vmcnt(9)
	v_add_f64 v[30:31], v[32:33], -v[34:35]
	v_lshlrev_b64 v[34:35], 3, v[0:1]
	v_add_u32_e32 v0, s23, v0
	v_add_f64 v[30:31], v[58:59], -v[30:31]
	s_waitcnt vmcnt(8)
	v_add_f64 v[32:33], v[38:39], -v[40:41]
	v_lshl_add_u64 v[36:37], s[4:5], 0, v[34:35]
	v_lshl_add_u64 v[34:35], s[6:7], 0, v[34:35]
	v_lshlrev_b64 v[38:39], 3, v[0:1]
	v_add_u32_e32 v0, s27, v0
	v_add_f64 v[30:31], v[30:31], -v[32:33]
	s_waitcnt vmcnt(7)
	v_add_f64 v[32:33], v[42:43], -v[44:45]
	global_load_dwordx2 v[36:37], v[36:37], off
	v_lshl_add_u64 v[40:41], s[4:5], 0, v[38:39]
	global_load_dwordx2 v[34:35], v[34:35], off
	v_lshl_add_u64 v[38:39], s[6:7], 0, v[38:39]
	v_lshlrev_b64 v[42:43], 3, v[0:1]
	v_add_u32_e32 v0, s23, v0
	v_add_f64 v[30:31], v[30:31], -v[32:33]
	s_waitcnt vmcnt(8)
	v_add_f64 v[32:33], v[46:47], -v[48:49]
	global_load_dwordx2 v[40:41], v[40:41], off
	v_lshl_add_u64 v[44:45], s[4:5], 0, v[42:43]
	global_load_dwordx2 v[38:39], v[38:39], off
	;; [unrolled: 9-line block ×3, first 2 shown]
	v_lshl_add_u64 v[46:47], s[6:7], 0, v[46:47]
	v_lshlrev_b64 v[50:51], 3, v[0:1]
	global_load_dwordx2 v[48:49], v[48:49], off
	v_lshl_add_u64 v[52:53], s[4:5], 0, v[50:51]
	global_load_dwordx2 v[46:47], v[46:47], off
	v_lshl_add_u64 v[50:51], s[6:7], 0, v[50:51]
	global_load_dwordx2 v[52:53], v[52:53], off
	v_add_u32_e32 v0, s1, v0
	global_load_dwordx2 v[50:51], v[50:51], off
	s_mul_i32 s1, s22, 0x4e
	v_add_f64 v[30:31], v[30:31], -v[32:33]
	s_waitcnt vmcnt(12)
	v_add_f64 v[32:33], v[54:55], -v[56:57]
	v_lshl_add_u64 v[54:55], v[0:1], 3, s[8:9]
	v_add_u32_e32 v0, s1, v0
	v_lshlrev_b64 v[56:57], 3, v[0:1]
	v_lshl_add_u64 v[58:59], s[4:5], 0, v[56:57]
	v_lshl_add_u64 v[56:57], s[6:7], 0, v[56:57]
	global_load_dwordx2 v[58:59], v[58:59], off
	v_add_f64 v[30:31], v[30:31], -v[32:33]
	global_load_dwordx2 v[56:57], v[56:57], off
	v_add_u32_e32 v0, s0, v0
	s_mul_i32 s0, s22, 0xffffff58
	s_waitcnt vmcnt(10)
	v_add_f64 v[32:33], v[36:37], -v[34:35]
	v_add_f64 v[30:31], v[30:31], -v[32:33]
	s_waitcnt vmcnt(8)
	v_add_f64 v[32:33], v[40:41], -v[38:39]
	v_add_f64 v[30:31], v[30:31], v[32:33]
	s_waitcnt vmcnt(6)
	v_add_f64 v[32:33], v[44:45], -v[42:43]
	v_add_f64 v[30:31], v[30:31], v[32:33]
	;; [unrolled: 3-line block ×4, first 2 shown]
	v_lshlrev_b64 v[32:33], 3, v[0:1]
	v_add_u32_e32 v0, s25, v0
	v_lshl_add_u64 v[34:35], s[4:5], 0, v[32:33]
	v_lshl_add_u64 v[32:33], s[6:7], 0, v[32:33]
	v_lshlrev_b64 v[36:37], 3, v[0:1]
	v_add_u32_e32 v0, s27, v0
	global_load_dwordx2 v[34:35], v[34:35], off
	v_lshl_add_u64 v[38:39], s[4:5], 0, v[36:37]
	global_load_dwordx2 v[32:33], v[32:33], off
	v_lshl_add_u64 v[36:37], s[6:7], 0, v[36:37]
	v_lshlrev_b64 v[40:41], 3, v[0:1]
	v_add_u32_e32 v0, s22, v0
	global_load_dwordx2 v[38:39], v[38:39], off
	v_lshl_add_u64 v[42:43], s[4:5], 0, v[40:41]
	global_load_dwordx2 v[36:37], v[36:37], off
	v_lshl_add_u64 v[40:41], s[6:7], 0, v[40:41]
	v_lshlrev_b64 v[44:45], 3, v[0:1]
	global_load_dwordx2 v[42:43], v[42:43], off
	v_lshl_add_u64 v[46:47], s[4:5], 0, v[44:45]
	global_load_dwordx2 v[40:41], v[40:41], off
	v_lshl_add_u64 v[44:45], s[6:7], 0, v[44:45]
	global_load_dwordx2 v[46:47], v[46:47], off
	v_add_u32_e32 v0, s22, v0
	global_load_dwordx2 v[44:45], v[44:45], off
	v_lshlrev_b64 v[48:49], 3, v[0:1]
	v_lshl_add_u64 v[50:51], s[4:5], 0, v[48:49]
	v_lshl_add_u64 v[48:49], s[6:7], 0, v[48:49]
	global_load_dwordx2 v[50:51], v[50:51], off
	v_mul_f64 v[30:31], s[10:11], v[30:31]
	global_load_dwordx2 v[48:49], v[48:49], off
	v_add_u32_e32 v0, s22, v0
	v_mul_f64 v[30:31], s[16:17], v[30:31]
	v_lshlrev_b64 v[52:53], 3, v[0:1]
	v_add_u32_e32 v0, s22, v0
	global_store_dwordx2 v[54:55], v[30:31], off
	s_waitcnt vmcnt(11)
	v_add_f64 v[30:31], v[58:59], -v[56:57]
	v_lshl_add_u64 v[54:55], s[4:5], 0, v[52:53]
	v_lshl_add_u64 v[52:53], s[6:7], 0, v[52:53]
	v_lshlrev_b64 v[56:57], 3, v[0:1]
	global_load_dwordx2 v[54:55], v[54:55], off
	v_lshl_add_u64 v[58:59], s[4:5], 0, v[56:57]
	global_load_dwordx2 v[52:53], v[52:53], off
	v_lshl_add_u64 v[56:57], s[6:7], 0, v[56:57]
	global_load_dwordx2 v[58:59], v[58:59], off
	v_add_u32_e32 v0, s22, v0
	global_load_dwordx2 v[56:57], v[56:57], off
	s_waitcnt vmcnt(13)
	v_add_f64 v[32:33], v[34:35], -v[32:33]
	v_lshlrev_b64 v[34:35], 3, v[0:1]
	v_add_u32_e32 v0, s22, v0
	v_add_f64 v[30:31], v[30:31], v[32:33]
	s_waitcnt vmcnt(11)
	v_add_f64 v[32:33], v[38:39], -v[36:37]
	v_lshl_add_u64 v[36:37], s[4:5], 0, v[34:35]
	v_lshl_add_u64 v[34:35], s[6:7], 0, v[34:35]
	v_lshlrev_b64 v[38:39], 3, v[0:1]
	v_add_f64 v[30:31], v[30:31], v[32:33]
	s_waitcnt vmcnt(9)
	v_add_f64 v[32:33], v[42:43], -v[40:41]
	global_load_dwordx2 v[36:37], v[36:37], off
	v_lshl_add_u64 v[40:41], s[4:5], 0, v[38:39]
	global_load_dwordx2 v[34:35], v[34:35], off
	v_lshl_add_u64 v[38:39], s[6:7], 0, v[38:39]
	v_add_u32_e32 v0, s0, v0
	v_add_f64 v[30:31], v[30:31], v[32:33]
	s_waitcnt vmcnt(9)
	v_add_f64 v[32:33], v[46:47], -v[44:45]
	global_load_dwordx2 v[40:41], v[40:41], off
	v_mad_u64_u32 v[44:45], s[0:1], s22, 23, v[0:1]
	global_load_dwordx2 v[38:39], v[38:39], off
	v_mov_b32_e32 v45, v1
	v_lshlrev_b64 v[46:47], 3, v[44:45]
	v_add_f64 v[30:31], v[30:31], v[32:33]
	s_waitcnt vmcnt(9)
	v_add_f64 v[32:33], v[50:51], -v[48:49]
	v_lshl_add_u64 v[48:49], s[4:5], 0, v[46:47]
	v_lshl_add_u64 v[46:47], s[6:7], 0, v[46:47]
	global_load_dwordx2 v[48:49], v[48:49], off
	s_mul_i32 s0, s22, 0x45
	global_load_dwordx2 v[46:47], v[46:47], off
	v_lshl_add_u64 v[42:43], v[0:1], 3, s[8:9]
	v_add_u32_e32 v0, s0, v44
	v_lshlrev_b64 v[44:45], 3, v[0:1]
	v_lshl_add_u64 v[50:51], s[4:5], 0, v[44:45]
	v_lshl_add_u64 v[44:45], s[6:7], 0, v[44:45]
	global_load_dwordx2 v[50:51], v[50:51], off
	v_add_u32_e32 v0, s22, v0
	global_load_dwordx2 v[44:45], v[44:45], off
	v_add_f64 v[30:31], v[30:31], -v[32:33]
	s_waitcnt vmcnt(10)
	v_add_f64 v[32:33], v[54:55], -v[52:53]
	v_lshlrev_b64 v[52:53], 3, v[0:1]
	v_add_u32_e32 v0, s22, v0
	v_add_f64 v[30:31], v[30:31], -v[32:33]
	s_waitcnt vmcnt(8)
	v_add_f64 v[32:33], v[58:59], -v[56:57]
	v_lshl_add_u64 v[54:55], s[4:5], 0, v[52:53]
	v_lshl_add_u64 v[52:53], s[6:7], 0, v[52:53]
	v_lshlrev_b64 v[56:57], 3, v[0:1]
	global_load_dwordx2 v[54:55], v[54:55], off
	v_lshl_add_u64 v[58:59], s[4:5], 0, v[56:57]
	global_load_dwordx2 v[52:53], v[52:53], off
	v_lshl_add_u64 v[56:57], s[6:7], 0, v[56:57]
	global_load_dwordx2 v[58:59], v[58:59], off
	v_add_f64 v[30:31], v[30:31], -v[32:33]
	global_load_dwordx2 v[56:57], v[56:57], off
	v_add_u32_e32 v0, s23, v0
	s_mul_i32 s0, s22, 0xffffff8e
	s_waitcnt vmcnt(10)
	v_add_f64 v[32:33], v[36:37], -v[34:35]
	v_add_f64 v[30:31], v[30:31], -v[32:33]
	s_waitcnt vmcnt(8)
	v_add_f64 v[32:33], v[40:41], -v[38:39]
	v_add_f64 v[30:31], v[30:31], -v[32:33]
	v_mul_f64 v[30:31], s[10:11], v[30:31]
	v_mul_f64 v[30:31], s[18:19], v[30:31]
	global_store_dwordx2 v[42:43], v[30:31], off
	s_waitcnt vmcnt(7)
	v_add_f64 v[30:31], v[48:49], -v[46:47]
	v_add_f64 v[22:23], v[30:31], -v[22:23]
	v_lshlrev_b64 v[30:31], 3, v[0:1]
	v_lshl_add_u64 v[32:33], s[4:5], 0, v[30:31]
	v_lshl_add_u64 v[30:31], s[6:7], 0, v[30:31]
	global_load_dwordx2 v[32:33], v[32:33], off
	v_add_u32_e32 v0, s14, v0
	global_load_dwordx2 v[30:31], v[30:31], off
	v_lshlrev_b64 v[34:35], 3, v[0:1]
	v_add_u32_e32 v0, s23, v0
	v_lshl_add_u64 v[36:37], s[4:5], 0, v[34:35]
	v_lshl_add_u64 v[34:35], s[6:7], 0, v[34:35]
	v_lshlrev_b64 v[38:39], 3, v[0:1]
	v_add_u32_e32 v0, s23, v0
	global_load_dwordx2 v[36:37], v[36:37], off
	v_lshl_add_u64 v[40:41], s[4:5], 0, v[38:39]
	global_load_dwordx2 v[34:35], v[34:35], off
	v_lshl_add_u64 v[38:39], s[6:7], 0, v[38:39]
	v_lshlrev_b64 v[42:43], 3, v[0:1]
	s_waitcnt vmcnt(9)
	v_add_f64 v[24:25], v[50:51], -v[44:45]
	global_load_dwordx2 v[40:41], v[40:41], off
	v_lshl_add_u64 v[44:45], s[4:5], 0, v[42:43]
	global_load_dwordx2 v[38:39], v[38:39], off
	v_lshl_add_u64 v[42:43], s[6:7], 0, v[42:43]
	global_load_dwordx2 v[44:45], v[44:45], off
	v_add_u32_e32 v0, s0, v0
	global_load_dwordx2 v[42:43], v[42:43], off
	v_lshl_add_u64 v[46:47], v[0:1], 3, s[8:9]
	v_add_u32_e32 v0, s26, v0
	v_lshlrev_b64 v[48:49], 3, v[0:1]
	s_mul_i32 s0, s22, 0x44
	v_lshl_add_u64 v[50:51], s[4:5], 0, v[48:49]
	v_lshl_add_u64 v[48:49], s[6:7], 0, v[48:49]
	v_add_u32_e32 v0, s0, v0
	v_add_f64 v[22:23], v[22:23], -v[24:25]
	s_waitcnt vmcnt(11)
	v_add_f64 v[24:25], v[54:55], -v[52:53]
	global_load_dwordx2 v[50:51], v[50:51], off
	v_lshlrev_b64 v[52:53], 3, v[0:1]
	global_load_dwordx2 v[48:49], v[48:49], off
	v_add_u32_e32 v0, s23, v0
	v_add_f64 v[22:23], v[22:23], -v[24:25]
	s_waitcnt vmcnt(11)
	v_add_f64 v[24:25], v[58:59], -v[56:57]
	v_lshl_add_u64 v[54:55], s[4:5], 0, v[52:53]
	v_lshl_add_u64 v[52:53], s[6:7], 0, v[52:53]
	v_lshlrev_b64 v[56:57], 3, v[0:1]
	global_load_dwordx2 v[54:55], v[54:55], off
	v_lshl_add_u64 v[58:59], s[4:5], 0, v[56:57]
	global_load_dwordx2 v[52:53], v[52:53], off
	v_lshl_add_u64 v[56:57], s[6:7], 0, v[56:57]
	global_load_dwordx2 v[58:59], v[58:59], off
	v_add_f64 v[22:23], v[22:23], -v[24:25]
	global_load_dwordx2 v[56:57], v[56:57], off
	v_add_f64 v[4:5], v[22:23], -v[4:5]
	s_load_dwordx4 s[0:3], s[20:21], 0x80
	s_load_dwordx2 s[12:13], s[20:21], 0x90
	v_add_u32_e32 v0, s23, v0
	s_waitcnt vmcnt(12)
	v_add_f64 v[6:7], v[32:33], -v[30:31]
	v_add_f64 v[4:5], v[4:5], -v[6:7]
	v_add_f64 v[6:7], v[8:9], -v[10:11]
	v_add_f64 v[4:5], v[4:5], -v[6:7]
	v_add_f64 v[4:5], v[4:5], -v[6:7]
	v_add_f64 v[2:3], v[4:5], v[2:3]
	v_add_f64 v[10:11], v[16:17], -v[20:21]
	s_waitcnt vmcnt(10)
	v_add_f64 v[4:5], v[36:37], -v[34:35]
	v_add_f64 v[2:3], v[2:3], v[4:5]
	s_waitcnt vmcnt(8)
	v_add_f64 v[6:7], v[40:41], -v[38:39]
	v_add_f64 v[2:3], v[2:3], v[6:7]
	;; [unrolled: 3-line block ×3, first 2 shown]
	v_mul_f64 v[2:3], s[10:11], v[2:3]
	s_waitcnt lgkmcnt(0)
	v_mul_f64 v[2:3], s[0:1], v[2:3]
	global_store_dwordx2 v[46:47], v[2:3], off
	s_waitcnt vmcnt(5)
	v_add_f64 v[2:3], v[50:51], -v[48:49]
	v_add_f64 v[2:3], v[2:3], v[10:11]
	v_add_f64 v[10:11], v[14:15], -v[18:19]
	v_add_f64 v[2:3], v[2:3], v[10:11]
	s_waitcnt vmcnt(3)
	v_add_f64 v[10:11], v[54:55], -v[52:53]
	v_add_f64 v[2:3], v[2:3], v[10:11]
	s_waitcnt vmcnt(1)
	v_add_f64 v[10:11], v[58:59], -v[56:57]
	v_add_f64 v[2:3], v[2:3], -v[10:11]
	;; [unrolled: 1-line block ×3, first 2 shown]
	v_lshlrev_b64 v[4:5], 3, v[0:1]
	v_lshl_add_u64 v[10:11], s[4:5], 0, v[4:5]
	v_lshl_add_u64 v[4:5], s[6:7], 0, v[4:5]
	v_add_u32_e32 v0, s23, v0
	global_load_dwordx2 v[10:11], v[10:11], off
	v_lshlrev_b64 v[12:13], 3, v[0:1]
	global_load_dwordx2 v[4:5], v[4:5], off
	v_add_u32_e32 v0, s25, v0
	v_lshl_add_u64 v[14:15], s[4:5], 0, v[12:13]
	v_lshl_add_u64 v[12:13], s[6:7], 0, v[12:13]
	v_lshlrev_b64 v[16:17], 3, v[0:1]
	v_add_u32_e32 v0, s14, v0
	global_load_dwordx2 v[14:15], v[14:15], off
	v_lshlrev_b64 v[20:21], 3, v[0:1]
	global_load_dwordx2 v[12:13], v[12:13], off
	v_add_u32_e32 v0, s22, v0
	v_lshl_add_u64 v[18:19], s[4:5], 0, v[16:17]
	v_lshl_add_u64 v[16:17], s[6:7], 0, v[16:17]
	v_lshlrev_b64 v[24:25], 3, v[0:1]
	v_add_u32_e32 v0, s22, v0
	global_load_dwordx2 v[18:19], v[18:19], off
	v_lshl_add_u64 v[22:23], s[4:5], 0, v[20:21]
	global_load_dwordx2 v[16:17], v[16:17], off
	v_lshl_add_u64 v[20:21], s[6:7], 0, v[20:21]
	v_lshlrev_b64 v[32:33], 3, v[0:1]
	v_add_u32_e32 v0, s22, v0
	global_load_dwordx2 v[22:23], v[22:23], off
	v_lshl_add_u64 v[30:31], s[4:5], 0, v[24:25]
	global_load_dwordx2 v[20:21], v[20:21], off
	v_lshl_add_u64 v[24:25], s[6:7], 0, v[24:25]
	v_mad_u64_u32 v[40:41], s[0:1], s22, 40, v[0:1]
	global_load_dwordx2 v[30:31], v[30:31], off
	v_lshl_add_u64 v[34:35], s[4:5], 0, v[32:33]
	global_load_dwordx2 v[24:25], v[24:25], off
	v_lshl_add_u64 v[32:33], s[6:7], 0, v[32:33]
	v_lshlrev_b64 v[36:37], 3, v[0:1]
	v_mov_b32_e32 v41, v1
	s_mul_i32 s0, s22, 0xffffff51
	global_load_dwordx2 v[34:35], v[34:35], off
	v_lshl_add_u64 v[38:39], s[4:5], 0, v[36:37]
	global_load_dwordx2 v[32:33], v[32:33], off
	v_lshl_add_u64 v[36:37], s[6:7], 0, v[36:37]
	v_lshlrev_b64 v[42:43], 3, v[40:41]
	v_add_u32_e32 v0, s0, v40
	s_mul_i32 s0, s22, 0x47
	global_load_dwordx2 v[38:39], v[38:39], off
	v_lshl_add_u64 v[44:45], s[4:5], 0, v[42:43]
	global_load_dwordx2 v[36:37], v[36:37], off
	v_lshl_add_u64 v[42:43], s[6:7], 0, v[42:43]
	v_lshl_add_u64 v[40:41], v[0:1], 3, s[8:9]
	v_add_u32_e32 v0, s0, v0
	global_load_dwordx2 v[44:45], v[44:45], off
	v_mad_u64_u32 v[50:51], s[0:1], s22, 59, v[0:1]
	global_load_dwordx2 v[42:43], v[42:43], off
	v_mov_b32_e32 v51, v1
	v_lshlrev_b64 v[46:47], 3, v[0:1]
	v_lshlrev_b64 v[52:53], 3, v[50:51]
	v_mad_u64_u32 v[50:51], s[0:1], s22, 25, v[50:51]
	v_lshl_add_u64 v[48:49], s[4:5], 0, v[46:47]
	v_lshl_add_u64 v[46:47], s[6:7], 0, v[46:47]
	;; [unrolled: 1-line block ×4, first 2 shown]
	v_mov_b32_e32 v51, v1
	global_load_dwordx2 v[48:49], v[48:49], off
	v_lshlrev_b64 v[56:57], 3, v[50:51]
	global_load_dwordx2 v[46:47], v[46:47], off
	v_lshl_add_u64 v[58:59], s[4:5], 0, v[56:57]
	global_load_dwordx2 v[54:55], v[54:55], off
	v_lshl_add_u64 v[56:57], s[6:7], 0, v[56:57]
	global_load_dwordx2 v[52:53], v[52:53], off
	s_mulk_i32 s22, 0xff66
	global_load_dwordx2 v[58:59], v[58:59], off
	v_add_u32_e32 v0, s22, v50
	global_load_dwordx2 v[56:57], v[56:57], off
	v_lshl_add_u64 v[0:1], v[0:1], 3, s[8:9]
	s_waitcnt vmcnt(20)
	v_add_f64 v[4:5], v[10:11], -v[4:5]
	v_add_f64 v[2:3], v[2:3], -v[4:5]
	;; [unrolled: 1-line block ×3, first 2 shown]
	s_waitcnt vmcnt(18)
	v_add_f64 v[4:5], v[14:15], -v[12:13]
	v_add_f64 v[2:3], v[2:3], -v[4:5]
	;; [unrolled: 1-line block ×3, first 2 shown]
	s_waitcnt vmcnt(16)
	v_add_f64 v[4:5], v[18:19], -v[16:17]
	v_add_f64 v[2:3], v[2:3], v[4:5]
	s_waitcnt vmcnt(14)
	v_add_f64 v[4:5], v[22:23], -v[20:21]
	v_add_f64 v[2:3], v[2:3], v[4:5]
	;; [unrolled: 3-line block ×6, first 2 shown]
	v_mul_f64 v[2:3], s[10:11], v[2:3]
	v_mul_f64 v[2:3], s[2:3], v[2:3]
	global_store_dwordx2 v[40:41], v[2:3], off
	s_waitcnt vmcnt(5)
	v_add_f64 v[2:3], v[48:49], -v[46:47]
	s_waitcnt vmcnt(3)
	v_add_f64 v[4:5], v[54:55], -v[52:53]
	v_add_f64 v[2:3], v[2:3], v[4:5]
	v_add_f64 v[4:5], v[26:27], -v[28:29]
	v_add_f64 v[2:3], v[2:3], v[4:5]
	s_waitcnt vmcnt(1)
	v_add_f64 v[4:5], v[58:59], -v[56:57]
	v_add_f64 v[2:3], v[2:3], v[4:5]
	v_mul_f64 v[2:3], s[10:11], v[2:3]
	v_mul_f64 v[2:3], s[12:13], v[2:3]
	global_store_dwordx2 v[0:1], v[2:3], off
	s_endpgm
	.section	.rodata,"a",@progbits
	.p2align	6, 0x0
	.amdhsa_kernel _Z14rdwdot3_kernelIdEvPKT_S2_PS0_S0_S2_
		.amdhsa_group_segment_fixed_size 0
		.amdhsa_private_segment_fixed_size 0
		.amdhsa_kernarg_size 296
		.amdhsa_user_sgpr_count 2
		.amdhsa_user_sgpr_dispatch_ptr 0
		.amdhsa_user_sgpr_queue_ptr 0
		.amdhsa_user_sgpr_kernarg_segment_ptr 1
		.amdhsa_user_sgpr_dispatch_id 0
		.amdhsa_user_sgpr_kernarg_preload_length 0
		.amdhsa_user_sgpr_kernarg_preload_offset 0
		.amdhsa_user_sgpr_private_segment_size 0
		.amdhsa_uses_dynamic_stack 0
		.amdhsa_enable_private_segment 0
		.amdhsa_system_sgpr_workgroup_id_x 1
		.amdhsa_system_sgpr_workgroup_id_y 0
		.amdhsa_system_sgpr_workgroup_id_z 0
		.amdhsa_system_sgpr_workgroup_info 0
		.amdhsa_system_vgpr_workitem_id 0
		.amdhsa_next_free_vgpr 60
		.amdhsa_next_free_sgpr 28
		.amdhsa_accum_offset 60
		.amdhsa_reserve_vcc 0
		.amdhsa_float_round_mode_32 0
		.amdhsa_float_round_mode_16_64 0
		.amdhsa_float_denorm_mode_32 3
		.amdhsa_float_denorm_mode_16_64 3
		.amdhsa_dx10_clamp 1
		.amdhsa_ieee_mode 1
		.amdhsa_fp16_overflow 0
		.amdhsa_tg_split 0
		.amdhsa_exception_fp_ieee_invalid_op 0
		.amdhsa_exception_fp_denorm_src 0
		.amdhsa_exception_fp_ieee_div_zero 0
		.amdhsa_exception_fp_ieee_overflow 0
		.amdhsa_exception_fp_ieee_underflow 0
		.amdhsa_exception_fp_ieee_inexact 0
		.amdhsa_exception_int_div_zero 0
	.end_amdhsa_kernel
	.section	.text._Z14rdwdot3_kernelIdEvPKT_S2_PS0_S0_S2_,"axG",@progbits,_Z14rdwdot3_kernelIdEvPKT_S2_PS0_S0_S2_,comdat
.Lfunc_end48:
	.size	_Z14rdwdot3_kernelIdEvPKT_S2_PS0_S0_S2_, .Lfunc_end48-_Z14rdwdot3_kernelIdEvPKT_S2_PS0_S0_S2_
                                        ; -- End function
	.set _Z14rdwdot3_kernelIdEvPKT_S2_PS0_S0_S2_.num_vgpr, 60
	.set _Z14rdwdot3_kernelIdEvPKT_S2_PS0_S0_S2_.num_agpr, 0
	.set _Z14rdwdot3_kernelIdEvPKT_S2_PS0_S0_S2_.numbered_sgpr, 28
	.set _Z14rdwdot3_kernelIdEvPKT_S2_PS0_S0_S2_.num_named_barrier, 0
	.set _Z14rdwdot3_kernelIdEvPKT_S2_PS0_S0_S2_.private_seg_size, 0
	.set _Z14rdwdot3_kernelIdEvPKT_S2_PS0_S0_S2_.uses_vcc, 0
	.set _Z14rdwdot3_kernelIdEvPKT_S2_PS0_S0_S2_.uses_flat_scratch, 0
	.set _Z14rdwdot3_kernelIdEvPKT_S2_PS0_S0_S2_.has_dyn_sized_stack, 0
	.set _Z14rdwdot3_kernelIdEvPKT_S2_PS0_S0_S2_.has_recursion, 0
	.set _Z14rdwdot3_kernelIdEvPKT_S2_PS0_S0_S2_.has_indirect_call, 0
	.section	.AMDGPU.csdata,"",@progbits
; Kernel info:
; codeLenInByte = 7388
; TotalNumSgprs: 34
; NumVgprs: 60
; NumAgprs: 0
; TotalNumVgprs: 60
; ScratchSize: 0
; MemoryBound: 0
; FloatMode: 240
; IeeeMode: 1
; LDSByteSize: 0 bytes/workgroup (compile time only)
; SGPRBlocks: 4
; VGPRBlocks: 7
; NumSGPRsForWavesPerEU: 34
; NumVGPRsForWavesPerEU: 60
; AccumOffset: 60
; Occupancy: 8
; WaveLimiterHint : 0
; COMPUTE_PGM_RSRC2:SCRATCH_EN: 0
; COMPUTE_PGM_RSRC2:USER_SGPR: 2
; COMPUTE_PGM_RSRC2:TRAP_HANDLER: 0
; COMPUTE_PGM_RSRC2:TGID_X_EN: 1
; COMPUTE_PGM_RSRC2:TGID_Y_EN: 0
; COMPUTE_PGM_RSRC2:TGID_Z_EN: 0
; COMPUTE_PGM_RSRC2:TIDIG_COMP_CNT: 0
; COMPUTE_PGM_RSRC3_GFX90A:ACCUM_OFFSET: 14
; COMPUTE_PGM_RSRC3_GFX90A:TG_SPLIT: 0
	.section	.text._Z14rdwdot6_kernelIdEvPKT_S2_PS0_S0_S2_,"axG",@progbits,_Z14rdwdot6_kernelIdEvPKT_S2_PS0_S0_S2_,comdat
	.protected	_Z14rdwdot6_kernelIdEvPKT_S2_PS0_S0_S2_ ; -- Begin function _Z14rdwdot6_kernelIdEvPKT_S2_PS0_S0_S2_
	.globl	_Z14rdwdot6_kernelIdEvPKT_S2_PS0_S0_S2_
	.p2align	8
	.type	_Z14rdwdot6_kernelIdEvPKT_S2_PS0_S0_S2_,@function
_Z14rdwdot6_kernelIdEvPKT_S2_PS0_S0_S2_: ; @_Z14rdwdot6_kernelIdEvPKT_S2_PS0_S0_S2_
; %bb.0:
	s_load_dword s3, s[0:1], 0x34
	s_load_dword s12, s[0:1], 0x28
	s_load_dwordx8 s[4:11], s[0:1], 0x0
	v_mov_b32_e32 v1, 0
	s_load_dwordx2 s[0:1], s[0:1], 0x20
	s_waitcnt lgkmcnt(0)
	s_and_b32 s13, s3, 0xffff
	s_mul_i32 s3, s12, s13
	s_mul_i32 s12, s3, 28
	;; [unrolled: 1-line block ×3, first 2 shown]
	s_add_i32 s12, s12, s2
	v_add_u32_e32 v0, s12, v0
	v_lshlrev_b64 v[2:3], 3, v[0:1]
	v_add_u32_e32 v0, s3, v0
	v_lshlrev_b64 v[6:7], 3, v[0:1]
	v_add_u32_e32 v0, s3, v0
	v_lshl_add_u64 v[4:5], s[4:5], 0, v[2:3]
	v_lshl_add_u64 v[2:3], s[6:7], 0, v[2:3]
	;; [unrolled: 1-line block ×4, first 2 shown]
	v_lshlrev_b64 v[10:11], 3, v[0:1]
	v_add_u32_e32 v0, s3, v0
	global_load_dwordx2 v[4:5], v[4:5], off
	v_lshl_add_u64 v[12:13], s[4:5], 0, v[10:11]
	global_load_dwordx2 v[2:3], v[2:3], off
	v_lshl_add_u64 v[10:11], s[6:7], 0, v[10:11]
	global_load_dwordx2 v[8:9], v[8:9], off
	v_lshlrev_b64 v[14:15], 3, v[0:1]
	global_load_dwordx2 v[6:7], v[6:7], off
	v_add_u32_e32 v0, s3, v0
	global_load_dwordx2 v[12:13], v[12:13], off
	v_lshl_add_u64 v[16:17], s[4:5], 0, v[14:15]
	global_load_dwordx2 v[10:11], v[10:11], off
	v_lshl_add_u64 v[14:15], s[6:7], 0, v[14:15]
	v_lshlrev_b64 v[18:19], 3, v[0:1]
	v_add_u32_e32 v0, s3, v0
	s_mul_i32 s2, s3, 5
	global_load_dwordx2 v[16:17], v[16:17], off
	v_lshl_add_u64 v[20:21], s[4:5], 0, v[18:19]
	global_load_dwordx2 v[14:15], v[14:15], off
	v_lshl_add_u64 v[18:19], s[6:7], 0, v[18:19]
	v_lshlrev_b64 v[22:23], 3, v[0:1]
	v_add_u32_e32 v0, s2, v0
	global_load_dwordx2 v[20:21], v[20:21], off
	v_lshl_add_u64 v[24:25], s[4:5], 0, v[22:23]
	global_load_dwordx2 v[18:19], v[18:19], off
	v_lshl_add_u64 v[22:23], s[6:7], 0, v[22:23]
	v_lshlrev_b64 v[26:27], 3, v[0:1]
	v_add_u32_e32 v0, s3, v0
	s_lshl_b32 s12, s3, 1
	global_load_dwordx2 v[24:25], v[24:25], off
	v_lshl_add_u64 v[28:29], s[4:5], 0, v[26:27]
	global_load_dwordx2 v[22:23], v[22:23], off
	v_lshl_add_u64 v[26:27], s[6:7], 0, v[26:27]
	v_lshlrev_b64 v[30:31], 3, v[0:1]
	v_add_u32_e32 v0, s12, v0
	global_load_dwordx2 v[28:29], v[28:29], off
	v_lshl_add_u64 v[32:33], s[4:5], 0, v[30:31]
	global_load_dwordx2 v[26:27], v[26:27], off
	v_lshl_add_u64 v[30:31], s[6:7], 0, v[30:31]
	v_lshlrev_b64 v[34:35], 3, v[0:1]
	v_add_u32_e32 v0, s3, v0
	global_load_dwordx2 v[32:33], v[32:33], off
	v_lshl_add_u64 v[36:37], s[4:5], 0, v[34:35]
	global_load_dwordx2 v[30:31], v[30:31], off
	v_lshl_add_u64 v[34:35], s[6:7], 0, v[34:35]
	v_lshlrev_b64 v[38:39], 3, v[0:1]
	global_load_dwordx2 v[36:37], v[36:37], off
	v_lshl_add_u64 v[40:41], s[4:5], 0, v[38:39]
	global_load_dwordx2 v[34:35], v[34:35], off
	v_lshl_add_u64 v[38:39], s[6:7], 0, v[38:39]
	global_load_dwordx2 v[40:41], v[40:41], off
	v_add_u32_e32 v0, s12, v0
	global_load_dwordx2 v[38:39], v[38:39], off
	v_lshlrev_b64 v[42:43], 3, v[0:1]
	v_add_u32_e32 v0, s3, v0
	v_lshlrev_b64 v[46:47], 3, v[0:1]
	v_add_u32_e32 v0, s3, v0
	s_lshl_b32 s13, s3, 2
	v_lshl_add_u64 v[44:45], s[4:5], 0, v[42:43]
	v_lshl_add_u64 v[42:43], s[6:7], 0, v[42:43]
	global_load_dwordx2 v[48:49], v[44:45], off
	global_load_dwordx2 v[50:51], v[42:43], off
	v_lshl_add_u64 v[42:43], s[4:5], 0, v[46:47]
	v_lshl_add_u64 v[44:45], s[6:7], 0, v[46:47]
	s_mul_i32 s16, s3, 7
	global_load_dwordx2 v[42:43], v[42:43], off
	s_waitcnt vmcnt(21)
	v_add_f64 v[2:3], v[4:5], -v[2:3]
	s_waitcnt vmcnt(19)
	v_add_f64 v[4:5], v[8:9], -v[6:7]
	v_add_f64 v[6:7], -v[2:3], -v[4:5]
	v_add_f64 v[2:3], v[2:3], v[4:5]
	s_waitcnt vmcnt(17)
	v_add_f64 v[8:9], v[12:13], -v[10:11]
	v_add_f64 v[8:9], v[6:7], -v[8:9]
	s_waitcnt vmcnt(15)
	v_add_f64 v[6:7], v[16:17], -v[14:15]
	v_add_f64 v[10:11], v[8:9], -v[6:7]
	v_lshlrev_b64 v[16:17], 3, v[0:1]
	v_add_f64 v[2:3], v[2:3], v[6:7]
	s_waitcnt vmcnt(13)
	v_add_f64 v[8:9], v[20:21], -v[18:19]
	v_mad_u64_u32 v[20:21], s[14:15], s3, 9, v[0:1]
	v_add_f64 v[10:11], v[10:11], -v[8:9]
	v_mov_b32_e32 v21, v1
	v_add_u32_e32 v0, s2, v20
	v_lshl_add_u64 v[18:19], s[4:5], 0, v[16:17]
	s_waitcnt vmcnt(11)
	v_add_f64 v[12:13], v[24:25], -v[22:23]
	v_add_f64 v[10:11], v[10:11], v[12:13]
	v_lshlrev_b64 v[22:23], 3, v[20:21]
	v_lshlrev_b64 v[20:21], 3, v[0:1]
	v_add_u32_e32 v0, s13, v0
	v_lshl_add_u64 v[16:17], s[6:7], 0, v[16:17]
	s_waitcnt vmcnt(9)
	v_add_f64 v[12:13], v[28:29], -v[26:27]
	v_add_f64 v[12:13], v[10:11], -v[12:13]
	v_lshlrev_b64 v[28:29], 3, v[0:1]
	v_add_u32_e32 v0, s3, v0
	global_load_dwordx2 v[18:19], v[18:19], off
	v_lshl_add_u64 v[24:25], s[4:5], 0, v[22:23]
	s_waitcnt vmcnt(8)
	v_add_f64 v[10:11], v[32:33], -v[30:31]
	v_add_f64 v[12:13], v[12:13], v[10:11]
	v_lshlrev_b64 v[32:33], 3, v[0:1]
	v_add_u32_e32 v0, s13, v0
	global_load_dwordx2 v[16:17], v[16:17], off
	s_waitcnt vmcnt(7)
	v_add_f64 v[14:15], v[36:37], -v[34:35]
	v_add_f64 v[12:13], v[12:13], v[14:15]
	v_lshlrev_b64 v[36:37], 3, v[0:1]
	v_lshl_add_u64 v[22:23], s[6:7], 0, v[22:23]
	s_waitcnt vmcnt(5)
	v_add_f64 v[14:15], v[40:41], -v[38:39]
	v_mad_u64_u32 v[40:41], s[14:15], s3, 18, v[0:1]
	v_add_f64 v[12:13], v[12:13], v[14:15]
	global_load_dwordx2 v[14:15], v[44:45], off
	v_add_u32_e32 v0, s16, v40
	v_mad_u64_u32 v[54:55], s[14:15], s3, 13, v[0:1]
	global_load_dwordx2 v[24:25], v[24:25], off
	v_lshl_add_u64 v[26:27], s[4:5], 0, v[20:21]
	global_load_dwordx2 v[22:23], v[22:23], off
	v_lshl_add_u64 v[20:21], s[6:7], 0, v[20:21]
	v_mov_b32_e32 v55, v1
	global_load_dwordx2 v[26:27], v[26:27], off
	v_lshl_add_u64 v[30:31], s[4:5], 0, v[28:29]
	global_load_dwordx2 v[20:21], v[20:21], off
	v_lshl_add_u64 v[28:29], s[6:7], 0, v[28:29]
	v_lshlrev_b64 v[56:57], 3, v[54:55]
	global_load_dwordx2 v[30:31], v[30:31], off
	v_lshl_add_u64 v[34:35], s[4:5], 0, v[32:33]
	global_load_dwordx2 v[28:29], v[28:29], off
	v_lshl_add_u64 v[32:33], s[6:7], 0, v[32:33]
	v_mov_b32_e32 v41, v1
	v_lshl_add_u64 v[58:59], s[4:5], 0, v[56:57]
	v_lshl_add_u64 v[56:57], s[6:7], 0, v[56:57]
	global_load_dwordx2 v[34:35], v[34:35], off
	v_lshl_add_u64 v[38:39], s[4:5], 0, v[36:37]
	global_load_dwordx2 v[32:33], v[32:33], off
	;; [unrolled: 2-line block ×3, first 2 shown]
	v_lshlrev_b64 v[44:45], 3, v[40:41]
	global_load_dwordx2 v[38:39], v[38:39], off
	v_lshl_add_u64 v[46:47], s[4:5], 0, v[44:45]
	global_load_dwordx2 v[36:37], v[36:37], off
	v_lshl_add_u64 v[44:45], s[6:7], 0, v[44:45]
	v_lshlrev_b64 v[40:41], 3, v[0:1]
	global_load_dwordx2 v[46:47], v[46:47], off
	v_lshl_add_u64 v[52:53], s[4:5], 0, v[40:41]
	global_load_dwordx2 v[44:45], v[44:45], off
	v_lshl_add_u64 v[40:41], s[6:7], 0, v[40:41]
	global_load_dwordx2 v[52:53], v[52:53], off
	s_waitcnt vmcnt(18)
	v_add_f64 v[48:49], v[48:49], -v[50:51]
	global_load_dwordx2 v[40:41], v[40:41], off
	v_add_f64 v[12:13], v[12:13], v[48:49]
	global_load_dwordx2 v[58:59], v[58:59], off
	v_add_u32_e32 v0, s3, v54
	v_add_f64 v[2:3], v[2:3], v[8:9]
	v_add_f64 v[2:3], v[2:3], -v[10:11]
	s_waitcnt vmcnt(16)
	v_add_f64 v[14:15], v[42:43], -v[14:15]
	v_add_f64 v[12:13], v[12:13], v[14:15]
	v_add_f64 v[14:15], v[18:19], -v[16:17]
	v_add_f64 v[12:13], v[12:13], v[14:15]
	s_waitcnt vmcnt(14)
	v_add_f64 v[14:15], v[24:25], -v[22:23]
	v_add_f64 v[12:13], v[12:13], -v[14:15]
	s_waitcnt vmcnt(12)
	v_add_f64 v[14:15], v[26:27], -v[20:21]
	v_add_f64 v[12:13], v[12:13], v[14:15]
	s_waitcnt vmcnt(10)
	v_add_f64 v[14:15], v[30:31], -v[28:29]
	v_add_f64 v[12:13], v[12:13], v[14:15]
	;; [unrolled: 3-line block ×7, first 2 shown]
	v_lshlrev_b64 v[16:17], 3, v[0:1]
	v_lshl_add_u64 v[18:19], s[4:5], 0, v[16:17]
	v_lshl_add_u64 v[16:17], s[6:7], 0, v[16:17]
	v_add_u32_e32 v0, s3, v0
	global_load_dwordx2 v[18:19], v[18:19], off
	v_lshlrev_b64 v[20:21], 3, v[0:1]
	global_load_dwordx2 v[16:17], v[16:17], off
	v_lshl_add_u64 v[22:23], s[4:5], 0, v[20:21]
	v_lshl_add_u64 v[20:21], s[6:7], 0, v[20:21]
	v_add_u32_e32 v0, s3, v0
	global_load_dwordx2 v[22:23], v[22:23], off
	v_lshlrev_b64 v[24:25], 3, v[0:1]
	global_load_dwordx2 v[20:21], v[20:21], off
	v_add_u32_e32 v0, s3, v0
	v_lshl_add_u64 v[26:27], s[4:5], 0, v[24:25]
	v_lshl_add_u64 v[24:25], s[6:7], 0, v[24:25]
	v_lshlrev_b64 v[28:29], 3, v[0:1]
	v_add_u32_e32 v0, s3, v0
	global_load_dwordx2 v[26:27], v[26:27], off
	v_lshl_add_u64 v[30:31], s[4:5], 0, v[28:29]
	global_load_dwordx2 v[24:25], v[24:25], off
	v_lshl_add_u64 v[28:29], s[6:7], 0, v[28:29]
	v_lshlrev_b64 v[32:33], 3, v[0:1]
	global_load_dwordx2 v[30:31], v[30:31], off
	v_lshl_add_u64 v[34:35], s[4:5], 0, v[32:33]
	global_load_dwordx2 v[28:29], v[28:29], off
	v_lshl_add_u64 v[32:33], s[6:7], 0, v[32:33]
	v_add_u32_e32 v0, s13, v0
	global_load_dwordx2 v[34:35], v[34:35], off
	v_lshlrev_b64 v[36:37], 3, v[0:1]
	global_load_dwordx2 v[32:33], v[32:33], off
	v_add_u32_e32 v0, s12, v0
	v_lshl_add_u64 v[38:39], s[4:5], 0, v[36:37]
	v_lshl_add_u64 v[36:37], s[6:7], 0, v[36:37]
	v_lshlrev_b64 v[40:41], 3, v[0:1]
	v_add_u32_e32 v0, s3, v0
	global_load_dwordx2 v[38:39], v[38:39], off
	v_lshl_add_u64 v[42:43], s[4:5], 0, v[40:41]
	global_load_dwordx2 v[36:37], v[36:37], off
	v_lshl_add_u64 v[40:41], s[6:7], 0, v[40:41]
	v_lshlrev_b64 v[44:45], 3, v[0:1]
	v_mad_u64_u32 v[48:49], s[14:15], s3, 3, v[0:1]
	global_load_dwordx2 v[42:43], v[42:43], off
	v_lshl_add_u64 v[46:47], s[4:5], 0, v[44:45]
	global_load_dwordx2 v[40:41], v[40:41], off
	v_lshl_add_u64 v[44:45], s[6:7], 0, v[44:45]
	v_mov_b32_e32 v49, v1
	global_load_dwordx2 v[46:47], v[46:47], off
	v_lshlrev_b64 v[50:51], 3, v[48:49]
	global_load_dwordx2 v[44:45], v[44:45], off
	v_add_u32_e32 v0, s2, v48
	v_lshl_add_u64 v[52:53], s[4:5], 0, v[50:51]
	v_lshl_add_u64 v[50:51], s[6:7], 0, v[50:51]
	v_lshlrev_b64 v[48:49], 3, v[0:1]
	global_load_dwordx2 v[52:53], v[52:53], off
	v_lshl_add_u64 v[54:55], s[4:5], 0, v[48:49]
	global_load_dwordx2 v[50:51], v[50:51], off
	v_lshl_add_u64 v[48:49], s[6:7], 0, v[48:49]
	s_lshl_b32 s14, s3, 3
	global_load_dwordx2 v[54:55], v[54:55], off
	v_add_u32_e32 v0, s14, v0
	global_load_dwordx2 v[48:49], v[48:49], off
	v_lshlrev_b64 v[56:57], 3, v[0:1]
	v_lshl_add_u64 v[58:59], s[4:5], 0, v[56:57]
	v_lshl_add_u64 v[56:57], s[6:7], 0, v[56:57]
	global_load_dwordx2 v[58:59], v[58:59], off
	v_add_u32_e32 v0, s16, v0
	global_load_dwordx2 v[56:57], v[56:57], off
	s_mul_i32 s15, s3, 10
	s_waitcnt vmcnt(20)
	v_add_f64 v[16:17], v[18:19], -v[16:17]
	v_add_f64 v[14:15], v[14:15], v[16:17]
	v_add_f64 v[14:15], v[16:17], v[14:15]
	v_lshlrev_b64 v[18:19], 3, v[0:1]
	v_add_u32_e32 v0, s13, v0
	s_waitcnt vmcnt(18)
	v_add_f64 v[16:17], v[22:23], -v[20:21]
	v_add_f64 v[14:15], v[14:15], v[16:17]
	v_add_f64 v[14:15], v[16:17], v[14:15]
	v_lshlrev_b64 v[22:23], 3, v[0:1]
	v_add_u32_e32 v0, s16, v0
	v_lshl_add_u64 v[20:21], s[4:5], 0, v[18:19]
	v_lshl_add_u64 v[18:19], s[6:7], 0, v[18:19]
	global_load_dwordx2 v[20:21], v[20:21], off
	s_waitcnt vmcnt(17)
	v_add_f64 v[16:17], v[26:27], -v[24:25]
	v_add_f64 v[14:15], v[14:15], v[16:17]
	v_lshlrev_b64 v[26:27], 3, v[0:1]
	v_add_u32_e32 v0, s15, v0
	global_load_dwordx2 v[18:19], v[18:19], off
	s_waitcnt vmcnt(16)
	v_add_f64 v[16:17], v[30:31], -v[28:29]
	v_add_f64 v[14:15], v[14:15], v[16:17]
	v_lshlrev_b64 v[30:31], 3, v[0:1]
	v_lshl_add_u64 v[24:25], s[4:5], 0, v[22:23]
	v_lshl_add_u64 v[22:23], s[6:7], 0, v[22:23]
	s_waitcnt vmcnt(14)
	v_add_f64 v[16:17], v[34:35], -v[32:33]
	v_add_f64 v[14:15], v[14:15], v[16:17]
	v_mad_u64_u32 v[34:35], s[12:13], s3, 15, v[0:1]
	v_add_f64 v[14:15], v[16:17], v[14:15]
	v_mov_b32_e32 v35, v1
	v_add_u32_e32 v0, s15, v34
	s_mul_i32 s12, s3, 0xffffff4e
	s_waitcnt vmcnt(12)
	v_add_f64 v[16:17], v[38:39], -v[36:37]
	v_add_f64 v[14:15], v[14:15], v[16:17]
	v_lshlrev_b64 v[36:37], 3, v[34:35]
	v_lshlrev_b64 v[34:35], 3, v[0:1]
	v_add_u32_e32 v0, s12, v0
	global_load_dwordx2 v[24:25], v[24:25], off
	v_lshl_add_u64 v[28:29], s[4:5], 0, v[26:27]
	s_waitcnt vmcnt(11)
	v_add_f64 v[16:17], v[42:43], -v[40:41]
	v_add_f64 v[14:15], v[14:15], v[16:17]
	v_lshl_add_u64 v[42:43], v[0:1], 3, s[8:9]
	global_load_dwordx2 v[22:23], v[22:23], off
	v_lshl_add_u64 v[26:27], s[6:7], 0, v[26:27]
	s_waitcnt vmcnt(10)
	v_add_f64 v[16:17], v[46:47], -v[44:45]
	v_mad_u64_u32 v[44:45], s[12:13], s3, 33, v[0:1]
	v_mov_b32_e32 v45, v1
	v_add_f64 v[14:15], v[14:15], v[16:17]
	v_lshlrev_b64 v[46:47], 3, v[44:45]
	v_add_u32_e32 v0, s14, v44
	s_waitcnt vmcnt(8)
	v_add_f64 v[16:17], v[52:53], -v[50:51]
	v_add_f64 v[14:15], v[14:15], v[16:17]
	v_lshlrev_b64 v[44:45], 3, v[0:1]
	s_mul_i32 s12, s3, 0x49
	v_lshl_add_u64 v[50:51], s[4:5], 0, v[44:45]
	s_waitcnt vmcnt(6)
	v_add_f64 v[16:17], v[54:55], -v[48:49]
	v_lshl_add_u64 v[48:49], s[4:5], 0, v[46:47]
	v_lshl_add_u64 v[46:47], s[6:7], 0, v[46:47]
	global_load_dwordx2 v[48:49], v[48:49], off
	v_lshl_add_u64 v[44:45], s[6:7], 0, v[44:45]
	global_load_dwordx2 v[46:47], v[46:47], off
	v_add_u32_e32 v0, s12, v0
	global_load_dwordx2 v[28:29], v[28:29], off
	v_lshl_add_u64 v[32:33], s[4:5], 0, v[30:31]
	global_load_dwordx2 v[26:27], v[26:27], off
	v_lshl_add_u64 v[30:31], s[6:7], 0, v[30:31]
	global_load_dwordx2 v[50:51], v[50:51], off
	v_lshlrev_b64 v[52:53], 3, v[0:1]
	global_load_dwordx2 v[44:45], v[44:45], off
	v_add_u32_e32 v0, s2, v0
	v_add_f64 v[14:15], v[14:15], v[16:17]
	s_waitcnt vmcnt(10)
	v_add_f64 v[16:17], v[58:59], -v[56:57]
	global_load_dwordx2 v[32:33], v[32:33], off
	v_lshl_add_u64 v[38:39], s[4:5], 0, v[36:37]
	global_load_dwordx2 v[30:31], v[30:31], off
	v_lshl_add_u64 v[36:37], s[6:7], 0, v[36:37]
	v_lshl_add_u64 v[54:55], s[4:5], 0, v[52:53]
	;; [unrolled: 1-line block ×3, first 2 shown]
	v_lshlrev_b64 v[56:57], 3, v[0:1]
	global_load_dwordx2 v[38:39], v[38:39], off
	v_lshl_add_u64 v[40:41], s[4:5], 0, v[34:35]
	global_load_dwordx2 v[36:37], v[36:37], off
	v_lshl_add_u64 v[34:35], s[6:7], 0, v[34:35]
	;; [unrolled: 2-line block ×4, first 2 shown]
	global_load_dwordx2 v[40:41], v[40:41], off
	v_add_f64 v[14:15], v[14:15], v[16:17]
	global_load_dwordx2 v[34:35], v[34:35], off
	s_load_dwordx4 s[4:7], s[0:1], 0x50
	global_load_dwordx2 v[58:59], v[58:59], off
	s_mulk_i32 s3, 0xff8a
	global_load_dwordx2 v[56:57], v[56:57], off
	v_add_u32_e32 v0, s3, v0
	v_lshl_add_u64 v[0:1], v[0:1], 3, s[8:9]
	s_waitcnt vmcnt(18)
	v_add_f64 v[16:17], v[20:21], -v[18:19]
	v_add_f64 v[14:15], v[14:15], v[16:17]
	s_waitcnt vmcnt(16)
	v_add_f64 v[16:17], v[24:25], -v[22:23]
	v_add_f64 v[14:15], v[14:15], v[16:17]
	;; [unrolled: 3-line block ×5, first 2 shown]
	v_add_f64 v[2:3], v[2:3], -v[12:13]
	s_waitcnt vmcnt(8)
	v_add_f64 v[16:17], v[32:33], -v[30:31]
	v_add_f64 v[14:15], v[14:15], v[16:17]
	s_waitcnt vmcnt(6)
	v_add_f64 v[16:17], v[38:39], -v[36:37]
	v_add_f64 v[14:15], v[14:15], v[16:17]
	s_waitcnt vmcnt(4)
	v_add_f64 v[4:5], v[54:55], -v[52:53]
	v_add_f64 v[2:3], v[2:3], v[4:5]
	s_waitcnt vmcnt(2)
	v_add_f64 v[16:17], v[40:41], -v[34:35]
	v_add_f64 v[14:15], v[14:15], v[16:17]
	v_mul_f64 v[14:15], s[10:11], v[14:15]
	s_waitcnt lgkmcnt(0)
	v_mul_f64 v[14:15], s[4:5], v[14:15]
	s_waitcnt vmcnt(0)
	v_add_f64 v[4:5], v[58:59], -v[56:57]
	v_add_f64 v[2:3], v[2:3], v[4:5]
	v_mul_f64 v[2:3], s[10:11], v[2:3]
	v_mul_f64 v[2:3], s[6:7], v[2:3]
	global_store_dwordx2 v[42:43], v[14:15], off
	global_store_dwordx2 v[0:1], v[2:3], off
	s_endpgm
	.section	.rodata,"a",@progbits
	.p2align	6, 0x0
	.amdhsa_kernel _Z14rdwdot6_kernelIdEvPKT_S2_PS0_S0_S2_
		.amdhsa_group_segment_fixed_size 0
		.amdhsa_private_segment_fixed_size 0
		.amdhsa_kernarg_size 296
		.amdhsa_user_sgpr_count 2
		.amdhsa_user_sgpr_dispatch_ptr 0
		.amdhsa_user_sgpr_queue_ptr 0
		.amdhsa_user_sgpr_kernarg_segment_ptr 1
		.amdhsa_user_sgpr_dispatch_id 0
		.amdhsa_user_sgpr_kernarg_preload_length 0
		.amdhsa_user_sgpr_kernarg_preload_offset 0
		.amdhsa_user_sgpr_private_segment_size 0
		.amdhsa_uses_dynamic_stack 0
		.amdhsa_enable_private_segment 0
		.amdhsa_system_sgpr_workgroup_id_x 1
		.amdhsa_system_sgpr_workgroup_id_y 0
		.amdhsa_system_sgpr_workgroup_id_z 0
		.amdhsa_system_sgpr_workgroup_info 0
		.amdhsa_system_vgpr_workitem_id 0
		.amdhsa_next_free_vgpr 60
		.amdhsa_next_free_sgpr 17
		.amdhsa_accum_offset 60
		.amdhsa_reserve_vcc 0
		.amdhsa_float_round_mode_32 0
		.amdhsa_float_round_mode_16_64 0
		.amdhsa_float_denorm_mode_32 3
		.amdhsa_float_denorm_mode_16_64 3
		.amdhsa_dx10_clamp 1
		.amdhsa_ieee_mode 1
		.amdhsa_fp16_overflow 0
		.amdhsa_tg_split 0
		.amdhsa_exception_fp_ieee_invalid_op 0
		.amdhsa_exception_fp_denorm_src 0
		.amdhsa_exception_fp_ieee_div_zero 0
		.amdhsa_exception_fp_ieee_overflow 0
		.amdhsa_exception_fp_ieee_underflow 0
		.amdhsa_exception_fp_ieee_inexact 0
		.amdhsa_exception_int_div_zero 0
	.end_amdhsa_kernel
	.section	.text._Z14rdwdot6_kernelIdEvPKT_S2_PS0_S0_S2_,"axG",@progbits,_Z14rdwdot6_kernelIdEvPKT_S2_PS0_S0_S2_,comdat
.Lfunc_end49:
	.size	_Z14rdwdot6_kernelIdEvPKT_S2_PS0_S0_S2_, .Lfunc_end49-_Z14rdwdot6_kernelIdEvPKT_S2_PS0_S0_S2_
                                        ; -- End function
	.set _Z14rdwdot6_kernelIdEvPKT_S2_PS0_S0_S2_.num_vgpr, 60
	.set _Z14rdwdot6_kernelIdEvPKT_S2_PS0_S0_S2_.num_agpr, 0
	.set _Z14rdwdot6_kernelIdEvPKT_S2_PS0_S0_S2_.numbered_sgpr, 17
	.set _Z14rdwdot6_kernelIdEvPKT_S2_PS0_S0_S2_.num_named_barrier, 0
	.set _Z14rdwdot6_kernelIdEvPKT_S2_PS0_S0_S2_.private_seg_size, 0
	.set _Z14rdwdot6_kernelIdEvPKT_S2_PS0_S0_S2_.uses_vcc, 0
	.set _Z14rdwdot6_kernelIdEvPKT_S2_PS0_S0_S2_.uses_flat_scratch, 0
	.set _Z14rdwdot6_kernelIdEvPKT_S2_PS0_S0_S2_.has_dyn_sized_stack, 0
	.set _Z14rdwdot6_kernelIdEvPKT_S2_PS0_S0_S2_.has_recursion, 0
	.set _Z14rdwdot6_kernelIdEvPKT_S2_PS0_S0_S2_.has_indirect_call, 0
	.section	.AMDGPU.csdata,"",@progbits
; Kernel info:
; codeLenInByte = 2984
; TotalNumSgprs: 23
; NumVgprs: 60
; NumAgprs: 0
; TotalNumVgprs: 60
; ScratchSize: 0
; MemoryBound: 0
; FloatMode: 240
; IeeeMode: 1
; LDSByteSize: 0 bytes/workgroup (compile time only)
; SGPRBlocks: 2
; VGPRBlocks: 7
; NumSGPRsForWavesPerEU: 23
; NumVGPRsForWavesPerEU: 60
; AccumOffset: 60
; Occupancy: 8
; WaveLimiterHint : 0
; COMPUTE_PGM_RSRC2:SCRATCH_EN: 0
; COMPUTE_PGM_RSRC2:USER_SGPR: 2
; COMPUTE_PGM_RSRC2:TRAP_HANDLER: 0
; COMPUTE_PGM_RSRC2:TGID_X_EN: 1
; COMPUTE_PGM_RSRC2:TGID_Y_EN: 0
; COMPUTE_PGM_RSRC2:TGID_Z_EN: 0
; COMPUTE_PGM_RSRC2:TIDIG_COMP_CNT: 0
; COMPUTE_PGM_RSRC3_GFX90A:ACCUM_OFFSET: 14
; COMPUTE_PGM_RSRC3_GFX90A:TG_SPLIT: 0
	.section	.text._Z14rdwdot7_kernelIdEvPKT_S2_PS0_S0_S2_,"axG",@progbits,_Z14rdwdot7_kernelIdEvPKT_S2_PS0_S0_S2_,comdat
	.protected	_Z14rdwdot7_kernelIdEvPKT_S2_PS0_S0_S2_ ; -- Begin function _Z14rdwdot7_kernelIdEvPKT_S2_PS0_S0_S2_
	.globl	_Z14rdwdot7_kernelIdEvPKT_S2_PS0_S0_S2_
	.p2align	8
	.type	_Z14rdwdot7_kernelIdEvPKT_S2_PS0_S0_S2_,@function
_Z14rdwdot7_kernelIdEvPKT_S2_PS0_S0_S2_: ; @_Z14rdwdot7_kernelIdEvPKT_S2_PS0_S0_S2_
; %bb.0:
	s_load_dword s3, s[0:1], 0x34
	s_load_dword s12, s[0:1], 0x28
	s_load_dwordx8 s[4:11], s[0:1], 0x0
	v_mov_b32_e32 v1, 0
	s_load_dwordx2 s[0:1], s[0:1], 0x20
	s_waitcnt lgkmcnt(0)
	s_and_b32 s13, s3, 0xffff
	s_mul_i32 s3, s12, s13
	s_mul_i32 s12, s3, 47
	;; [unrolled: 1-line block ×3, first 2 shown]
	s_add_i32 s12, s12, s2
	v_add_u32_e32 v0, s12, v0
	v_lshlrev_b64 v[4:5], 3, v[0:1]
	v_add_u32_e32 v0, s3, v0
	v_lshlrev_b64 v[6:7], 3, v[0:1]
	v_lshl_add_u64 v[2:3], s[4:5], 0, v[4:5]
	v_lshl_add_u64 v[4:5], s[6:7], 0, v[4:5]
	;; [unrolled: 1-line block ×4, first 2 shown]
	global_load_dwordx2 v[4:5], v[4:5], off
	s_lshl_b32 s2, s3, 1
	global_load_dwordx2 v[12:13], v[6:7], off
	v_mad_u64_u32 v[6:7], s[12:13], s3, 15, v[0:1]
	v_mov_b32_e32 v7, v1
	global_load_dwordx2 v[10:11], v[8:9], off
	v_lshlrev_b64 v[8:9], 3, v[6:7]
	v_mad_u64_u32 v[6:7], s[12:13], s3, 14, v[6:7]
	v_lshl_add_u64 v[14:15], s[4:5], 0, v[8:9]
	v_lshl_add_u64 v[8:9], s[6:7], 0, v[8:9]
	v_mov_b32_e32 v7, v1
	global_load_dwordx2 v[2:3], v[2:3], off
	v_add_u32_e32 v0, s3, v6
	global_load_dwordx2 v[16:17], v[8:9], off
	v_lshlrev_b64 v[8:9], 3, v[6:7]
	global_load_dwordx2 v[14:15], v[14:15], off
	v_lshl_add_u64 v[18:19], s[4:5], 0, v[8:9]
	v_lshl_add_u64 v[8:9], s[6:7], 0, v[8:9]
	v_lshlrev_b64 v[6:7], 3, v[0:1]
	global_load_dwordx2 v[22:23], v[18:19], off
	global_load_dwordx2 v[24:25], v[8:9], off
	v_lshl_add_u64 v[8:9], s[4:5], 0, v[6:7]
	v_lshl_add_u64 v[6:7], s[6:7], 0, v[6:7]
	global_load_dwordx2 v[26:27], v[8:9], off
	global_load_dwordx2 v[28:29], v[6:7], off
	v_add_u32_e32 v0, s3, v0
	v_lshlrev_b64 v[6:7], 3, v[0:1]
	v_lshl_add_u64 v[8:9], s[4:5], 0, v[6:7]
	v_lshl_add_u64 v[6:7], s[6:7], 0, v[6:7]
	global_load_dwordx2 v[30:31], v[8:9], off
	global_load_dwordx2 v[32:33], v[6:7], off
	v_add_u32_e32 v0, s3, v0
	v_lshlrev_b64 v[6:7], 3, v[0:1]
	v_add_u32_e32 v0, s3, v0
	v_lshl_add_u64 v[18:19], s[4:5], 0, v[6:7]
	v_lshlrev_b64 v[34:35], 3, v[0:1]
	v_add_u32_e32 v0, s3, v0
	v_lshl_add_u64 v[20:21], s[6:7], 0, v[6:7]
	global_load_dwordx2 v[6:7], v[18:19], off
	global_load_dwordx2 v[8:9], v[20:21], off
	v_lshl_add_u64 v[36:37], s[4:5], 0, v[34:35]
	v_lshl_add_u64 v[34:35], s[6:7], 0, v[34:35]
	v_lshlrev_b64 v[38:39], 3, v[0:1]
	v_add_u32_e32 v0, s3, v0
	global_load_dwordx2 v[18:19], v[36:37], off
	global_load_dwordx2 v[20:21], v[34:35], off
	v_lshl_add_u64 v[34:35], s[4:5], 0, v[38:39]
	v_lshl_add_u64 v[36:37], s[6:7], 0, v[38:39]
	v_lshlrev_b64 v[38:39], 3, v[0:1]
	v_add_u32_e32 v0, s3, v0
	;; [unrolled: 6-line block ×5, first 2 shown]
	global_load_dwordx2 v[52:53], v[34:35], off
	global_load_dwordx2 v[54:55], v[36:37], off
	v_lshl_add_u64 v[34:35], s[4:5], 0, v[38:39]
	s_mul_i32 s12, s3, 5
	s_mul_i32 s13, s3, 7
	s_waitcnt vmcnt(20)
	v_add_f64 v[2:3], v[2:3], -v[4:5]
	v_add_f64 v[4:5], v[10:11], -v[12:13]
	v_add_f64 v[2:3], v[2:3], v[4:5]
	s_waitcnt vmcnt(18)
	v_add_f64 v[4:5], v[14:15], -v[16:17]
	v_add_f64 v[4:5], v[2:3], v[4:5]
	v_lshl_add_u64 v[14:15], s[6:7], 0, v[38:39]
	v_lshlrev_b64 v[16:17], 3, v[0:1]
	global_load_dwordx2 v[14:15], v[14:15], off
	s_waitcnt vmcnt(17)
	v_add_f64 v[2:3], v[22:23], -v[24:25]
	v_add_f64 v[4:5], v[4:5], -v[2:3]
	v_lshl_add_u64 v[22:23], s[4:5], 0, v[16:17]
	v_lshl_add_u64 v[16:17], s[6:7], 0, v[16:17]
	s_waitcnt vmcnt(15)
	v_add_f64 v[10:11], v[26:27], -v[28:29]
	v_add_f64 v[4:5], v[4:5], -v[10:11]
	global_load_dwordx2 v[10:11], v[34:35], off
	v_add_u32_e32 v0, s3, v0
	global_load_dwordx2 v[22:23], v[22:23], off
	v_lshlrev_b64 v[24:25], 3, v[0:1]
	global_load_dwordx2 v[16:17], v[16:17], off
	v_add_u32_e32 v0, s3, v0
	v_lshl_add_u64 v[26:27], s[4:5], 0, v[24:25]
	v_lshl_add_u64 v[24:25], s[6:7], 0, v[24:25]
	v_lshlrev_b64 v[28:29], 3, v[0:1]
	v_add_u32_e32 v0, s3, v0
	s_waitcnt vmcnt(16)
	v_add_f64 v[12:13], v[30:31], -v[32:33]
	global_load_dwordx2 v[26:27], v[26:27], off
	v_lshl_add_u64 v[30:31], s[4:5], 0, v[28:29]
	global_load_dwordx2 v[24:25], v[24:25], off
	v_lshl_add_u64 v[28:29], s[6:7], 0, v[28:29]
	v_lshlrev_b64 v[32:33], 3, v[0:1]
	v_add_u32_e32 v0, s3, v0
	global_load_dwordx2 v[30:31], v[30:31], off
	v_lshl_add_u64 v[34:35], s[4:5], 0, v[32:33]
	global_load_dwordx2 v[28:29], v[28:29], off
	v_lshl_add_u64 v[32:33], s[6:7], 0, v[32:33]
	v_lshlrev_b64 v[36:37], 3, v[0:1]
	global_load_dwordx2 v[34:35], v[34:35], off
	v_lshl_add_u64 v[38:39], s[4:5], 0, v[36:37]
	global_load_dwordx2 v[32:33], v[32:33], off
	v_lshl_add_u64 v[36:37], s[6:7], 0, v[36:37]
	global_load_dwordx2 v[38:39], v[38:39], off
	v_add_u32_e32 v0, s3, v0
	global_load_dwordx2 v[36:37], v[36:37], off
	v_lshlrev_b64 v[56:57], 3, v[0:1]
	v_lshl_add_u64 v[58:59], s[4:5], 0, v[56:57]
	v_lshl_add_u64 v[56:57], s[6:7], 0, v[56:57]
	global_load_dwordx2 v[58:59], v[58:59], off
	v_add_f64 v[4:5], v[4:5], -v[12:13]
	global_load_dwordx2 v[56:57], v[56:57], off
	s_waitcnt vmcnt(24)
	v_add_f64 v[6:7], v[6:7], -v[8:9]
	v_add_f64 v[4:5], v[4:5], -v[6:7]
	s_waitcnt vmcnt(22)
	v_add_f64 v[6:7], v[18:19], -v[20:21]
	v_add_f64 v[4:5], v[4:5], -v[6:7]
	;; [unrolled: 3-line block ×6, first 2 shown]
	v_add_u32_e32 v0, s3, v0
	v_add_f64 v[2:3], v[2:3], v[4:5]
	v_add_f64 v[2:3], v[2:3], v[6:7]
	s_waitcnt vmcnt(12)
	v_add_f64 v[10:11], v[10:11], -v[14:15]
	v_add_f64 v[10:11], v[8:9], -v[10:11]
	s_waitcnt vmcnt(10)
	v_add_f64 v[8:9], v[22:23], -v[16:17]
	v_lshlrev_b64 v[16:17], 3, v[0:1]
	v_lshl_add_u64 v[18:19], s[4:5], 0, v[16:17]
	v_lshl_add_u64 v[16:17], s[6:7], 0, v[16:17]
	v_add_u32_e32 v0, s3, v0
	global_load_dwordx2 v[18:19], v[18:19], off
	v_lshlrev_b64 v[20:21], 3, v[0:1]
	global_load_dwordx2 v[16:17], v[16:17], off
	v_add_u32_e32 v0, s2, v0
	v_add_f64 v[10:11], v[10:11], -v[8:9]
	s_waitcnt vmcnt(10)
	v_add_f64 v[12:13], v[26:27], -v[24:25]
	v_lshl_add_u64 v[22:23], s[4:5], 0, v[20:21]
	v_lshl_add_u64 v[20:21], s[6:7], 0, v[20:21]
	v_lshlrev_b64 v[24:25], 3, v[0:1]
	v_add_u32_e32 v0, s12, v0
	v_add_f64 v[12:13], v[10:11], -v[12:13]
	s_waitcnt vmcnt(8)
	v_add_f64 v[10:11], v[30:31], -v[28:29]
	global_load_dwordx2 v[22:23], v[22:23], off
	v_lshl_add_u64 v[26:27], s[4:5], 0, v[24:25]
	global_load_dwordx2 v[20:21], v[20:21], off
	v_lshl_add_u64 v[24:25], s[6:7], 0, v[24:25]
	v_lshlrev_b64 v[28:29], 3, v[0:1]
	v_add_u32_e32 v0, s3, v0
	v_add_f64 v[12:13], v[12:13], -v[10:11]
	s_waitcnt vmcnt(8)
	v_add_f64 v[14:15], v[34:35], -v[32:33]
	global_load_dwordx2 v[26:27], v[26:27], off
	v_lshl_add_u64 v[30:31], s[4:5], 0, v[28:29]
	global_load_dwordx2 v[24:25], v[24:25], off
	;; [unrolled: 9-line block ×3, first 2 shown]
	v_lshl_add_u64 v[32:33], s[6:7], 0, v[32:33]
	v_lshlrev_b64 v[36:37], 3, v[0:1]
	v_add_u32_e32 v0, s2, v0
	global_load_dwordx2 v[34:35], v[34:35], off
	v_lshl_add_u64 v[38:39], s[4:5], 0, v[36:37]
	global_load_dwordx2 v[32:33], v[32:33], off
	v_lshl_add_u64 v[36:37], s[6:7], 0, v[36:37]
	v_lshlrev_b64 v[40:41], 3, v[0:1]
	global_load_dwordx2 v[38:39], v[38:39], off
	v_lshl_add_u64 v[42:43], s[4:5], 0, v[40:41]
	global_load_dwordx2 v[36:37], v[36:37], off
	v_lshl_add_u64 v[40:41], s[6:7], 0, v[40:41]
	v_add_u32_e32 v0, s3, v0
	global_load_dwordx2 v[42:43], v[42:43], off
	v_lshlrev_b64 v[44:45], 3, v[0:1]
	global_load_dwordx2 v[40:41], v[40:41], off
	v_mad_u64_u32 v[48:49], s[14:15], s3, 12, v[0:1]
	v_lshl_add_u64 v[46:47], s[4:5], 0, v[44:45]
	v_lshl_add_u64 v[44:45], s[6:7], 0, v[44:45]
	v_mov_b32_e32 v49, v1
	global_load_dwordx2 v[46:47], v[46:47], off
	v_lshlrev_b64 v[50:51], 3, v[48:49]
	global_load_dwordx2 v[44:45], v[44:45], off
	v_add_u32_e32 v0, s2, v48
	v_lshl_add_u64 v[52:53], s[4:5], 0, v[50:51]
	v_lshl_add_u64 v[50:51], s[6:7], 0, v[50:51]
	v_lshlrev_b64 v[48:49], 3, v[0:1]
	global_load_dwordx2 v[52:53], v[52:53], off
	v_lshl_add_u64 v[54:55], s[4:5], 0, v[48:49]
	global_load_dwordx2 v[50:51], v[50:51], off
	v_lshl_add_u64 v[48:49], s[6:7], 0, v[48:49]
	global_load_dwordx2 v[54:55], v[54:55], off
	v_add_u32_e32 v0, s13, v0
	global_load_dwordx2 v[48:49], v[48:49], off
	v_add_f64 v[12:13], v[12:13], -v[14:15]
	s_waitcnt vmcnt(20)
	v_add_f64 v[14:15], v[58:59], -v[56:57]
	v_lshlrev_b64 v[56:57], 3, v[0:1]
	v_lshl_add_u64 v[58:59], s[4:5], 0, v[56:57]
	v_lshl_add_u64 v[56:57], s[6:7], 0, v[56:57]
	global_load_dwordx2 v[58:59], v[58:59], off
	v_add_f64 v[12:13], v[12:13], -v[14:15]
	global_load_dwordx2 v[56:57], v[56:57], off
	v_add_f64 v[12:13], v[12:13], -v[14:15]
	s_lshl_b32 s14, s3, 3
	v_add_u32_e32 v0, s14, v0
	v_add_f64 v[2:3], v[2:3], v[8:9]
	v_add_f64 v[2:3], v[2:3], v[10:11]
	s_waitcnt vmcnt(20)
	v_add_f64 v[14:15], v[18:19], -v[16:17]
	v_add_f64 v[12:13], v[12:13], -v[14:15]
	;; [unrolled: 1-line block ×3, first 2 shown]
	s_waitcnt vmcnt(18)
	v_add_f64 v[14:15], v[22:23], -v[20:21]
	v_add_f64 v[12:13], v[12:13], -v[14:15]
	s_waitcnt vmcnt(16)
	v_add_f64 v[14:15], v[26:27], -v[24:25]
	v_lshlrev_b64 v[26:27], 3, v[0:1]
	v_add_u32_e32 v0, s14, v0
	v_add_f64 v[14:15], v[12:13], v[14:15]
	s_waitcnt vmcnt(14)
	v_add_f64 v[12:13], v[30:31], -v[28:29]
	v_lshl_add_u64 v[28:29], s[4:5], 0, v[26:27]
	v_lshl_add_u64 v[26:27], s[6:7], 0, v[26:27]
	v_lshlrev_b64 v[30:31], 3, v[0:1]
	v_add_f64 v[16:17], v[14:15], v[12:13]
	global_load_dwordx2 v[28:29], v[28:29], off
	s_waitcnt vmcnt(13)
	v_add_f64 v[14:15], v[34:35], -v[32:33]
	global_load_dwordx2 v[26:27], v[26:27], off
	v_lshl_add_u64 v[32:33], s[4:5], 0, v[30:31]
	v_lshl_add_u64 v[30:31], s[6:7], 0, v[30:31]
	v_add_u32_e32 v0, s3, v0
	v_add_f64 v[16:17], v[16:17], v[14:15]
	s_waitcnt vmcnt(12)
	v_add_f64 v[18:19], v[38:39], -v[36:37]
	global_load_dwordx2 v[32:33], v[32:33], off
	v_lshlrev_b64 v[34:35], 3, v[0:1]
	global_load_dwordx2 v[30:31], v[30:31], off
	v_add_f64 v[20:21], v[16:17], v[18:19]
	s_waitcnt vmcnt(12)
	v_add_f64 v[16:17], v[42:43], -v[40:41]
	v_lshl_add_u64 v[36:37], s[4:5], 0, v[34:35]
	v_lshl_add_u64 v[34:35], s[6:7], 0, v[34:35]
	v_add_u32_e32 v0, s3, v0
	v_add_f64 v[20:21], v[20:21], v[16:17]
	global_load_dwordx2 v[36:37], v[36:37], off
	v_lshlrev_b64 v[38:39], 3, v[0:1]
	global_load_dwordx2 v[34:35], v[34:35], off
	v_add_f64 v[22:23], v[16:17], v[20:21]
	s_waitcnt vmcnt(12)
	v_add_f64 v[20:21], v[46:47], -v[44:45]
	v_lshl_add_u64 v[40:41], s[4:5], 0, v[38:39]
	v_lshl_add_u64 v[38:39], s[6:7], 0, v[38:39]
	v_add_u32_e32 v0, s3, v0
	v_add_f64 v[22:23], v[22:23], v[20:21]
	global_load_dwordx2 v[40:41], v[40:41], off
	v_lshlrev_b64 v[42:43], 3, v[0:1]
	global_load_dwordx2 v[38:39], v[38:39], off
	v_add_u32_e32 v0, s2, v0
	v_add_f64 v[22:23], v[20:21], v[22:23]
	s_waitcnt vmcnt(12)
	v_add_f64 v[24:25], v[52:53], -v[50:51]
	v_lshl_add_u64 v[44:45], s[4:5], 0, v[42:43]
	v_lshl_add_u64 v[42:43], s[6:7], 0, v[42:43]
	v_lshlrev_b64 v[46:47], 3, v[0:1]
	v_add_f64 v[22:23], v[22:23], v[24:25]
	s_waitcnt vmcnt(10)
	v_add_f64 v[24:25], v[54:55], -v[48:49]
	global_load_dwordx2 v[44:45], v[44:45], off
	v_lshl_add_u64 v[48:49], s[4:5], 0, v[46:47]
	global_load_dwordx2 v[42:43], v[42:43], off
	v_lshl_add_u64 v[46:47], s[6:7], 0, v[46:47]
	global_load_dwordx2 v[48:49], v[48:49], off
	v_mad_u64_u32 v[50:51], s[14:15], s3, 10, v[0:1]
	global_load_dwordx2 v[46:47], v[46:47], off
	v_mov_b32_e32 v51, v1
	v_lshlrev_b64 v[52:53], 3, v[50:51]
	v_lshl_add_u64 v[54:55], s[4:5], 0, v[52:53]
	v_lshl_add_u64 v[52:53], s[6:7], 0, v[52:53]
	v_mad_u64_u32 v[50:51], s[14:15], s3, 9, v[50:51]
	global_load_dwordx2 v[54:55], v[54:55], off
	v_mov_b32_e32 v51, v1
	global_load_dwordx2 v[52:53], v[52:53], off
	v_add_f64 v[22:23], v[22:23], -v[24:25]
	s_waitcnt vmcnt(14)
	v_add_f64 v[24:25], v[58:59], -v[56:57]
	v_lshlrev_b64 v[56:57], 3, v[50:51]
	v_lshl_add_u64 v[58:59], s[4:5], 0, v[56:57]
	v_lshl_add_u64 v[56:57], s[6:7], 0, v[56:57]
	global_load_dwordx2 v[58:59], v[58:59], off
	v_add_f64 v[22:23], v[22:23], v[24:25]
	global_load_dwordx2 v[56:57], v[56:57], off
	v_add_u32_e32 v0, s3, v50
	v_add_f64 v[2:3], v[2:3], -v[12:13]
	v_add_f64 v[2:3], v[2:3], -v[14:15]
	;; [unrolled: 1-line block ×3, first 2 shown]
	s_waitcnt vmcnt(14)
	v_add_f64 v[24:25], v[28:29], -v[26:27]
	v_add_f64 v[24:25], v[22:23], v[24:25]
	v_lshlrev_b64 v[28:29], 3, v[0:1]
	s_waitcnt vmcnt(12)
	v_add_f64 v[22:23], v[32:33], -v[30:31]
	v_mad_u64_u32 v[32:33], s[14:15], s3, 3, v[0:1]
	v_mov_b32_e32 v33, v1
	v_lshl_add_u64 v[30:31], s[4:5], 0, v[28:29]
	v_lshl_add_u64 v[28:29], s[6:7], 0, v[28:29]
	v_add_u32_e32 v0, s12, v32
	v_add_f64 v[24:25], v[24:25], -v[22:23]
	global_load_dwordx2 v[30:31], v[30:31], off
	s_waitcnt vmcnt(11)
	v_add_f64 v[26:27], v[36:37], -v[34:35]
	v_lshlrev_b64 v[34:35], 3, v[32:33]
	global_load_dwordx2 v[28:29], v[28:29], off
	v_lshl_add_u64 v[36:37], s[4:5], 0, v[34:35]
	v_lshl_add_u64 v[34:35], s[6:7], 0, v[34:35]
	v_lshlrev_b64 v[32:33], 3, v[0:1]
	s_mul_i32 s14, s3, 6
	v_add_f64 v[24:25], v[24:25], -v[26:27]
	global_load_dwordx2 v[36:37], v[36:37], off
	s_waitcnt vmcnt(11)
	v_add_f64 v[26:27], v[40:41], -v[38:39]
	global_load_dwordx2 v[34:35], v[34:35], off
	v_lshl_add_u64 v[38:39], s[4:5], 0, v[32:33]
	v_lshl_add_u64 v[32:33], s[6:7], 0, v[32:33]
	v_add_u32_e32 v0, s14, v0
	global_load_dwordx2 v[38:39], v[38:39], off
	v_lshlrev_b64 v[40:41], 3, v[0:1]
	global_load_dwordx2 v[32:33], v[32:33], off
	v_add_u32_e32 v0, s3, v0
	v_add_f64 v[24:25], v[24:25], -v[26:27]
	s_waitcnt vmcnt(12)
	v_add_f64 v[26:27], v[44:45], -v[42:43]
	v_lshl_add_u64 v[42:43], s[4:5], 0, v[40:41]
	v_lshl_add_u64 v[40:41], s[6:7], 0, v[40:41]
	v_lshlrev_b64 v[44:45], 3, v[0:1]
	v_add_f64 v[24:25], v[24:25], v[26:27]
	s_waitcnt vmcnt(10)
	v_add_f64 v[26:27], v[48:49], -v[46:47]
	global_load_dwordx2 v[42:43], v[42:43], off
	v_lshl_add_u64 v[46:47], s[4:5], 0, v[44:45]
	global_load_dwordx2 v[40:41], v[40:41], off
	v_lshl_add_u64 v[44:45], s[6:7], 0, v[44:45]
	v_add_u32_e32 v0, s13, v0
	global_load_dwordx2 v[46:47], v[46:47], off
	v_lshlrev_b64 v[48:49], 3, v[0:1]
	global_load_dwordx2 v[44:45], v[44:45], off
	v_lshl_add_u64 v[50:51], s[4:5], 0, v[48:49]
	v_lshl_add_u64 v[48:49], s[6:7], 0, v[48:49]
	global_load_dwordx2 v[50:51], v[50:51], off
	v_add_u32_e32 v0, s2, v0
	global_load_dwordx2 v[48:49], v[48:49], off
	v_add_f64 v[24:25], v[24:25], v[26:27]
	s_waitcnt vmcnt(14)
	v_add_f64 v[26:27], v[54:55], -v[52:53]
	v_lshlrev_b64 v[52:53], 3, v[0:1]
	v_lshl_add_u64 v[54:55], s[4:5], 0, v[52:53]
	v_lshl_add_u64 v[52:53], s[6:7], 0, v[52:53]
	global_load_dwordx2 v[54:55], v[54:55], off
	v_add_u32_e32 v0, s12, v0
	global_load_dwordx2 v[52:53], v[52:53], off
	v_add_f64 v[26:27], v[24:25], v[26:27]
	s_waitcnt vmcnt(14)
	v_add_f64 v[24:25], v[58:59], -v[56:57]
	v_lshlrev_b64 v[56:57], 3, v[0:1]
	v_lshl_add_u64 v[58:59], s[4:5], 0, v[56:57]
	v_lshl_add_u64 v[56:57], s[6:7], 0, v[56:57]
	global_load_dwordx2 v[58:59], v[58:59], off
	v_add_f64 v[26:27], v[26:27], -v[24:25]
	global_load_dwordx2 v[56:57], v[56:57], off
	v_add_u32_e32 v0, s3, v0
	s_mul_i32 s2, s3, 0xffffff3b
	s_waitcnt vmcnt(14)
	v_add_f64 v[28:29], v[30:31], -v[28:29]
	v_add_f64 v[26:27], v[26:27], -v[28:29]
	s_waitcnt vmcnt(12)
	v_add_f64 v[28:29], v[36:37], -v[34:35]
	v_add_f64 v[26:27], v[26:27], v[28:29]
	s_waitcnt vmcnt(10)
	v_add_f64 v[28:29], v[38:39], -v[32:33]
	v_lshlrev_b64 v[32:33], 3, v[0:1]
	v_add_u32_e32 v0, s14, v0
	v_lshlrev_b64 v[36:37], 3, v[0:1]
	v_add_u32_e32 v0, s3, v0
	v_add_f64 v[26:27], v[26:27], v[28:29]
	v_lshl_add_u64 v[34:35], s[4:5], 0, v[32:33]
	v_lshl_add_u64 v[32:33], s[6:7], 0, v[32:33]
	global_load_dwordx2 v[34:35], v[34:35], off
	v_lshl_add_u64 v[38:39], s[4:5], 0, v[36:37]
	global_load_dwordx2 v[32:33], v[32:33], off
	v_lshl_add_u64 v[36:37], s[6:7], 0, v[36:37]
	s_waitcnt vmcnt(10)
	v_add_f64 v[28:29], v[42:43], -v[40:41]
	v_lshlrev_b64 v[40:41], 3, v[0:1]
	v_add_u32_e32 v0, s2, v0
	s_mul_i32 s2, s3, 0x60
	v_add_f64 v[26:27], v[26:27], v[28:29]
	s_waitcnt vmcnt(8)
	v_add_f64 v[28:29], v[46:47], -v[44:45]
	v_lshl_add_u64 v[44:45], v[0:1], 3, s[8:9]
	v_add_u32_e32 v0, s2, v0
	v_lshlrev_b64 v[46:47], 3, v[0:1]
	v_add_f64 v[26:27], v[26:27], -v[28:29]
	s_waitcnt vmcnt(6)
	v_add_f64 v[30:31], v[50:51], -v[48:49]
	v_lshl_add_u64 v[48:49], s[4:5], 0, v[46:47]
	v_lshl_add_u64 v[46:47], s[6:7], 0, v[46:47]
	global_load_dwordx2 v[48:49], v[48:49], off
	v_mad_u64_u32 v[50:51], s[12:13], s3, 61, v[0:1]
	global_load_dwordx2 v[46:47], v[46:47], off
	v_mov_b32_e32 v51, v1
	v_add_f64 v[26:27], v[26:27], v[30:31]
	s_waitcnt vmcnt(6)
	v_add_f64 v[30:31], v[54:55], -v[52:53]
	v_lshlrev_b64 v[52:53], 3, v[50:51]
	v_lshl_add_u64 v[54:55], s[4:5], 0, v[52:53]
	v_lshl_add_u64 v[52:53], s[6:7], 0, v[52:53]
	v_mad_u64_u32 v[50:51], s[12:13], s3, 20, v[50:51]
	global_load_dwordx2 v[54:55], v[54:55], off
	v_mov_b32_e32 v51, v1
	global_load_dwordx2 v[52:53], v[52:53], off
	v_add_f64 v[26:27], v[26:27], v[30:31]
	s_waitcnt vmcnt(6)
	v_add_f64 v[30:31], v[58:59], -v[56:57]
	v_lshlrev_b64 v[56:57], 3, v[50:51]
	v_lshl_add_u64 v[58:59], s[4:5], 0, v[56:57]
	v_lshl_add_u64 v[56:57], s[6:7], 0, v[56:57]
	global_load_dwordx2 v[58:59], v[58:59], off
	v_lshl_add_u64 v[42:43], s[4:5], 0, v[40:41]
	global_load_dwordx2 v[56:57], v[56:57], off
	v_lshl_add_u64 v[40:41], s[6:7], 0, v[40:41]
	global_load_dwordx2 v[38:39], v[38:39], off
	v_add_f64 v[26:27], v[26:27], -v[30:31]
	global_load_dwordx2 v[36:37], v[36:37], off
	s_load_dwordx4 s[4:7], s[0:1], 0x40
	global_load_dwordx2 v[42:43], v[42:43], off
	s_mulk_i32 s3, 0xff50
	global_load_dwordx2 v[40:41], v[40:41], off
	v_add_u32_e32 v0, s3, v50
	v_lshl_add_u64 v[0:1], v[0:1], 3, s[8:9]
	s_waitcnt vmcnt(10)
	v_add_f64 v[32:33], v[34:35], -v[32:33]
	v_add_f64 v[26:27], v[26:27], v[32:33]
	s_waitcnt vmcnt(8)
	v_add_f64 v[4:5], v[48:49], -v[46:47]
	v_add_f64 v[2:3], v[2:3], -v[4:5]
	;; [unrolled: 1-line block ×4, first 2 shown]
	v_add_f64 v[2:3], v[22:23], v[2:3]
	s_waitcnt vmcnt(6)
	v_add_f64 v[4:5], v[54:55], -v[52:53]
	v_add_f64 v[2:3], v[4:5], v[2:3]
	v_add_f64 v[2:3], v[24:25], v[2:3]
	;; [unrolled: 1-line block ×3, first 2 shown]
	s_waitcnt vmcnt(4)
	v_add_f64 v[4:5], v[58:59], -v[56:57]
	v_add_f64 v[2:3], v[4:5], v[2:3]
	v_add_f64 v[2:3], v[30:31], v[2:3]
	s_waitcnt vmcnt(2)
	v_add_f64 v[32:33], v[38:39], -v[36:37]
	v_add_f64 v[26:27], v[26:27], -v[32:33]
	v_add_f64 v[2:3], v[32:33], v[2:3]
	v_mul_f64 v[2:3], s[10:11], v[2:3]
	s_waitcnt vmcnt(0)
	v_add_f64 v[34:35], v[42:43], -v[40:41]
	v_add_f64 v[26:27], v[26:27], v[34:35]
	v_mul_f64 v[26:27], s[10:11], v[26:27]
	s_waitcnt lgkmcnt(0)
	v_mul_f64 v[26:27], s[4:5], v[26:27]
	v_mul_f64 v[2:3], s[6:7], v[2:3]
	global_store_dwordx2 v[44:45], v[26:27], off
	global_store_dwordx2 v[0:1], v[2:3], off
	s_endpgm
	.section	.rodata,"a",@progbits
	.p2align	6, 0x0
	.amdhsa_kernel _Z14rdwdot7_kernelIdEvPKT_S2_PS0_S0_S2_
		.amdhsa_group_segment_fixed_size 0
		.amdhsa_private_segment_fixed_size 0
		.amdhsa_kernarg_size 296
		.amdhsa_user_sgpr_count 2
		.amdhsa_user_sgpr_dispatch_ptr 0
		.amdhsa_user_sgpr_queue_ptr 0
		.amdhsa_user_sgpr_kernarg_segment_ptr 1
		.amdhsa_user_sgpr_dispatch_id 0
		.amdhsa_user_sgpr_kernarg_preload_length 0
		.amdhsa_user_sgpr_kernarg_preload_offset 0
		.amdhsa_user_sgpr_private_segment_size 0
		.amdhsa_uses_dynamic_stack 0
		.amdhsa_enable_private_segment 0
		.amdhsa_system_sgpr_workgroup_id_x 1
		.amdhsa_system_sgpr_workgroup_id_y 0
		.amdhsa_system_sgpr_workgroup_id_z 0
		.amdhsa_system_sgpr_workgroup_info 0
		.amdhsa_system_vgpr_workitem_id 0
		.amdhsa_next_free_vgpr 60
		.amdhsa_next_free_sgpr 16
		.amdhsa_accum_offset 60
		.amdhsa_reserve_vcc 0
		.amdhsa_float_round_mode_32 0
		.amdhsa_float_round_mode_16_64 0
		.amdhsa_float_denorm_mode_32 3
		.amdhsa_float_denorm_mode_16_64 3
		.amdhsa_dx10_clamp 1
		.amdhsa_ieee_mode 1
		.amdhsa_fp16_overflow 0
		.amdhsa_tg_split 0
		.amdhsa_exception_fp_ieee_invalid_op 0
		.amdhsa_exception_fp_denorm_src 0
		.amdhsa_exception_fp_ieee_div_zero 0
		.amdhsa_exception_fp_ieee_overflow 0
		.amdhsa_exception_fp_ieee_underflow 0
		.amdhsa_exception_fp_ieee_inexact 0
		.amdhsa_exception_int_div_zero 0
	.end_amdhsa_kernel
	.section	.text._Z14rdwdot7_kernelIdEvPKT_S2_PS0_S0_S2_,"axG",@progbits,_Z14rdwdot7_kernelIdEvPKT_S2_PS0_S0_S2_,comdat
.Lfunc_end50:
	.size	_Z14rdwdot7_kernelIdEvPKT_S2_PS0_S0_S2_, .Lfunc_end50-_Z14rdwdot7_kernelIdEvPKT_S2_PS0_S0_S2_
                                        ; -- End function
	.set _Z14rdwdot7_kernelIdEvPKT_S2_PS0_S0_S2_.num_vgpr, 60
	.set _Z14rdwdot7_kernelIdEvPKT_S2_PS0_S0_S2_.num_agpr, 0
	.set _Z14rdwdot7_kernelIdEvPKT_S2_PS0_S0_S2_.numbered_sgpr, 16
	.set _Z14rdwdot7_kernelIdEvPKT_S2_PS0_S0_S2_.num_named_barrier, 0
	.set _Z14rdwdot7_kernelIdEvPKT_S2_PS0_S0_S2_.private_seg_size, 0
	.set _Z14rdwdot7_kernelIdEvPKT_S2_PS0_S0_S2_.uses_vcc, 0
	.set _Z14rdwdot7_kernelIdEvPKT_S2_PS0_S0_S2_.uses_flat_scratch, 0
	.set _Z14rdwdot7_kernelIdEvPKT_S2_PS0_S0_S2_.has_dyn_sized_stack, 0
	.set _Z14rdwdot7_kernelIdEvPKT_S2_PS0_S0_S2_.has_recursion, 0
	.set _Z14rdwdot7_kernelIdEvPKT_S2_PS0_S0_S2_.has_indirect_call, 0
	.section	.AMDGPU.csdata,"",@progbits
; Kernel info:
; codeLenInByte = 3716
; TotalNumSgprs: 22
; NumVgprs: 60
; NumAgprs: 0
; TotalNumVgprs: 60
; ScratchSize: 0
; MemoryBound: 0
; FloatMode: 240
; IeeeMode: 1
; LDSByteSize: 0 bytes/workgroup (compile time only)
; SGPRBlocks: 2
; VGPRBlocks: 7
; NumSGPRsForWavesPerEU: 22
; NumVGPRsForWavesPerEU: 60
; AccumOffset: 60
; Occupancy: 8
; WaveLimiterHint : 0
; COMPUTE_PGM_RSRC2:SCRATCH_EN: 0
; COMPUTE_PGM_RSRC2:USER_SGPR: 2
; COMPUTE_PGM_RSRC2:TRAP_HANDLER: 0
; COMPUTE_PGM_RSRC2:TGID_X_EN: 1
; COMPUTE_PGM_RSRC2:TGID_Y_EN: 0
; COMPUTE_PGM_RSRC2:TGID_Z_EN: 0
; COMPUTE_PGM_RSRC2:TIDIG_COMP_CNT: 0
; COMPUTE_PGM_RSRC3_GFX90A:ACCUM_OFFSET: 14
; COMPUTE_PGM_RSRC3_GFX90A:TG_SPLIT: 0
	.section	.text._Z14rdwdot8_kernelIdEvPKT_S2_PS0_S0_S2_,"axG",@progbits,_Z14rdwdot8_kernelIdEvPKT_S2_PS0_S0_S2_,comdat
	.protected	_Z14rdwdot8_kernelIdEvPKT_S2_PS0_S0_S2_ ; -- Begin function _Z14rdwdot8_kernelIdEvPKT_S2_PS0_S0_S2_
	.globl	_Z14rdwdot8_kernelIdEvPKT_S2_PS0_S0_S2_
	.p2align	8
	.type	_Z14rdwdot8_kernelIdEvPKT_S2_PS0_S0_S2_,@function
_Z14rdwdot8_kernelIdEvPKT_S2_PS0_S0_S2_: ; @_Z14rdwdot8_kernelIdEvPKT_S2_PS0_S0_S2_
; %bb.0:
	s_load_dword s3, s[0:1], 0x34
	s_load_dword s12, s[0:1], 0x28
	s_load_dwordx8 s[4:11], s[0:1], 0x0
	v_mov_b32_e32 v1, 0
	s_load_dwordx2 s[0:1], s[0:1], 0x20
	s_waitcnt lgkmcnt(0)
	s_and_b32 s13, s3, 0xffff
	s_mul_i32 s3, s12, s13
	s_mul_i32 s12, s3, 11
	;; [unrolled: 1-line block ×3, first 2 shown]
	s_add_i32 s2, s12, s2
	v_add_u32_e32 v0, s2, v0
	v_lshlrev_b64 v[4:5], 3, v[0:1]
	v_add_u32_e32 v0, s3, v0
	v_lshlrev_b64 v[6:7], 3, v[0:1]
	v_lshl_add_u64 v[2:3], s[4:5], 0, v[4:5]
	v_lshl_add_u64 v[4:5], s[6:7], 0, v[4:5]
	;; [unrolled: 1-line block ×4, first 2 shown]
	v_add_u32_e32 v0, s3, v0
	global_load_dwordx2 v[4:5], v[4:5], off
	s_mul_i32 s2, s3, 7
	global_load_dwordx2 v[16:17], v[6:7], off
	v_lshlrev_b64 v[6:7], 3, v[0:1]
	global_load_dwordx2 v[14:15], v[8:9], off
	v_lshl_add_u64 v[8:9], s[4:5], 0, v[6:7]
	v_lshl_add_u64 v[6:7], s[6:7], 0, v[6:7]
	v_add_u32_e32 v0, s3, v0
	global_load_dwordx2 v[20:21], v[6:7], off
	v_lshlrev_b64 v[6:7], 3, v[0:1]
	global_load_dwordx2 v[18:19], v[8:9], off
	v_lshl_add_u64 v[8:9], s[4:5], 0, v[6:7]
	v_lshl_add_u64 v[6:7], s[6:7], 0, v[6:7]
	v_add_u32_e32 v0, s2, v0
	;; [unrolled: 6-line block ×3, first 2 shown]
	global_load_dwordx2 v[28:29], v[6:7], off
	v_lshlrev_b64 v[6:7], 3, v[0:1]
	global_load_dwordx2 v[26:27], v[8:9], off
	v_lshl_add_u64 v[8:9], s[4:5], 0, v[6:7]
	v_lshl_add_u64 v[6:7], s[6:7], 0, v[6:7]
	v_lshl_add_u32 v0, s3, 2, v0
	global_load_dwordx2 v[2:3], v[2:3], off
	s_mul_i32 s13, s3, 3
	global_load_dwordx2 v[32:33], v[6:7], off
	v_lshlrev_b64 v[6:7], 3, v[0:1]
	global_load_dwordx2 v[30:31], v[8:9], off
	v_lshl_add_u64 v[8:9], s[4:5], 0, v[6:7]
	v_lshl_add_u64 v[6:7], s[6:7], 0, v[6:7]
	v_add_u32_e32 v0, s3, v0
	global_load_dwordx2 v[36:37], v[6:7], off
	v_lshlrev_b64 v[6:7], 3, v[0:1]
	global_load_dwordx2 v[34:35], v[8:9], off
	v_lshl_add_u64 v[8:9], s[4:5], 0, v[6:7]
	v_lshl_add_u64 v[6:7], s[6:7], 0, v[6:7]
	global_load_dwordx2 v[38:39], v[8:9], off
	global_load_dwordx2 v[40:41], v[6:7], off
	v_mad_u64_u32 v[6:7], s[14:15], s3, -11, v[0:1]
	v_mov_b32_e32 v7, v1
	v_add_u32_e32 v0, s3, v6
	v_lshlrev_b64 v[6:7], 3, v[6:7]
	v_lshlrev_b64 v[8:9], 3, v[0:1]
	v_add_u32_e32 v0, s3, v0
	v_lshl_add_u64 v[42:43], s[4:5], 0, v[6:7]
	v_lshl_add_u64 v[44:45], s[6:7], 0, v[6:7]
	;; [unrolled: 1-line block ×3, first 2 shown]
	v_lshlrev_b64 v[50:51], 3, v[0:1]
	v_add_u32_e32 v0, s3, v0
	v_lshl_add_u64 v[48:49], s[6:7], 0, v[8:9]
	global_load_dwordx2 v[6:7], v[42:43], off
	global_load_dwordx2 v[10:11], v[44:45], off
	;; [unrolled: 1-line block ×4, first 2 shown]
	v_lshl_add_u64 v[42:43], s[4:5], 0, v[50:51]
	v_lshl_add_u64 v[44:45], s[6:7], 0, v[50:51]
	v_lshlrev_b64 v[46:47], 3, v[0:1]
	v_add_u32_e32 v0, s3, v0
	global_load_dwordx2 v[48:49], v[42:43], off
	global_load_dwordx2 v[50:51], v[44:45], off
	v_lshl_add_u64 v[42:43], s[4:5], 0, v[46:47]
	v_lshl_add_u64 v[44:45], s[6:7], 0, v[46:47]
	v_lshlrev_b64 v[46:47], 3, v[0:1]
	global_load_dwordx2 v[52:53], v[42:43], off
	global_load_dwordx2 v[54:55], v[44:45], off
	v_add_u32_e32 v0, s13, v0
	s_waitcnt vmcnt(14)
	v_add_f64 v[2:3], v[2:3], -v[4:5]
	v_add_f64 v[4:5], v[14:15], -v[16:17]
	v_add_f64 v[2:3], v[2:3], v[4:5]
	v_add_f64 v[4:5], v[18:19], -v[20:21]
	v_add_f64 v[2:3], v[2:3], v[4:5]
	;; [unrolled: 2-line block ×3, first 2 shown]
	v_add_f64 v[2:3], v[26:27], -v[28:29]
	s_waitcnt vmcnt(12)
	v_add_f64 v[4:5], v[30:31], -v[32:33]
	v_add_f64 v[4:5], v[2:3], v[4:5]
	s_waitcnt vmcnt(10)
	v_add_f64 v[2:3], v[34:35], -v[36:37]
	v_lshl_add_u64 v[18:19], s[6:7], 0, v[46:47]
	global_load_dwordx2 v[18:19], v[18:19], off
	v_lshlrev_b64 v[20:21], 3, v[0:1]
	s_waitcnt vmcnt(9)
	v_add_f64 v[16:17], v[38:39], -v[40:41]
	v_add_f64 v[2:3], v[2:3], v[16:17]
	v_lshl_add_u64 v[16:17], s[4:5], 0, v[46:47]
	global_load_dwordx2 v[16:17], v[16:17], off
	v_lshl_add_u32 v0, s3, 1, v0
	v_lshl_add_u64 v[22:23], s[4:5], 0, v[20:21]
	v_lshl_add_u64 v[20:21], s[6:7], 0, v[20:21]
	v_lshlrev_b64 v[24:25], 3, v[0:1]
	global_load_dwordx2 v[22:23], v[22:23], off
	v_lshl_add_u64 v[26:27], s[4:5], 0, v[24:25]
	global_load_dwordx2 v[20:21], v[20:21], off
	v_lshl_add_u64 v[24:25], s[6:7], 0, v[24:25]
	v_add_u32_e32 v0, s2, v0
	global_load_dwordx2 v[26:27], v[26:27], off
	v_mad_u64_u32 v[32:33], s[14:15], s3, 14, v[0:1]
	global_load_dwordx2 v[24:25], v[24:25], off
	s_lshl_b32 s2, s3, 3
	v_lshlrev_b64 v[28:29], 3, v[0:1]
	v_mov_b32_e32 v33, v1
	v_add_u32_e32 v0, s2, v32
	v_lshl_add_u64 v[30:31], s[4:5], 0, v[28:29]
	v_lshl_add_u64 v[28:29], s[6:7], 0, v[28:29]
	v_lshlrev_b64 v[34:35], 3, v[32:33]
	v_mad_u64_u32 v[40:41], s[14:15], s3, 20, v[0:1]
	global_load_dwordx2 v[30:31], v[30:31], off
	v_lshl_add_u64 v[36:37], s[4:5], 0, v[34:35]
	global_load_dwordx2 v[28:29], v[28:29], off
	v_lshl_add_u64 v[34:35], s[6:7], 0, v[34:35]
	v_lshlrev_b64 v[32:33], 3, v[0:1]
	v_mov_b32_e32 v41, v1
	global_load_dwordx2 v[36:37], v[36:37], off
	v_lshl_add_u64 v[38:39], s[4:5], 0, v[32:33]
	global_load_dwordx2 v[34:35], v[34:35], off
	v_lshl_add_u64 v[32:33], s[6:7], 0, v[32:33]
	v_lshlrev_b64 v[42:43], 3, v[40:41]
	v_add_u32_e32 v0, s3, v40
	global_load_dwordx2 v[38:39], v[38:39], off
	v_lshl_add_u64 v[44:45], s[4:5], 0, v[42:43]
	global_load_dwordx2 v[32:33], v[32:33], off
	v_lshl_add_u64 v[42:43], s[6:7], 0, v[42:43]
	v_lshlrev_b64 v[40:41], 3, v[0:1]
	global_load_dwordx2 v[44:45], v[44:45], off
	v_lshl_add_u64 v[46:47], s[4:5], 0, v[40:41]
	global_load_dwordx2 v[42:43], v[42:43], off
	v_lshl_add_u64 v[40:41], s[6:7], 0, v[40:41]
	global_load_dwordx2 v[46:47], v[46:47], off
	v_add_u32_e32 v0, s2, v0
	global_load_dwordx2 v[40:41], v[40:41], off
	v_lshlrev_b64 v[56:57], 3, v[0:1]
	v_lshl_add_u64 v[58:59], s[4:5], 0, v[56:57]
	v_lshl_add_u64 v[56:57], s[6:7], 0, v[56:57]
	global_load_dwordx2 v[58:59], v[58:59], off
	s_waitcnt vmcnt(23)
	v_add_f64 v[6:7], v[6:7], -v[10:11]
	global_load_dwordx2 v[56:57], v[56:57], off
	v_add_f64 v[6:7], v[14:15], -v[6:7]
	s_waitcnt vmcnt(22)
	v_add_f64 v[8:9], v[8:9], -v[12:13]
	v_add_f64 v[6:7], v[6:7], -v[8:9]
	s_waitcnt vmcnt(20)
	v_add_f64 v[8:9], v[48:49], -v[50:51]
	;; [unrolled: 3-line block ×3, first 2 shown]
	v_add_f64 v[6:7], v[6:7], -v[8:9]
	v_add_u32_e32 v0, s3, v0
	s_mul_i32 s2, s3, 9
	s_waitcnt vmcnt(16)
	v_add_f64 v[8:9], v[16:17], -v[18:19]
	v_add_f64 v[6:7], v[6:7], -v[8:9]
	;; [unrolled: 1-line block ×4, first 2 shown]
	v_lshlrev_b64 v[16:17], 3, v[0:1]
	v_add_u32_e32 v0, s3, v0
	v_lshl_add_u64 v[18:19], s[4:5], 0, v[16:17]
	s_waitcnt vmcnt(14)
	v_add_f64 v[8:9], v[22:23], -v[20:21]
	v_add_f64 v[10:11], v[8:9], v[6:7]
	v_lshl_add_u64 v[16:17], s[6:7], 0, v[16:17]
	v_lshlrev_b64 v[20:21], 3, v[0:1]
	global_load_dwordx2 v[18:19], v[18:19], off
	v_lshl_add_u64 v[22:23], s[4:5], 0, v[20:21]
	s_waitcnt vmcnt(13)
	v_add_f64 v[6:7], v[26:27], -v[24:25]
	v_mad_u64_u32 v[24:25], s[14:15], s3, 15, v[0:1]
	v_mov_b32_e32 v25, v1
	v_add_f64 v[10:11], v[10:11], v[6:7]
	v_lshlrev_b64 v[26:27], 3, v[24:25]
	v_mad_u64_u32 v[24:25], s[14:15], s3, 37, v[24:25]
	v_add_f64 v[10:11], v[2:3], v[10:11]
	global_load_dwordx2 v[16:17], v[16:17], off
	v_lshl_add_u64 v[20:21], s[6:7], 0, v[20:21]
	v_mov_b32_e32 v25, v1
	s_waitcnt vmcnt(12)
	v_add_f64 v[12:13], v[30:31], -v[28:29]
	v_add_f64 v[10:11], v[10:11], -v[12:13]
	global_load_dwordx2 v[22:23], v[22:23], off
	v_lshl_add_u64 v[28:29], s[4:5], 0, v[26:27]
	global_load_dwordx2 v[20:21], v[20:21], off
	v_lshl_add_u64 v[26:27], s[6:7], 0, v[26:27]
	s_waitcnt vmcnt(12)
	v_add_f64 v[12:13], v[36:37], -v[34:35]
	v_lshlrev_b64 v[30:31], 3, v[24:25]
	v_add_u32_e32 v0, s13, v24
	v_add_f64 v[10:11], v[10:11], v[12:13]
	global_load_dwordx2 v[28:29], v[28:29], off
	v_lshlrev_b64 v[24:25], 3, v[0:1]
	s_waitcnt vmcnt(11)
	v_add_f64 v[12:13], v[38:39], -v[32:33]
	global_load_dwordx2 v[26:27], v[26:27], off
	v_lshl_add_u64 v[32:33], s[4:5], 0, v[30:31]
	v_lshl_add_u64 v[30:31], s[6:7], 0, v[30:31]
	v_add_u32_e32 v0, s3, v0
	v_add_f64 v[10:11], v[10:11], -v[12:13]
	s_waitcnt vmcnt(10)
	v_add_f64 v[12:13], v[44:45], -v[42:43]
	global_load_dwordx2 v[32:33], v[32:33], off
	v_lshl_add_u64 v[34:35], s[4:5], 0, v[24:25]
	global_load_dwordx2 v[30:31], v[30:31], off
	v_lshl_add_u64 v[24:25], s[6:7], 0, v[24:25]
	v_lshlrev_b64 v[36:37], 3, v[0:1]
	v_add_u32_e32 v0, s12, v0
	v_add_f64 v[12:13], v[10:11], v[12:13]
	s_waitcnt vmcnt(10)
	v_add_f64 v[10:11], v[46:47], -v[40:41]
	global_load_dwordx2 v[34:35], v[34:35], off
	v_lshl_add_u64 v[38:39], s[4:5], 0, v[36:37]
	global_load_dwordx2 v[24:25], v[24:25], off
	v_lshl_add_u64 v[36:37], s[6:7], 0, v[36:37]
	v_lshlrev_b64 v[40:41], 3, v[0:1]
	v_add_u32_e32 v0, s2, v0
	global_load_dwordx2 v[38:39], v[38:39], off
	v_lshl_add_u64 v[42:43], s[4:5], 0, v[40:41]
	global_load_dwordx2 v[36:37], v[36:37], off
	v_lshl_add_u64 v[40:41], s[6:7], 0, v[40:41]
	v_lshlrev_b64 v[44:45], 3, v[0:1]
	v_add_u32_e32 v0, s3, v0
	;; [unrolled: 6-line block ×4, first 2 shown]
	s_waitcnt vmcnt(16)
	v_add_f64 v[14:15], v[58:59], -v[56:57]
	global_load_dwordx2 v[50:51], v[50:51], off
	v_lshl_add_u64 v[54:55], s[4:5], 0, v[52:53]
	global_load_dwordx2 v[48:49], v[48:49], off
	v_lshl_add_u64 v[52:53], s[6:7], 0, v[52:53]
	v_lshlrev_b64 v[56:57], 3, v[0:1]
	global_load_dwordx2 v[54:55], v[54:55], off
	v_lshl_add_u64 v[58:59], s[4:5], 0, v[56:57]
	global_load_dwordx2 v[52:53], v[52:53], off
	v_lshl_add_u64 v[56:57], s[6:7], 0, v[56:57]
	global_load_dwordx2 v[58:59], v[58:59], off
	v_add_f64 v[12:13], v[12:13], -v[10:11]
	global_load_dwordx2 v[56:57], v[56:57], off
	v_add_f64 v[12:13], v[12:13], -v[14:15]
	v_add_u32_e32 v0, s3, v0
	s_waitcnt vmcnt(20)
	v_add_f64 v[14:15], v[18:19], -v[16:17]
	v_add_f64 v[14:15], v[12:13], -v[14:15]
	s_waitcnt vmcnt(18)
	v_add_f64 v[12:13], v[22:23], -v[20:21]
	v_add_f64 v[14:15], v[14:15], v[12:13]
	s_waitcnt vmcnt(16)
	v_add_f64 v[16:17], v[28:29], -v[26:27]
	v_add_f64 v[14:15], v[14:15], v[16:17]
	;; [unrolled: 3-line block ×3, first 2 shown]
	s_waitcnt vmcnt(12)
	v_add_f64 v[16:17], v[34:35], -v[24:25]
	v_add_f64 v[16:17], v[14:15], -v[16:17]
	s_waitcnt vmcnt(10)
	v_add_f64 v[14:15], v[38:39], -v[36:37]
	v_add_f64 v[16:17], v[16:17], v[14:15]
	s_waitcnt vmcnt(8)
	v_add_f64 v[18:19], v[42:43], -v[40:41]
	v_add_f64 v[16:17], v[16:17], v[18:19]
	;; [unrolled: 3-line block ×3, first 2 shown]
	s_waitcnt vmcnt(4)
	v_add_f64 v[18:19], v[50:51], -v[48:49]
	v_add_f64 v[16:17], v[16:17], -v[18:19]
	s_waitcnt vmcnt(2)
	v_add_f64 v[18:19], v[54:55], -v[52:53]
	v_add_f64 v[16:17], v[16:17], v[18:19]
	s_waitcnt vmcnt(0)
	v_add_f64 v[18:19], v[58:59], -v[56:57]
	v_add_f64 v[16:17], v[16:17], -v[18:19]
	v_lshlrev_b64 v[18:19], 3, v[0:1]
	v_add_u32_e32 v0, s3, v0
	v_lshlrev_b64 v[22:23], 3, v[0:1]
	v_add_u32_e32 v0, s3, v0
	v_lshl_add_u64 v[20:21], s[4:5], 0, v[18:19]
	v_lshl_add_u64 v[18:19], s[6:7], 0, v[18:19]
	v_lshlrev_b64 v[26:27], 3, v[0:1]
	v_add_u32_e32 v0, s2, v0
	global_load_dwordx2 v[20:21], v[20:21], off
	v_lshl_add_u64 v[24:25], s[4:5], 0, v[22:23]
	global_load_dwordx2 v[18:19], v[18:19], off
	v_lshl_add_u64 v[22:23], s[6:7], 0, v[22:23]
	v_lshlrev_b64 v[30:31], 3, v[0:1]
	v_add_u32_e32 v0, s3, v0
	global_load_dwordx2 v[24:25], v[24:25], off
	v_lshl_add_u64 v[28:29], s[4:5], 0, v[26:27]
	global_load_dwordx2 v[22:23], v[22:23], off
	;; [unrolled: 6-line block ×3, first 2 shown]
	v_lshl_add_u64 v[30:31], s[6:7], 0, v[30:31]
	v_mad_u64_u32 v[42:43], s[12:13], s3, 6, v[0:1]
	global_load_dwordx2 v[32:33], v[32:33], off
	v_lshl_add_u64 v[36:37], s[4:5], 0, v[34:35]
	global_load_dwordx2 v[30:31], v[30:31], off
	v_lshl_add_u64 v[34:35], s[6:7], 0, v[34:35]
	v_lshlrev_b64 v[38:39], 3, v[0:1]
	v_mov_b32_e32 v43, v1
	global_load_dwordx2 v[36:37], v[36:37], off
	v_lshl_add_u64 v[40:41], s[4:5], 0, v[38:39]
	global_load_dwordx2 v[34:35], v[34:35], off
	v_lshl_add_u64 v[38:39], s[6:7], 0, v[38:39]
	v_lshlrev_b64 v[44:45], 3, v[42:43]
	v_add_u32_e32 v0, s3, v42
	global_load_dwordx2 v[40:41], v[40:41], off
	v_lshl_add_u64 v[46:47], s[4:5], 0, v[44:45]
	global_load_dwordx2 v[38:39], v[38:39], off
	v_lshl_add_u64 v[44:45], s[6:7], 0, v[44:45]
	v_lshlrev_b64 v[42:43], 3, v[0:1]
	global_load_dwordx2 v[46:47], v[46:47], off
	v_lshl_add_u64 v[48:49], s[4:5], 0, v[42:43]
	global_load_dwordx2 v[44:45], v[44:45], off
	v_lshl_add_u64 v[42:43], s[6:7], 0, v[42:43]
	s_mul_i32 s12, s3, 0xffffff3b
	global_load_dwordx2 v[48:49], v[48:49], off
	v_add_u32_e32 v0, s12, v0
	global_load_dwordx2 v[42:43], v[42:43], off
	v_lshl_add_u64 v[50:51], v[0:1], 3, s[8:9]
	v_add_u32_e32 v0, s2, v0
	v_lshlrev_b64 v[52:53], 3, v[0:1]
	v_lshl_add_u64 v[54:55], s[4:5], 0, v[52:53]
	v_lshl_add_u64 v[52:53], s[6:7], 0, v[52:53]
	v_add_u32_e32 v0, s2, v0
	global_load_dwordx2 v[54:55], v[54:55], off
	v_lshlrev_b64 v[56:57], 3, v[0:1]
	global_load_dwordx2 v[52:53], v[52:53], off
	v_lshl_add_u64 v[58:59], s[4:5], 0, v[56:57]
	v_lshl_add_u64 v[56:57], s[6:7], 0, v[56:57]
	global_load_dwordx2 v[58:59], v[58:59], off
	s_load_dwordx4 s[4:7], s[0:1], 0x30
	global_load_dwordx2 v[56:57], v[56:57], off
	s_mulk_i32 s3, 0xffef
	v_add_u32_e32 v0, s3, v0
	v_lshl_add_u64 v[0:1], v[0:1], 3, s[8:9]
	s_waitcnt vmcnt(18)
	v_add_f64 v[18:19], v[20:21], -v[18:19]
	v_add_f64 v[16:17], v[16:17], -v[18:19]
	s_waitcnt vmcnt(16)
	v_add_f64 v[20:21], v[24:25], -v[22:23]
	v_add_f64 v[16:17], v[16:17], -v[20:21]
	s_waitcnt vmcnt(14)
	v_add_f64 v[20:21], v[28:29], -v[26:27]
	v_add_f64 v[16:17], v[16:17], v[20:21]
	s_waitcnt vmcnt(12)
	v_add_f64 v[22:23], v[32:33], -v[30:31]
	v_add_f64 v[16:17], v[16:17], -v[22:23]
	s_waitcnt vmcnt(10)
	v_add_f64 v[22:23], v[36:37], -v[34:35]
	v_add_f64 v[16:17], v[16:17], -v[22:23]
	;; [unrolled: 3-line block ×3, first 2 shown]
	s_waitcnt vmcnt(6)
	v_add_f64 v[24:25], v[46:47], -v[44:45]
	v_add_f64 v[16:17], v[16:17], v[24:25]
	s_waitcnt vmcnt(4)
	v_add_f64 v[24:25], v[48:49], -v[42:43]
	v_add_f64 v[16:17], v[16:17], -v[24:25]
	v_mul_f64 v[16:17], s[10:11], v[16:17]
	s_waitcnt lgkmcnt(0)
	v_mul_f64 v[16:17], s[4:5], v[16:17]
	global_store_dwordx2 v[50:51], v[16:17], off
	s_waitcnt vmcnt(3)
	v_add_f64 v[16:17], v[54:55], -v[52:53]
	v_add_f64 v[4:5], v[4:5], v[16:17]
	v_add_f64 v[4:5], v[4:5], -v[8:9]
	s_waitcnt vmcnt(1)
	v_add_f64 v[8:9], v[58:59], -v[56:57]
	v_add_f64 v[4:5], v[4:5], -v[8:9]
	;; [unrolled: 1-line block ×4, first 2 shown]
	v_add_f64 v[2:3], v[10:11], v[2:3]
	v_add_f64 v[2:3], v[2:3], -v[12:13]
	v_add_f64 v[2:3], v[2:3], -v[14:15]
	v_add_f64 v[2:3], v[18:19], v[2:3]
	v_add_f64 v[2:3], v[2:3], -v[20:21]
	v_add_f64 v[2:3], v[22:23], v[2:3]
	v_mul_f64 v[2:3], s[10:11], v[2:3]
	v_mul_f64 v[2:3], s[6:7], v[2:3]
	global_store_dwordx2 v[0:1], v[2:3], off
	s_endpgm
	.section	.rodata,"a",@progbits
	.p2align	6, 0x0
	.amdhsa_kernel _Z14rdwdot8_kernelIdEvPKT_S2_PS0_S0_S2_
		.amdhsa_group_segment_fixed_size 0
		.amdhsa_private_segment_fixed_size 0
		.amdhsa_kernarg_size 296
		.amdhsa_user_sgpr_count 2
		.amdhsa_user_sgpr_dispatch_ptr 0
		.amdhsa_user_sgpr_queue_ptr 0
		.amdhsa_user_sgpr_kernarg_segment_ptr 1
		.amdhsa_user_sgpr_dispatch_id 0
		.amdhsa_user_sgpr_kernarg_preload_length 0
		.amdhsa_user_sgpr_kernarg_preload_offset 0
		.amdhsa_user_sgpr_private_segment_size 0
		.amdhsa_uses_dynamic_stack 0
		.amdhsa_enable_private_segment 0
		.amdhsa_system_sgpr_workgroup_id_x 1
		.amdhsa_system_sgpr_workgroup_id_y 0
		.amdhsa_system_sgpr_workgroup_id_z 0
		.amdhsa_system_sgpr_workgroup_info 0
		.amdhsa_system_vgpr_workitem_id 0
		.amdhsa_next_free_vgpr 60
		.amdhsa_next_free_sgpr 16
		.amdhsa_accum_offset 60
		.amdhsa_reserve_vcc 0
		.amdhsa_float_round_mode_32 0
		.amdhsa_float_round_mode_16_64 0
		.amdhsa_float_denorm_mode_32 3
		.amdhsa_float_denorm_mode_16_64 3
		.amdhsa_dx10_clamp 1
		.amdhsa_ieee_mode 1
		.amdhsa_fp16_overflow 0
		.amdhsa_tg_split 0
		.amdhsa_exception_fp_ieee_invalid_op 0
		.amdhsa_exception_fp_denorm_src 0
		.amdhsa_exception_fp_ieee_div_zero 0
		.amdhsa_exception_fp_ieee_overflow 0
		.amdhsa_exception_fp_ieee_underflow 0
		.amdhsa_exception_fp_ieee_inexact 0
		.amdhsa_exception_int_div_zero 0
	.end_amdhsa_kernel
	.section	.text._Z14rdwdot8_kernelIdEvPKT_S2_PS0_S0_S2_,"axG",@progbits,_Z14rdwdot8_kernelIdEvPKT_S2_PS0_S0_S2_,comdat
.Lfunc_end51:
	.size	_Z14rdwdot8_kernelIdEvPKT_S2_PS0_S0_S2_, .Lfunc_end51-_Z14rdwdot8_kernelIdEvPKT_S2_PS0_S0_S2_
                                        ; -- End function
	.set _Z14rdwdot8_kernelIdEvPKT_S2_PS0_S0_S2_.num_vgpr, 60
	.set _Z14rdwdot8_kernelIdEvPKT_S2_PS0_S0_S2_.num_agpr, 0
	.set _Z14rdwdot8_kernelIdEvPKT_S2_PS0_S0_S2_.numbered_sgpr, 16
	.set _Z14rdwdot8_kernelIdEvPKT_S2_PS0_S0_S2_.num_named_barrier, 0
	.set _Z14rdwdot8_kernelIdEvPKT_S2_PS0_S0_S2_.private_seg_size, 0
	.set _Z14rdwdot8_kernelIdEvPKT_S2_PS0_S0_S2_.uses_vcc, 0
	.set _Z14rdwdot8_kernelIdEvPKT_S2_PS0_S0_S2_.uses_flat_scratch, 0
	.set _Z14rdwdot8_kernelIdEvPKT_S2_PS0_S0_S2_.has_dyn_sized_stack, 0
	.set _Z14rdwdot8_kernelIdEvPKT_S2_PS0_S0_S2_.has_recursion, 0
	.set _Z14rdwdot8_kernelIdEvPKT_S2_PS0_S0_S2_.has_indirect_call, 0
	.section	.AMDGPU.csdata,"",@progbits
; Kernel info:
; codeLenInByte = 2980
; TotalNumSgprs: 22
; NumVgprs: 60
; NumAgprs: 0
; TotalNumVgprs: 60
; ScratchSize: 0
; MemoryBound: 0
; FloatMode: 240
; IeeeMode: 1
; LDSByteSize: 0 bytes/workgroup (compile time only)
; SGPRBlocks: 2
; VGPRBlocks: 7
; NumSGPRsForWavesPerEU: 22
; NumVGPRsForWavesPerEU: 60
; AccumOffset: 60
; Occupancy: 8
; WaveLimiterHint : 0
; COMPUTE_PGM_RSRC2:SCRATCH_EN: 0
; COMPUTE_PGM_RSRC2:USER_SGPR: 2
; COMPUTE_PGM_RSRC2:TRAP_HANDLER: 0
; COMPUTE_PGM_RSRC2:TGID_X_EN: 1
; COMPUTE_PGM_RSRC2:TGID_Y_EN: 0
; COMPUTE_PGM_RSRC2:TGID_Z_EN: 0
; COMPUTE_PGM_RSRC2:TIDIG_COMP_CNT: 0
; COMPUTE_PGM_RSRC3_GFX90A:ACCUM_OFFSET: 14
; COMPUTE_PGM_RSRC3_GFX90A:TG_SPLIT: 0
	.section	.text._Z14rdwdot9_kernelIdEvPKT_S2_PS0_S0_S2_,"axG",@progbits,_Z14rdwdot9_kernelIdEvPKT_S2_PS0_S0_S2_,comdat
	.protected	_Z14rdwdot9_kernelIdEvPKT_S2_PS0_S0_S2_ ; -- Begin function _Z14rdwdot9_kernelIdEvPKT_S2_PS0_S0_S2_
	.globl	_Z14rdwdot9_kernelIdEvPKT_S2_PS0_S0_S2_
	.p2align	8
	.type	_Z14rdwdot9_kernelIdEvPKT_S2_PS0_S0_S2_,@function
_Z14rdwdot9_kernelIdEvPKT_S2_PS0_S0_S2_: ; @_Z14rdwdot9_kernelIdEvPKT_S2_PS0_S0_S2_
; %bb.0:
	s_load_dword s3, s[0:1], 0x34
	s_load_dword s12, s[0:1], 0x28
	s_load_dwordx8 s[4:11], s[0:1], 0x0
	s_waitcnt lgkmcnt(0)
	s_and_b32 s13, s3, 0xffff
	s_mul_i32 s2, s2, s13
	s_mul_i32 s3, s12, s13
	v_add_u32_e32 v10, s2, v0
	v_mad_u64_u32 v[0:1], s[12:13], s3, 26, v[10:11]
	v_mov_b32_e32 v1, 0
	v_lshlrev_b64 v[4:5], 3, v[0:1]
	v_add_u32_e32 v0, s3, v0
	v_lshlrev_b64 v[8:9], 3, v[0:1]
	v_lshl_add_u64 v[2:3], s[4:5], 0, v[4:5]
	v_lshl_add_u64 v[4:5], s[6:7], 0, v[4:5]
	;; [unrolled: 1-line block ×4, first 2 shown]
	global_load_dwordx2 v[2:3], v[2:3], off
	v_mov_b32_e32 v11, v1
	global_load_dwordx2 v[4:5], v[4:5], off
	v_lshlrev_b64 v[12:13], 3, v[10:11]
	global_load_dwordx2 v[6:7], v[6:7], off
	v_add_u32_e32 v0, s3, v10
	global_load_dwordx2 v[8:9], v[8:9], off
	v_lshl_add_u64 v[10:11], s[4:5], 0, v[12:13]
	v_lshl_add_u64 v[12:13], s[6:7], 0, v[12:13]
	v_lshlrev_b64 v[14:15], 3, v[0:1]
	v_add_u32_e32 v0, s3, v0
	global_load_dwordx2 v[16:17], v[10:11], off
	global_load_dwordx2 v[18:19], v[12:13], off
	v_lshl_add_u64 v[10:11], s[4:5], 0, v[14:15]
	v_lshl_add_u64 v[12:13], s[6:7], 0, v[14:15]
	v_lshlrev_b64 v[14:15], 3, v[0:1]
	v_add_u32_e32 v0, s3, v0
	s_mul_i32 s14, s3, 5
	global_load_dwordx2 v[20:21], v[10:11], off
	global_load_dwordx2 v[22:23], v[12:13], off
	v_lshl_add_u64 v[10:11], s[4:5], 0, v[14:15]
	v_lshl_add_u64 v[12:13], s[6:7], 0, v[14:15]
	v_lshlrev_b64 v[14:15], 3, v[0:1]
	v_add_u32_e32 v0, s14, v0
	global_load_dwordx2 v[24:25], v[10:11], off
	global_load_dwordx2 v[26:27], v[12:13], off
	v_lshl_add_u64 v[10:11], s[4:5], 0, v[14:15]
	s_mul_i32 s2, s3, 6
	v_lshl_add_u64 v[12:13], s[6:7], 0, v[14:15]
	v_lshlrev_b64 v[14:15], 3, v[0:1]
	v_add_u32_e32 v0, s3, v0
	global_load_dwordx2 v[28:29], v[10:11], off
	global_load_dwordx2 v[30:31], v[12:13], off
	v_lshl_add_u64 v[10:11], s[4:5], 0, v[14:15]
	v_lshl_add_u64 v[12:13], s[6:7], 0, v[14:15]
	v_lshlrev_b64 v[14:15], 3, v[0:1]
	v_add_u32_e32 v0, s2, v0
	s_mul_i32 s12, s3, 3
	global_load_dwordx2 v[32:33], v[10:11], off
	global_load_dwordx2 v[34:35], v[12:13], off
	v_lshl_add_u64 v[10:11], s[4:5], 0, v[14:15]
	v_lshl_add_u64 v[12:13], s[6:7], 0, v[14:15]
	v_lshlrev_b64 v[14:15], 3, v[0:1]
	v_add_u32_e32 v0, s12, v0
	global_load_dwordx2 v[36:37], v[10:11], off
	global_load_dwordx2 v[38:39], v[12:13], off
	v_lshl_add_u64 v[10:11], s[4:5], 0, v[14:15]
	v_lshl_add_u64 v[12:13], s[6:7], 0, v[14:15]
	v_lshlrev_b64 v[14:15], 3, v[0:1]
	global_load_dwordx2 v[40:41], v[10:11], off
	global_load_dwordx2 v[42:43], v[12:13], off
	v_add_u32_e32 v0, s3, v0
	v_lshl_add_u64 v[10:11], s[4:5], 0, v[14:15]
	s_lshl_b32 s13, s3, 2
	v_lshl_add_u64 v[12:13], s[6:7], 0, v[14:15]
	v_lshlrev_b64 v[14:15], 3, v[0:1]
	v_add_u32_e32 v0, s3, v0
	global_load_dwordx2 v[44:45], v[10:11], off
	global_load_dwordx2 v[46:47], v[12:13], off
	v_lshl_add_u64 v[10:11], s[4:5], 0, v[14:15]
	v_lshl_add_u64 v[12:13], s[6:7], 0, v[14:15]
	v_lshlrev_b64 v[14:15], 3, v[0:1]
	v_add_u32_e32 v0, s13, v0
	global_load_dwordx2 v[48:49], v[10:11], off
	global_load_dwordx2 v[50:51], v[12:13], off
	v_lshl_add_u64 v[10:11], s[4:5], 0, v[14:15]
	;; [unrolled: 6-line block ×3, first 2 shown]
	v_lshl_add_u64 v[12:13], s[6:7], 0, v[14:15]
	global_load_dwordx2 v[10:11], v[10:11], off
	s_lshl_b32 s15, s3, 1
	s_lshl_b32 s16, s3, 3
	s_load_dwordx2 s[0:1], s[0:1], 0x20
	s_waitcnt vmcnt(23)
	v_add_f64 v[2:3], v[2:3], -v[4:5]
	s_waitcnt lgkmcnt(0)
	s_load_dwordx2 s[0:1], s[0:1], 0x20
	s_waitcnt vmcnt(21)
	v_add_f64 v[4:5], v[6:7], -v[8:9]
	v_lshlrev_b64 v[6:7], 3, v[0:1]
	v_add_f64 v[2:3], v[2:3], v[4:5]
	global_load_dwordx2 v[4:5], v[12:13], off
	v_lshl_add_u64 v[8:9], s[4:5], 0, v[6:7]
	v_lshl_add_u64 v[6:7], s[6:7], 0, v[6:7]
	v_add_u32_e32 v0, s13, v0
	global_load_dwordx2 v[8:9], v[8:9], off
	v_lshlrev_b64 v[12:13], 3, v[0:1]
	global_load_dwordx2 v[6:7], v[6:7], off
	v_add_u32_e32 v0, s12, v0
	v_lshl_add_u64 v[14:15], s[4:5], 0, v[12:13]
	v_lshl_add_u64 v[12:13], s[6:7], 0, v[12:13]
	v_lshlrev_b64 v[56:57], 3, v[0:1]
	global_load_dwordx2 v[14:15], v[14:15], off
	v_lshl_add_u64 v[58:59], s[4:5], 0, v[56:57]
	global_load_dwordx2 v[12:13], v[12:13], off
	v_lshl_add_u64 v[56:57], s[6:7], 0, v[56:57]
	global_load_dwordx2 v[58:59], v[58:59], off
	s_waitcnt vmcnt(25)
	v_add_f64 v[16:17], v[16:17], -v[18:19]
	global_load_dwordx2 v[56:57], v[56:57], off
	s_waitcnt vmcnt(24)
	v_add_f64 v[18:19], v[20:21], -v[22:23]
	v_add_f64 v[16:17], v[16:17], v[18:19]
	s_waitcnt vmcnt(22)
	v_add_f64 v[18:19], v[24:25], -v[26:27]
	v_add_f64 v[16:17], v[16:17], -v[18:19]
	s_waitcnt vmcnt(20)
	v_add_f64 v[18:19], v[28:29], -v[30:31]
	v_add_f64 v[16:17], v[16:17], -v[18:19]
	;; [unrolled: 1-line block ×3, first 2 shown]
	s_waitcnt vmcnt(18)
	v_add_f64 v[18:19], v[32:33], -v[34:35]
	v_add_f64 v[16:17], v[16:17], -v[18:19]
	v_add_u32_e32 v0, s15, v0
	s_waitcnt vmcnt(16)
	v_add_f64 v[18:19], v[36:37], -v[38:39]
	v_add_f64 v[16:17], v[16:17], v[18:19]
	s_waitcnt vmcnt(14)
	v_add_f64 v[18:19], v[40:41], -v[42:43]
	v_add_f64 v[16:17], v[16:17], -v[18:19]
	v_add_f64 v[16:17], v[16:17], -v[18:19]
	s_waitcnt vmcnt(12)
	v_add_f64 v[18:19], v[44:45], -v[46:47]
	v_add_f64 v[16:17], v[16:17], v[18:19]
	v_add_f64 v[16:17], v[18:19], v[16:17]
	s_waitcnt vmcnt(10)
	v_add_f64 v[18:19], v[48:49], -v[50:51]
	v_add_f64 v[16:17], v[16:17], v[18:19]
	s_waitcnt vmcnt(8)
	v_add_f64 v[18:19], v[52:53], -v[54:55]
	v_add_f64 v[16:17], v[16:17], -v[18:19]
	s_waitcnt vmcnt(6)
	v_add_f64 v[4:5], v[10:11], -v[4:5]
	v_add_f64 v[4:5], v[16:17], v[4:5]
	s_waitcnt vmcnt(4)
	v_add_f64 v[6:7], v[8:9], -v[6:7]
	v_add_f64 v[4:5], v[4:5], v[6:7]
	v_add_f64 v[2:3], v[4:5], -v[2:3]
	v_lshlrev_b64 v[6:7], 3, v[0:1]
	v_add_u32_e32 v0, s16, v0
	v_lshlrev_b64 v[8:9], 3, v[0:1]
	v_add_u32_e32 v0, s15, v0
	s_waitcnt vmcnt(2)
	v_add_f64 v[4:5], v[14:15], -v[12:13]
	v_add_f64 v[2:3], v[2:3], -v[4:5]
	v_lshl_add_u64 v[10:11], s[4:5], 0, v[8:9]
	v_lshl_add_u64 v[8:9], s[6:7], 0, v[8:9]
	s_waitcnt vmcnt(0)
	v_add_f64 v[4:5], v[58:59], -v[56:57]
	v_add_f64 v[2:3], v[2:3], v[4:5]
	v_lshl_add_u64 v[4:5], s[4:5], 0, v[6:7]
	v_lshl_add_u64 v[6:7], s[6:7], 0, v[6:7]
	global_load_dwordx2 v[4:5], v[4:5], off
	v_lshlrev_b64 v[12:13], 3, v[0:1]
	global_load_dwordx2 v[6:7], v[6:7], off
	v_add_u32_e32 v0, s2, v0
	global_load_dwordx2 v[10:11], v[10:11], off
	v_lshl_add_u64 v[14:15], s[4:5], 0, v[12:13]
	global_load_dwordx2 v[8:9], v[8:9], off
	v_lshl_add_u64 v[12:13], s[6:7], 0, v[12:13]
	v_lshlrev_b64 v[16:17], 3, v[0:1]
	v_add_u32_e32 v0, s15, v0
	global_load_dwordx2 v[14:15], v[14:15], off
	v_lshl_add_u64 v[18:19], s[4:5], 0, v[16:17]
	global_load_dwordx2 v[12:13], v[12:13], off
	v_lshl_add_u64 v[16:17], s[6:7], 0, v[16:17]
	v_lshlrev_b64 v[20:21], 3, v[0:1]
	;; [unrolled: 6-line block ×11, first 2 shown]
	global_load_dwordx2 v[54:55], v[54:55], off
	v_lshl_add_u64 v[58:59], s[4:5], 0, v[56:57]
	global_load_dwordx2 v[52:53], v[52:53], off
	v_lshl_add_u64 v[56:57], s[6:7], 0, v[56:57]
	global_load_dwordx2 v[58:59], v[58:59], off
	v_add_u32_e32 v0, s15, v0
	global_load_dwordx2 v[56:57], v[56:57], off
	s_waitcnt vmcnt(26)
	v_add_f64 v[4:5], v[4:5], -v[6:7]
	v_add_f64 v[2:3], v[2:3], -v[4:5]
	v_lshlrev_b64 v[6:7], 3, v[0:1]
	s_waitcnt vmcnt(24)
	v_add_f64 v[4:5], v[10:11], -v[8:9]
	v_add_f64 v[2:3], v[2:3], v[4:5]
	v_mad_u64_u32 v[8:9], s[18:19], s3, 12, v[0:1]
	v_mov_b32_e32 v9, v1
	v_lshlrev_b64 v[10:11], 3, v[8:9]
	s_waitcnt vmcnt(22)
	v_add_f64 v[4:5], v[14:15], -v[12:13]
	v_add_f64 v[2:3], v[2:3], -v[4:5]
	v_add_u32_e32 v0, s15, v8
	v_lshl_add_u64 v[12:13], s[4:5], 0, v[10:11]
	v_lshl_add_u64 v[10:11], s[6:7], 0, v[10:11]
	v_lshlrev_b64 v[8:9], 3, v[0:1]
	s_waitcnt vmcnt(20)
	v_add_f64 v[4:5], v[18:19], -v[16:17]
	v_add_f64 v[2:3], v[2:3], v[4:5]
	v_add_u32_e32 v0, s3, v0
	global_load_dwordx2 v[12:13], v[12:13], off
	v_lshl_add_u64 v[14:15], s[4:5], 0, v[8:9]
	global_load_dwordx2 v[10:11], v[10:11], off
	s_waitcnt vmcnt(20)
	v_add_f64 v[4:5], v[22:23], -v[20:21]
	v_add_f64 v[2:3], v[2:3], -v[4:5]
	v_lshl_add_u64 v[8:9], s[6:7], 0, v[8:9]
	v_lshlrev_b64 v[16:17], 3, v[0:1]
	v_add_u32_e32 v0, s12, v0
	global_load_dwordx2 v[14:15], v[14:15], off
	s_waitcnt vmcnt(19)
	v_add_f64 v[4:5], v[26:27], -v[24:25]
	v_add_f64 v[2:3], v[2:3], -v[4:5]
	global_load_dwordx2 v[8:9], v[8:9], off
	v_lshl_add_u64 v[18:19], s[4:5], 0, v[16:17]
	v_lshl_add_u64 v[16:17], s[6:7], 0, v[16:17]
	v_lshlrev_b64 v[20:21], 3, v[0:1]
	s_waitcnt vmcnt(18)
	v_add_f64 v[4:5], v[30:31], -v[28:29]
	v_add_f64 v[2:3], v[2:3], v[4:5]
	v_add_u32_e32 v0, s3, v0
	global_load_dwordx2 v[18:19], v[18:19], off
	v_lshl_add_u64 v[22:23], s[4:5], 0, v[20:21]
	global_load_dwordx2 v[16:17], v[16:17], off
	s_waitcnt vmcnt(18)
	v_add_f64 v[4:5], v[34:35], -v[32:33]
	v_add_f64 v[2:3], v[2:3], -v[4:5]
	v_lshl_add_u64 v[20:21], s[6:7], 0, v[20:21]
	v_lshlrev_b64 v[24:25], 3, v[0:1]
	v_add_u32_e32 v0, s2, v0
	global_load_dwordx2 v[22:23], v[22:23], off
	s_waitcnt vmcnt(17)
	v_add_f64 v[4:5], v[38:39], -v[36:37]
	v_add_f64 v[2:3], v[2:3], v[4:5]
	global_load_dwordx2 v[20:21], v[20:21], off
	v_lshl_add_u64 v[26:27], s[4:5], 0, v[24:25]
	v_lshl_add_u64 v[24:25], s[6:7], 0, v[24:25]
	v_lshlrev_b64 v[28:29], 3, v[0:1]
	s_waitcnt vmcnt(16)
	v_add_f64 v[4:5], v[42:43], -v[40:41]
	v_add_f64 v[2:3], v[2:3], v[4:5]
	v_add_u32_e32 v0, s16, v0
	global_load_dwordx2 v[26:27], v[26:27], off
	v_lshl_add_u64 v[30:31], s[4:5], 0, v[28:29]
	global_load_dwordx2 v[24:25], v[24:25], off
	s_waitcnt vmcnt(16)
	v_add_f64 v[4:5], v[46:47], -v[44:45]
	v_add_f64 v[2:3], v[2:3], -v[4:5]
	v_lshl_add_u64 v[28:29], s[6:7], 0, v[28:29]
	v_lshlrev_b64 v[32:33], 3, v[0:1]
	v_add_u32_e32 v0, s3, v0
	global_load_dwordx2 v[30:31], v[30:31], off
	s_waitcnt vmcnt(15)
	v_add_f64 v[4:5], v[50:51], -v[48:49]
	v_add_f64 v[2:3], v[2:3], -v[4:5]
	global_load_dwordx2 v[28:29], v[28:29], off
	v_lshl_add_u64 v[34:35], s[4:5], 0, v[32:33]
	v_lshl_add_u64 v[32:33], s[6:7], 0, v[32:33]
	s_waitcnt vmcnt(14)
	v_add_f64 v[4:5], v[54:55], -v[52:53]
	v_add_f64 v[2:3], v[2:3], -v[4:5]
	v_lshlrev_b64 v[36:37], 3, v[0:1]
	v_add_u32_e32 v0, s14, v0
	s_waitcnt vmcnt(12)
	v_add_f64 v[4:5], v[58:59], -v[56:57]
	v_add_f64 v[2:3], v[2:3], v[4:5]
	v_lshl_add_u64 v[4:5], s[4:5], 0, v[6:7]
	v_lshl_add_u64 v[6:7], s[6:7], 0, v[6:7]
	global_load_dwordx2 v[4:5], v[4:5], off
	v_lshl_add_u64 v[38:39], s[4:5], 0, v[36:37]
	global_load_dwordx2 v[6:7], v[6:7], off
	;; [unrolled: 2-line block ×3, first 2 shown]
	v_lshlrev_b64 v[40:41], 3, v[0:1]
	global_load_dwordx2 v[32:33], v[32:33], off
	v_add_u32_e32 v0, s14, v0
	global_load_dwordx2 v[38:39], v[38:39], off
	v_lshl_add_u64 v[42:43], s[4:5], 0, v[40:41]
	global_load_dwordx2 v[36:37], v[36:37], off
	v_lshl_add_u64 v[40:41], s[6:7], 0, v[40:41]
	v_lshlrev_b64 v[44:45], 3, v[0:1]
	v_add_u32_e32 v0, s15, v0
	global_load_dwordx2 v[42:43], v[42:43], off
	v_lshl_add_u64 v[46:47], s[4:5], 0, v[44:45]
	global_load_dwordx2 v[40:41], v[40:41], off
	v_lshl_add_u64 v[44:45], s[6:7], 0, v[44:45]
	v_lshlrev_b64 v[48:49], 3, v[0:1]
	;; [unrolled: 6-line block ×4, first 2 shown]
	global_load_dwordx2 v[54:55], v[54:55], off
	v_lshl_add_u64 v[58:59], s[4:5], 0, v[56:57]
	global_load_dwordx2 v[52:53], v[52:53], off
	v_lshl_add_u64 v[56:57], s[6:7], 0, v[56:57]
	global_load_dwordx2 v[58:59], v[58:59], off
	s_waitcnt vmcnt(13)
	v_add_f64 v[4:5], v[4:5], -v[6:7]
	global_load_dwordx2 v[56:57], v[56:57], off
	v_add_f64 v[2:3], v[2:3], v[4:5]
	v_add_f64 v[4:5], v[12:13], -v[10:11]
	v_add_f64 v[2:3], v[2:3], v[4:5]
	v_add_f64 v[4:5], v[14:15], -v[8:9]
	;; [unrolled: 2-line block ×3, first 2 shown]
	v_add_f64 v[2:3], v[2:3], -v[4:5]
	v_add_f64 v[4:5], v[22:23], -v[20:21]
	v_add_f64 v[2:3], v[2:3], v[4:5]
	v_add_f64 v[4:5], v[26:27], -v[24:25]
	v_add_f64 v[2:3], v[2:3], -v[4:5]
	;; [unrolled: 1-line block ×3, first 2 shown]
	v_add_f64 v[2:3], v[2:3], v[4:5]
	s_waitcnt vmcnt(12)
	v_add_f64 v[4:5], v[34:35], -v[32:33]
	v_add_f64 v[2:3], v[2:3], -v[4:5]
	s_waitcnt vmcnt(10)
	v_add_f64 v[4:5], v[38:39], -v[36:37]
	v_add_f64 v[2:3], v[2:3], -v[4:5]
	;; [unrolled: 3-line block ×3, first 2 shown]
	s_waitcnt vmcnt(6)
	v_add_f64 v[4:5], v[46:47], -v[44:45]
	v_add_f64 v[2:3], v[2:3], v[4:5]
	v_mad_u64_u32 v[8:9], s[16:17], s3, 10, v[0:1]
	v_mov_b32_e32 v9, v1
	s_waitcnt vmcnt(4)
	v_add_f64 v[4:5], v[50:51], -v[48:49]
	v_add_f64 v[2:3], v[2:3], -v[4:5]
	v_add_u32_e32 v0, s3, v8
	v_lshlrev_b64 v[6:7], 3, v[8:9]
	v_lshlrev_b64 v[8:9], 3, v[0:1]
	s_waitcnt vmcnt(2)
	v_add_f64 v[4:5], v[54:55], -v[52:53]
	v_add_f64 v[2:3], v[2:3], -v[4:5]
	v_add_u32_e32 v0, s15, v0
	v_lshlrev_b64 v[12:13], 3, v[0:1]
	v_add_u32_e32 v0, s13, v0
	v_lshl_add_u64 v[10:11], s[4:5], 0, v[8:9]
	v_lshl_add_u64 v[8:9], s[6:7], 0, v[8:9]
	v_lshlrev_b64 v[16:17], 3, v[0:1]
	v_add_u32_e32 v0, s12, v0
	global_load_dwordx2 v[10:11], v[10:11], off
	v_lshl_add_u64 v[14:15], s[4:5], 0, v[12:13]
	global_load_dwordx2 v[8:9], v[8:9], off
	v_lshl_add_u64 v[12:13], s[6:7], 0, v[12:13]
	v_lshlrev_b64 v[20:21], 3, v[0:1]
	v_add_u32_e32 v0, s15, v0
	global_load_dwordx2 v[14:15], v[14:15], off
	v_lshl_add_u64 v[18:19], s[4:5], 0, v[16:17]
	global_load_dwordx2 v[12:13], v[12:13], off
	v_lshl_add_u64 v[16:17], s[6:7], 0, v[16:17]
	v_mad_u64_u32 v[28:29], s[16:17], s3, 14, v[0:1]
	global_load_dwordx2 v[18:19], v[18:19], off
	v_lshl_add_u64 v[22:23], s[4:5], 0, v[20:21]
	global_load_dwordx2 v[16:17], v[16:17], off
	v_lshl_add_u64 v[20:21], s[6:7], 0, v[20:21]
	v_lshlrev_b64 v[24:25], 3, v[0:1]
	v_mov_b32_e32 v29, v1
	v_add_u32_e32 v0, s13, v28
	global_load_dwordx2 v[22:23], v[22:23], off
	v_lshl_add_u64 v[26:27], s[4:5], 0, v[24:25]
	global_load_dwordx2 v[20:21], v[20:21], off
	v_lshl_add_u64 v[24:25], s[6:7], 0, v[24:25]
	v_lshlrev_b64 v[30:31], 3, v[28:29]
	v_lshlrev_b64 v[28:29], 3, v[0:1]
	v_add_u32_e32 v0, s3, v0
	global_load_dwordx2 v[26:27], v[26:27], off
	v_lshl_add_u64 v[32:33], s[4:5], 0, v[30:31]
	global_load_dwordx2 v[24:25], v[24:25], off
	v_lshl_add_u64 v[30:31], s[6:7], 0, v[30:31]
	v_lshlrev_b64 v[36:37], 3, v[0:1]
	v_add_u32_e32 v0, s2, v0
	global_load_dwordx2 v[32:33], v[32:33], off
	v_lshl_add_u64 v[34:35], s[4:5], 0, v[28:29]
	global_load_dwordx2 v[30:31], v[30:31], off
	v_lshl_add_u64 v[28:29], s[6:7], 0, v[28:29]
	v_mad_u64_u32 v[44:45], s[12:13], s3, 7, v[0:1]
	global_load_dwordx2 v[34:35], v[34:35], off
	v_lshl_add_u64 v[38:39], s[4:5], 0, v[36:37]
	global_load_dwordx2 v[28:29], v[28:29], off
	s_waitcnt vmcnt(14)
	v_add_f64 v[4:5], v[58:59], -v[56:57]
	v_add_f64 v[2:3], v[2:3], v[4:5]
	v_lshl_add_u64 v[4:5], s[4:5], 0, v[6:7]
	v_lshl_add_u64 v[6:7], s[6:7], 0, v[6:7]
	global_load_dwordx2 v[4:5], v[4:5], off
	v_lshl_add_u64 v[36:37], s[6:7], 0, v[36:37]
	global_load_dwordx2 v[6:7], v[6:7], off
	v_lshlrev_b64 v[40:41], 3, v[0:1]
	v_mov_b32_e32 v45, v1
	global_load_dwordx2 v[38:39], v[38:39], off
	v_lshl_add_u64 v[42:43], s[4:5], 0, v[40:41]
	global_load_dwordx2 v[36:37], v[36:37], off
	v_lshl_add_u64 v[40:41], s[6:7], 0, v[40:41]
	v_lshlrev_b64 v[46:47], 3, v[44:45]
	v_add_u32_e32 v0, s3, v44
	global_load_dwordx2 v[42:43], v[42:43], off
	v_lshl_add_u64 v[48:49], s[4:5], 0, v[46:47]
	global_load_dwordx2 v[40:41], v[40:41], off
	v_lshl_add_u64 v[46:47], s[6:7], 0, v[46:47]
	v_lshlrev_b64 v[44:45], 3, v[0:1]
	v_add_u32_e32 v0, s2, v0
	;; [unrolled: 6-line block ×3, first 2 shown]
	global_load_dwordx2 v[50:51], v[50:51], off
	v_lshl_add_u64 v[54:55], s[4:5], 0, v[52:53]
	global_load_dwordx2 v[44:45], v[44:45], off
	v_lshl_add_u64 v[52:53], s[6:7], 0, v[52:53]
	v_lshlrev_b64 v[56:57], 3, v[0:1]
	global_load_dwordx2 v[54:55], v[54:55], off
	v_lshl_add_u64 v[58:59], s[4:5], 0, v[56:57]
	global_load_dwordx2 v[52:53], v[52:53], off
	v_lshl_add_u64 v[56:57], s[6:7], 0, v[56:57]
	global_load_dwordx2 v[58:59], v[58:59], off
	s_mulk_i32 s3, 0xff39
	global_load_dwordx2 v[56:57], v[56:57], off
	v_add_u32_e32 v0, s3, v0
	v_lshl_add_u64 v[0:1], v[0:1], 3, s[8:9]
	s_waitcnt vmcnt(12)
	v_add_f64 v[4:5], v[4:5], -v[6:7]
	v_add_f64 v[2:3], v[2:3], v[4:5]
	v_add_f64 v[4:5], v[10:11], -v[8:9]
	v_add_f64 v[2:3], v[2:3], -v[4:5]
	v_add_f64 v[4:5], v[14:15], -v[12:13]
	v_add_f64 v[2:3], v[2:3], v[4:5]
	v_add_f64 v[4:5], v[18:19], -v[16:17]
	v_add_f64 v[2:3], v[2:3], v[4:5]
	v_add_f64 v[4:5], v[22:23], -v[20:21]
	v_add_f64 v[2:3], v[2:3], -v[4:5]
	;; [unrolled: 1-line block ×3, first 2 shown]
	v_add_f64 v[2:3], v[2:3], v[4:5]
	v_add_f64 v[4:5], v[32:33], -v[30:31]
	v_add_f64 v[2:3], v[2:3], v[4:5]
	v_add_f64 v[4:5], v[34:35], -v[28:29]
	v_add_f64 v[2:3], v[2:3], v[4:5]
	s_waitcnt vmcnt(10)
	v_add_f64 v[4:5], v[38:39], -v[36:37]
	v_add_f64 v[2:3], v[2:3], -v[4:5]
	s_waitcnt vmcnt(8)
	v_add_f64 v[4:5], v[42:43], -v[40:41]
	v_add_f64 v[2:3], v[2:3], v[4:5]
	s_waitcnt vmcnt(6)
	v_add_f64 v[4:5], v[48:49], -v[46:47]
	v_add_f64 v[2:3], v[2:3], v[4:5]
	s_waitcnt vmcnt(4)
	v_add_f64 v[4:5], v[50:51], -v[44:45]
	v_add_f64 v[2:3], v[2:3], -v[4:5]
	s_waitcnt vmcnt(2)
	v_add_f64 v[4:5], v[54:55], -v[52:53]
	v_add_f64 v[2:3], v[2:3], -v[4:5]
	s_waitcnt vmcnt(0)
	v_add_f64 v[4:5], v[58:59], -v[56:57]
	v_add_f64 v[2:3], v[2:3], v[4:5]
	v_mul_f64 v[2:3], s[10:11], v[2:3]
	s_waitcnt lgkmcnt(0)
	v_mul_f64 v[2:3], s[0:1], v[2:3]
	global_store_dwordx2 v[0:1], v[2:3], off
	s_endpgm
	.section	.rodata,"a",@progbits
	.p2align	6, 0x0
	.amdhsa_kernel _Z14rdwdot9_kernelIdEvPKT_S2_PS0_S0_S2_
		.amdhsa_group_segment_fixed_size 0
		.amdhsa_private_segment_fixed_size 0
		.amdhsa_kernarg_size 296
		.amdhsa_user_sgpr_count 2
		.amdhsa_user_sgpr_dispatch_ptr 0
		.amdhsa_user_sgpr_queue_ptr 0
		.amdhsa_user_sgpr_kernarg_segment_ptr 1
		.amdhsa_user_sgpr_dispatch_id 0
		.amdhsa_user_sgpr_kernarg_preload_length 0
		.amdhsa_user_sgpr_kernarg_preload_offset 0
		.amdhsa_user_sgpr_private_segment_size 0
		.amdhsa_uses_dynamic_stack 0
		.amdhsa_enable_private_segment 0
		.amdhsa_system_sgpr_workgroup_id_x 1
		.amdhsa_system_sgpr_workgroup_id_y 0
		.amdhsa_system_sgpr_workgroup_id_z 0
		.amdhsa_system_sgpr_workgroup_info 0
		.amdhsa_system_vgpr_workitem_id 0
		.amdhsa_next_free_vgpr 60
		.amdhsa_next_free_sgpr 20
		.amdhsa_accum_offset 60
		.amdhsa_reserve_vcc 0
		.amdhsa_float_round_mode_32 0
		.amdhsa_float_round_mode_16_64 0
		.amdhsa_float_denorm_mode_32 3
		.amdhsa_float_denorm_mode_16_64 3
		.amdhsa_dx10_clamp 1
		.amdhsa_ieee_mode 1
		.amdhsa_fp16_overflow 0
		.amdhsa_tg_split 0
		.amdhsa_exception_fp_ieee_invalid_op 0
		.amdhsa_exception_fp_denorm_src 0
		.amdhsa_exception_fp_ieee_div_zero 0
		.amdhsa_exception_fp_ieee_overflow 0
		.amdhsa_exception_fp_ieee_underflow 0
		.amdhsa_exception_fp_ieee_inexact 0
		.amdhsa_exception_int_div_zero 0
	.end_amdhsa_kernel
	.section	.text._Z14rdwdot9_kernelIdEvPKT_S2_PS0_S0_S2_,"axG",@progbits,_Z14rdwdot9_kernelIdEvPKT_S2_PS0_S0_S2_,comdat
.Lfunc_end52:
	.size	_Z14rdwdot9_kernelIdEvPKT_S2_PS0_S0_S2_, .Lfunc_end52-_Z14rdwdot9_kernelIdEvPKT_S2_PS0_S0_S2_
                                        ; -- End function
	.set _Z14rdwdot9_kernelIdEvPKT_S2_PS0_S0_S2_.num_vgpr, 60
	.set _Z14rdwdot9_kernelIdEvPKT_S2_PS0_S0_S2_.num_agpr, 0
	.set _Z14rdwdot9_kernelIdEvPKT_S2_PS0_S0_S2_.numbered_sgpr, 20
	.set _Z14rdwdot9_kernelIdEvPKT_S2_PS0_S0_S2_.num_named_barrier, 0
	.set _Z14rdwdot9_kernelIdEvPKT_S2_PS0_S0_S2_.private_seg_size, 0
	.set _Z14rdwdot9_kernelIdEvPKT_S2_PS0_S0_S2_.uses_vcc, 0
	.set _Z14rdwdot9_kernelIdEvPKT_S2_PS0_S0_S2_.uses_flat_scratch, 0
	.set _Z14rdwdot9_kernelIdEvPKT_S2_PS0_S0_S2_.has_dyn_sized_stack, 0
	.set _Z14rdwdot9_kernelIdEvPKT_S2_PS0_S0_S2_.has_recursion, 0
	.set _Z14rdwdot9_kernelIdEvPKT_S2_PS0_S0_S2_.has_indirect_call, 0
	.section	.AMDGPU.csdata,"",@progbits
; Kernel info:
; codeLenInByte = 3856
; TotalNumSgprs: 26
; NumVgprs: 60
; NumAgprs: 0
; TotalNumVgprs: 60
; ScratchSize: 0
; MemoryBound: 0
; FloatMode: 240
; IeeeMode: 1
; LDSByteSize: 0 bytes/workgroup (compile time only)
; SGPRBlocks: 3
; VGPRBlocks: 7
; NumSGPRsForWavesPerEU: 26
; NumVGPRsForWavesPerEU: 60
; AccumOffset: 60
; Occupancy: 8
; WaveLimiterHint : 0
; COMPUTE_PGM_RSRC2:SCRATCH_EN: 0
; COMPUTE_PGM_RSRC2:USER_SGPR: 2
; COMPUTE_PGM_RSRC2:TRAP_HANDLER: 0
; COMPUTE_PGM_RSRC2:TGID_X_EN: 1
; COMPUTE_PGM_RSRC2:TGID_Y_EN: 0
; COMPUTE_PGM_RSRC2:TGID_Z_EN: 0
; COMPUTE_PGM_RSRC2:TIDIG_COMP_CNT: 0
; COMPUTE_PGM_RSRC3_GFX90A:ACCUM_OFFSET: 14
; COMPUTE_PGM_RSRC3_GFX90A:TG_SPLIT: 0
	.section	.text._Z15rdwdot10_kernelIdEvPKT_S2_PS0_S0_S2_,"axG",@progbits,_Z15rdwdot10_kernelIdEvPKT_S2_PS0_S0_S2_,comdat
	.protected	_Z15rdwdot10_kernelIdEvPKT_S2_PS0_S0_S2_ ; -- Begin function _Z15rdwdot10_kernelIdEvPKT_S2_PS0_S0_S2_
	.globl	_Z15rdwdot10_kernelIdEvPKT_S2_PS0_S0_S2_
	.p2align	8
	.type	_Z15rdwdot10_kernelIdEvPKT_S2_PS0_S0_S2_,@function
_Z15rdwdot10_kernelIdEvPKT_S2_PS0_S0_S2_: ; @_Z15rdwdot10_kernelIdEvPKT_S2_PS0_S0_S2_
; %bb.0:
	s_load_dword s3, s[0:1], 0x34
	s_load_dword s14, s[0:1], 0x28
	s_load_dwordx8 s[4:11], s[0:1], 0x0
	v_mov_b32_e32 v1, 0
	v_mov_b32_e32 v13, v1
	s_waitcnt lgkmcnt(0)
	s_and_b32 s3, s3, 0xffff
	s_mul_i32 s14, s14, s3
	s_mul_i32 s2, s2, s3
	;; [unrolled: 1-line block ×3, first 2 shown]
	v_add_u32_e32 v12, s2, v0
	v_add_u32_e32 v0, s19, v12
	v_lshlrev_b64 v[2:3], 3, v[0:1]
	v_lshl_add_u64 v[4:5], s[4:5], 0, v[2:3]
	v_lshl_add_u64 v[2:3], s[6:7], 0, v[2:3]
	v_add_u32_e32 v0, s14, v0
	global_load_dwordx2 v[6:7], v[2:3], off
	v_lshlrev_b64 v[2:3], 3, v[0:1]
	v_lshl_add_u64 v[8:9], s[4:5], 0, v[2:3]
	v_lshl_add_u64 v[2:3], s[6:7], 0, v[2:3]
	v_add_u32_e32 v0, s14, v0
	global_load_dwordx2 v[10:11], v[2:3], off
	;; [unrolled: 5-line block ×3, first 2 shown]
	v_lshlrev_b64 v[2:3], 3, v[0:1]
	s_mul_i32 s18, s14, 7
	v_lshl_add_u64 v[18:19], s[4:5], 0, v[2:3]
	v_lshl_add_u64 v[2:3], s[6:7], 0, v[2:3]
	v_add_u32_e32 v0, s18, v0
	global_load_dwordx2 v[20:21], v[2:3], off
	v_lshlrev_b64 v[2:3], 3, v[0:1]
	v_lshl_add_u64 v[22:23], s[4:5], 0, v[2:3]
	v_lshl_add_u64 v[2:3], s[6:7], 0, v[2:3]
	v_add_u32_e32 v0, s14, v0
	global_load_dwordx2 v[24:25], v[2:3], off
	v_lshlrev_b64 v[2:3], 3, v[0:1]
	s_lshl_b32 s15, s14, 2
	v_lshl_add_u64 v[26:27], s[4:5], 0, v[2:3]
	v_lshl_add_u64 v[2:3], s[6:7], 0, v[2:3]
	v_add_u32_e32 v0, s15, v0
	global_load_dwordx2 v[28:29], v[2:3], off
	v_lshlrev_b64 v[2:3], 3, v[0:1]
	v_lshl_add_u64 v[30:31], s[4:5], 0, v[2:3]
	v_lshl_add_u64 v[2:3], s[6:7], 0, v[2:3]
	v_add_u32_e32 v0, s14, v0
	global_load_dwordx2 v[32:33], v[2:3], off
	v_lshlrev_b64 v[2:3], 3, v[0:1]
	s_mul_i32 s2, s14, 0xffffffe9
	global_load_dwordx2 v[4:5], v[4:5], off
	v_lshl_add_u64 v[34:35], s[4:5], 0, v[2:3]
	global_load_dwordx2 v[8:9], v[8:9], off
	v_lshl_add_u64 v[2:3], s[6:7], 0, v[2:3]
	v_add_u32_e32 v0, s2, v0
	global_load_dwordx2 v[14:15], v[14:15], off
	s_mul_i32 s17, s14, 15
	global_load_dwordx2 v[36:37], v[2:3], off
	v_lshlrev_b64 v[2:3], 3, v[0:1]
	global_load_dwordx2 v[18:19], v[18:19], off
	v_lshl_add_u64 v[38:39], s[4:5], 0, v[2:3]
	v_lshl_add_u64 v[2:3], s[6:7], 0, v[2:3]
	v_add_u32_e32 v0, s14, v0
	global_load_dwordx2 v[22:23], v[22:23], off
	s_mul_i32 s16, s14, 6
	global_load_dwordx2 v[26:27], v[26:27], off
	s_mul_i32 s20, s14, 5
	global_load_dwordx2 v[40:41], v[2:3], off
	v_lshlrev_b64 v[2:3], 3, v[0:1]
	global_load_dwordx2 v[30:31], v[30:31], off
	v_lshl_add_u64 v[42:43], s[4:5], 0, v[2:3]
	global_load_dwordx2 v[34:35], v[34:35], off
	v_lshl_add_u64 v[44:45], s[6:7], 0, v[2:3]
	global_load_dwordx2 v[38:39], v[38:39], off
	v_add_u32_e32 v0, s14, v0
	global_load_dwordx2 v[42:43], v[42:43], off
	v_lshlrev_b64 v[46:47], 3, v[0:1]
	global_load_dwordx2 v[44:45], v[44:45], off
	v_add_u32_e32 v0, s14, v0
	v_lshlrev_b64 v[50:51], 3, v[0:1]
	v_add_u32_e32 v0, s14, v12
	v_lshl_add_u64 v[48:49], s[4:5], 0, v[46:47]
	v_lshl_add_u64 v[46:47], s[6:7], 0, v[46:47]
	global_load_dwordx2 v[52:53], v[48:49], off
	global_load_dwordx2 v[54:55], v[46:47], off
	v_lshl_add_u64 v[46:47], s[4:5], 0, v[50:51]
	v_lshl_add_u64 v[48:49], s[6:7], 0, v[50:51]
	global_load_dwordx2 v[50:51], v[46:47], off
	global_load_dwordx2 v[56:57], v[48:49], off
	s_mul_i32 s21, s14, 9
	s_lshl_b32 s22, s14, 1
	s_mul_i32 s27, s14, 3
	s_lshl_b32 s24, s14, 3
	s_lshl_b32 s25, s14, 4
	s_mul_i32 s23, s14, 14
	s_mul_i32 s26, s14, 12
	s_load_dwordx2 s[12:13], s[0:1], 0x20
	v_lshl_add_u64 v[2:3], s[8:9], 0, v[2:3]
	s_waitcnt vmcnt(16)
	v_add_f64 v[4:5], v[4:5], -v[6:7]
	s_waitcnt vmcnt(15)
	v_add_f64 v[6:7], v[8:9], -v[10:11]
	v_add_f64 v[4:5], v[4:5], v[6:7]
	s_waitcnt vmcnt(14)
	v_add_f64 v[6:7], v[14:15], -v[16:17]
	v_add_f64 v[4:5], v[4:5], v[6:7]
	;; [unrolled: 3-line block ×3, first 2 shown]
	s_waitcnt vmcnt(11)
	v_add_f64 v[4:5], v[22:23], -v[24:25]
	s_waitcnt vmcnt(10)
	v_add_f64 v[6:7], v[26:27], -v[28:29]
	v_add_f64 v[6:7], v[4:5], v[6:7]
	s_waitcnt vmcnt(8)
	v_add_f64 v[4:5], v[30:31], -v[32:33]
	s_waitcnt vmcnt(7)
	v_add_f64 v[10:11], v[34:35], -v[36:37]
	v_add_f64 v[4:5], v[4:5], v[10:11]
	;; [unrolled: 5-line block ×3, first 2 shown]
	v_lshlrev_b64 v[10:11], 3, v[0:1]
	v_lshl_add_u64 v[16:17], s[4:5], 0, v[10:11]
	v_lshl_add_u64 v[10:11], s[6:7], 0, v[10:11]
	v_add_u32_e32 v0, s14, v0
	global_load_dwordx2 v[60:61], v[10:11], off
	v_lshlrev_b64 v[10:11], 3, v[0:1]
	global_load_dwordx2 v[58:59], v[16:17], off
	v_lshl_add_u64 v[16:17], s[4:5], 0, v[10:11]
	v_lshl_add_u64 v[22:23], s[6:7], 0, v[10:11]
	v_add_u32_e32 v0, s17, v0
	global_load_dwordx2 v[18:19], v[16:17], off
	global_load_dwordx2 v[20:21], v[22:23], off
	v_lshlrev_b64 v[26:27], 3, v[0:1]
	v_add_u32_e32 v0, s16, v0
	v_lshl_add_u64 v[24:25], s[4:5], 0, v[26:27]
	v_lshl_add_u64 v[26:27], s[6:7], 0, v[26:27]
	v_lshlrev_b64 v[30:31], 3, v[0:1]
	v_add_u32_e32 v0, s18, v0
	global_load_dwordx2 v[24:25], v[24:25], off
	v_lshl_add_u64 v[28:29], s[4:5], 0, v[30:31]
	global_load_dwordx2 v[26:27], v[26:27], off
	v_lshl_add_u64 v[30:31], s[6:7], 0, v[30:31]
	v_lshlrev_b64 v[34:35], 3, v[0:1]
	v_add_u32_e32 v0, s20, v0
	global_load_dwordx2 v[28:29], v[28:29], off
	v_lshl_add_u64 v[32:33], s[4:5], 0, v[34:35]
	global_load_dwordx2 v[30:31], v[30:31], off
	;; [unrolled: 6-line block ×3, first 2 shown]
	v_lshl_add_u64 v[38:39], s[6:7], 0, v[38:39]
	v_lshlrev_b64 v[42:43], 3, v[0:1]
	global_load_dwordx2 v[36:37], v[36:37], off
	v_lshl_add_u64 v[40:41], s[4:5], 0, v[42:43]
	global_load_dwordx2 v[38:39], v[38:39], off
	v_lshl_add_u64 v[42:43], s[6:7], 0, v[42:43]
	v_add_u32_e32 v0, s18, v0
	global_load_dwordx2 v[40:41], v[40:41], off
	v_lshlrev_b64 v[46:47], 3, v[0:1]
	global_load_dwordx2 v[42:43], v[42:43], off
	v_lshl_add_u64 v[44:45], s[4:5], 0, v[46:47]
	v_lshl_add_u64 v[46:47], s[6:7], 0, v[46:47]
	global_load_dwordx2 v[44:45], v[44:45], off
	s_waitcnt vmcnt(17)
	v_add_f64 v[48:49], v[52:53], -v[54:55]
	global_load_dwordx2 v[46:47], v[46:47], off
	v_add_f64 v[14:15], v[14:15], v[48:49]
	s_waitcnt vmcnt(16)
	v_add_f64 v[48:49], v[50:51], -v[56:57]
	v_add_f64 v[48:49], v[14:15], v[48:49]
	global_load_dwordx2 v[50:51], v[16:17], off
	global_load_dwordx2 v[52:53], v[22:23], off
	v_add_u32_e32 v0, s21, v0
	s_waitcnt lgkmcnt(0)
	s_load_dwordx2 s[28:29], s[12:13], 0x0
	v_lshl_add_u64 v[10:11], s[8:9], 0, v[10:11]
	s_waitcnt vmcnt(16)
	v_add_f64 v[14:15], v[58:59], -v[60:61]
	s_waitcnt vmcnt(14)
	v_add_f64 v[16:17], v[18:19], -v[20:21]
	v_add_f64 v[16:17], -v[14:15], -v[16:17]
	v_add_f64 v[16:17], v[48:49], v[16:17]
	v_lshlrev_b64 v[20:21], 3, v[0:1]
	v_add_u32_e32 v0, s22, v0
	s_waitcnt vmcnt(12)
	v_add_f64 v[22:23], v[24:25], -v[26:27]
	v_add_f64 v[16:17], v[16:17], v[22:23]
	v_lshlrev_b64 v[26:27], 3, v[0:1]
	v_add_u32_e32 v0, s14, v0
	v_lshl_add_u64 v[24:25], s[4:5], 0, v[20:21]
	v_lshl_add_u64 v[20:21], s[6:7], 0, v[20:21]
	s_waitcnt vmcnt(10)
	v_add_f64 v[18:19], v[28:29], -v[30:31]
	v_add_f64 v[16:17], v[16:17], v[18:19]
	v_lshlrev_b64 v[30:31], 3, v[0:1]
	v_add_u32_e32 v0, s27, v0
	global_load_dwordx2 v[24:25], v[24:25], off
	v_lshl_add_u64 v[28:29], s[4:5], 0, v[26:27]
	s_waitcnt vmcnt(9)
	v_add_f64 v[18:19], v[32:33], -v[34:35]
	v_add_f64 v[16:17], v[16:17], -v[18:19]
	global_load_dwordx2 v[20:21], v[20:21], off
	v_lshl_add_u64 v[26:27], s[6:7], 0, v[26:27]
	v_lshlrev_b64 v[34:35], 3, v[0:1]
	s_waitcnt vmcnt(8)
	v_add_f64 v[18:19], v[36:37], -v[38:39]
	v_add_u32_e32 v0, s24, v0
	v_add_f64 v[16:17], v[16:17], -v[18:19]
	global_load_dwordx2 v[28:29], v[28:29], off
	v_lshl_add_u64 v[32:33], s[4:5], 0, v[30:31]
	s_waitcnt vmcnt(7)
	v_add_f64 v[18:19], v[40:41], -v[42:43]
	global_load_dwordx2 v[26:27], v[26:27], off
	v_lshl_add_u64 v[30:31], s[6:7], 0, v[30:31]
	v_mad_u64_u32 v[42:43], s[2:3], s14, 24, v[0:1]
	global_load_dwordx2 v[32:33], v[32:33], off
	v_lshl_add_u64 v[36:37], s[4:5], 0, v[34:35]
	global_load_dwordx2 v[30:31], v[30:31], off
	v_lshl_add_u64 v[34:35], s[6:7], 0, v[34:35]
	v_lshlrev_b64 v[38:39], 3, v[0:1]
	v_mov_b32_e32 v43, v1
	v_add_f64 v[16:17], v[16:17], v[18:19]
	s_waitcnt vmcnt(8)
	v_add_f64 v[18:19], v[44:45], -v[46:47]
	global_load_dwordx2 v[36:37], v[36:37], off
	v_lshl_add_u64 v[40:41], s[4:5], 0, v[38:39]
	global_load_dwordx2 v[34:35], v[34:35], off
	v_lshl_add_u64 v[38:39], s[6:7], 0, v[38:39]
	v_lshlrev_b64 v[44:45], 3, v[42:43]
	v_add_u32_e32 v0, s16, v42
	global_load_dwordx2 v[40:41], v[40:41], off
	v_lshl_add_u64 v[46:47], s[4:5], 0, v[44:45]
	global_load_dwordx2 v[38:39], v[38:39], off
	v_lshl_add_u64 v[44:45], s[6:7], 0, v[44:45]
	v_lshlrev_b64 v[42:43], 3, v[0:1]
	v_mad_u64_u32 v[54:55], s[2:3], s14, 25, v[0:1]
	global_load_dwordx2 v[46:47], v[46:47], off
	v_lshl_add_u64 v[48:49], s[4:5], 0, v[42:43]
	global_load_dwordx2 v[44:45], v[44:45], off
	v_lshl_add_u64 v[42:43], s[6:7], 0, v[42:43]
	v_mov_b32_e32 v55, v1
	global_load_dwordx2 v[48:49], v[48:49], off
	v_lshlrev_b64 v[56:57], 3, v[54:55]
	global_load_dwordx2 v[42:43], v[42:43], off
	v_lshl_add_u64 v[58:59], s[4:5], 0, v[56:57]
	v_lshl_add_u64 v[56:57], s[6:7], 0, v[56:57]
	global_load_dwordx2 v[58:59], v[58:59], off
	v_add_f64 v[16:17], v[16:17], -v[18:19]
	global_load_dwordx2 v[56:57], v[56:57], off
	v_add_u32_e32 v0, s16, v54
	s_mul_i32 s2, s14, 0xffffff3c
	s_waitcnt vmcnt(14)
	v_add_f64 v[18:19], v[24:25], -v[20:21]
	v_add_f64 v[16:17], v[16:17], v[18:19]
	v_lshlrev_b64 v[20:21], 3, v[0:1]
	v_add_u32_e32 v0, s14, v0
	v_lshl_add_u64 v[24:25], s[4:5], 0, v[20:21]
	v_lshl_add_u64 v[20:21], s[6:7], 0, v[20:21]
	global_load_dwordx2 v[24:25], v[24:25], off
	s_waitcnt vmcnt(13)
	v_add_f64 v[18:19], v[28:29], -v[26:27]
	v_add_f64 v[16:17], v[16:17], v[18:19]
	v_lshlrev_b64 v[26:27], 3, v[0:1]
	v_add_u32_e32 v0, s25, v0
	global_load_dwordx2 v[20:21], v[20:21], off
	s_waitcnt vmcnt(12)
	v_add_f64 v[28:29], v[32:33], -v[30:31]
	v_add_f64 v[16:17], v[16:17], v[28:29]
	v_lshl_add_u64 v[30:31], s[4:5], 0, v[26:27]
	v_lshl_add_u64 v[26:27], s[6:7], 0, v[26:27]
	v_lshlrev_b64 v[32:33], 3, v[0:1]
	v_add_u32_e32 v0, s20, v0
	global_load_dwordx2 v[30:31], v[30:31], off
	s_waitcnt vmcnt(11)
	v_add_f64 v[18:19], v[36:37], -v[34:35]
	v_add_f64 v[16:17], v[16:17], -v[18:19]
	global_load_dwordx2 v[26:27], v[26:27], off
	v_lshl_add_u64 v[34:35], s[4:5], 0, v[32:33]
	v_lshl_add_u64 v[32:33], s[6:7], 0, v[32:33]
	v_lshlrev_b64 v[36:37], 3, v[0:1]
	s_waitcnt vmcnt(10)
	v_add_f64 v[18:19], v[40:41], -v[38:39]
	v_add_u32_e32 v0, s22, v0
	v_add_f64 v[16:17], v[16:17], v[18:19]
	global_load_dwordx2 v[34:35], v[34:35], off
	v_lshl_add_u64 v[38:39], s[4:5], 0, v[36:37]
	global_load_dwordx2 v[32:33], v[32:33], off
	v_lshl_add_u64 v[36:37], s[6:7], 0, v[36:37]
	s_waitcnt vmcnt(10)
	v_add_f64 v[18:19], v[46:47], -v[44:45]
	v_lshlrev_b64 v[40:41], 3, v[0:1]
	v_add_u32_e32 v0, s23, v0
	v_add_f64 v[16:17], v[16:17], v[18:19]
	global_load_dwordx2 v[38:39], v[38:39], off
	s_waitcnt vmcnt(9)
	v_add_f64 v[18:19], v[48:49], -v[42:43]
	global_load_dwordx2 v[36:37], v[36:37], off
	v_lshl_add_u64 v[42:43], s[4:5], 0, v[40:41]
	v_lshl_add_u64 v[40:41], s[6:7], 0, v[40:41]
	v_lshlrev_b64 v[44:45], 3, v[0:1]
	v_add_u32_e32 v0, s21, v0
	global_load_dwordx2 v[42:43], v[42:43], off
	v_lshl_add_u64 v[46:47], s[4:5], 0, v[44:45]
	global_load_dwordx2 v[40:41], v[40:41], off
	v_lshl_add_u64 v[44:45], s[6:7], 0, v[44:45]
	v_lshlrev_b64 v[48:49], 3, v[0:1]
	v_add_u32_e32 v0, s26, v0
	v_add_f64 v[16:17], v[16:17], v[18:19]
	s_waitcnt vmcnt(10)
	v_add_f64 v[18:19], v[58:59], -v[56:57]
	global_load_dwordx2 v[46:47], v[46:47], off
	v_lshl_add_u64 v[54:55], s[4:5], 0, v[48:49]
	global_load_dwordx2 v[44:45], v[44:45], off
	v_lshl_add_u64 v[48:49], s[6:7], 0, v[48:49]
	v_lshlrev_b64 v[56:57], 3, v[0:1]
	global_load_dwordx2 v[54:55], v[54:55], off
	v_lshl_add_u64 v[58:59], s[4:5], 0, v[56:57]
	global_load_dwordx2 v[48:49], v[48:49], off
	v_lshl_add_u64 v[56:57], s[6:7], 0, v[56:57]
	global_load_dwordx2 v[58:59], v[58:59], off
	v_add_f64 v[16:17], v[16:17], v[18:19]
	global_load_dwordx2 v[56:57], v[56:57], off
	v_add_u32_e32 v0, s24, v0
	s_waitcnt vmcnt(14)
	v_add_f64 v[18:19], v[24:25], -v[20:21]
	v_add_f64 v[16:17], v[16:17], v[18:19]
	v_lshlrev_b64 v[24:25], 3, v[12:13]
	v_lshl_add_u64 v[12:13], s[4:5], 0, v[24:25]
	s_waitcnt vmcnt(12)
	v_add_f64 v[18:19], v[30:31], -v[26:27]
	v_add_f64 v[16:17], v[16:17], v[18:19]
	global_load_dwordx2 v[26:27], v[12:13], off
	v_lshl_add_u64 v[12:13], s[6:7], 0, v[24:25]
	global_load_dwordx2 v[30:31], v[12:13], off
	s_waitcnt vmcnt(12)
	v_add_f64 v[18:19], v[34:35], -v[32:33]
	v_add_f64 v[16:17], v[16:17], v[18:19]
	s_waitcnt vmcnt(10)
	v_add_f64 v[18:19], v[38:39], -v[36:37]
	v_add_f64 v[16:17], v[16:17], v[18:19]
	;; [unrolled: 3-line block ×6, first 2 shown]
	v_lshlrev_b64 v[18:19], 3, v[0:1]
	v_lshl_add_u64 v[20:21], s[4:5], 0, v[18:19]
	v_lshl_add_u64 v[18:19], s[6:7], 0, v[18:19]
	global_load_dwordx2 v[20:21], v[20:21], off
	v_add_u32_e32 v0, s2, v0
	global_load_dwordx2 v[18:19], v[18:19], off
	v_lshlrev_b64 v[12:13], 3, v[0:1]
	v_add_u32_e32 v0, s16, v0
	v_lshl_add_u64 v[32:33], s[4:5], 0, v[12:13]
	v_lshl_add_u64 v[36:37], s[6:7], 0, v[12:13]
	v_lshlrev_b64 v[40:41], 3, v[0:1]
	v_add_u32_e32 v0, s14, v0
	global_load_dwordx2 v[34:35], v[32:33], off
	global_load_dwordx2 v[38:39], v[36:37], off
	v_lshl_add_u64 v[42:43], s[4:5], 0, v[40:41]
	v_lshl_add_u64 v[40:41], s[6:7], 0, v[40:41]
	v_lshlrev_b64 v[44:45], 3, v[0:1]
	global_load_dwordx2 v[42:43], v[42:43], off
	v_lshl_add_u64 v[46:47], s[4:5], 0, v[44:45]
	global_load_dwordx2 v[40:41], v[40:41], off
	v_lshl_add_u64 v[44:45], s[6:7], 0, v[44:45]
	v_add_u32_e32 v0, s16, v0
	global_load_dwordx2 v[46:47], v[46:47], off
	v_lshlrev_b64 v[48:49], 3, v[0:1]
	global_load_dwordx2 v[44:45], v[44:45], off
	v_lshl_add_u64 v[54:55], s[4:5], 0, v[48:49]
	v_lshl_add_u64 v[48:49], s[6:7], 0, v[48:49]
	global_load_dwordx2 v[56:57], v[54:55], off
	global_load_dwordx2 v[58:59], v[48:49], off
	s_load_dwordx4 s[0:3], s[12:13], 0x10
	v_add_u32_e32 v0, s27, v0
	v_lshl_add_u64 v[12:13], s[8:9], 0, v[12:13]
	s_waitcnt vmcnt(8)
	v_add_f64 v[18:19], v[20:21], -v[18:19]
	v_add_f64 v[16:17], v[16:17], v[18:19]
	v_mul_f64 v[16:17], s[10:11], v[16:17]
	s_waitcnt lgkmcnt(0)
	v_mul_f64 v[16:17], s[28:29], v[16:17]
	v_lshl_add_u64 v[18:19], s[8:9], 0, v[24:25]
	v_add_f64 v[24:25], v[26:27], -v[30:31]
	global_store_dwordx2 v[18:19], v[16:17], off
	v_add_f64 v[18:19], v[24:25], -v[14:15]
	s_waitcnt vmcnt(7)
	v_add_f64 v[20:21], v[34:35], -v[38:39]
	v_add_f64 v[18:19], v[18:19], v[20:21]
	global_load_dwordx2 v[14:15], v[32:33], off
	global_load_dwordx2 v[16:17], v[36:37], off
	s_waitcnt vmcnt(7)
	v_add_f64 v[20:21], v[42:43], -v[40:41]
	v_add_f64 v[18:19], v[18:19], -v[20:21]
	s_waitcnt vmcnt(5)
	v_add_f64 v[26:27], v[46:47], -v[44:45]
	v_add_f64 v[18:19], v[18:19], -v[26:27]
	;; [unrolled: 1-line block ×3, first 2 shown]
	global_load_dwordx2 v[18:19], v[54:55], off
	global_load_dwordx2 v[20:21], v[48:49], off
	s_waitcnt vmcnt(5)
	v_add_f64 v[32:33], v[56:57], -v[58:59]
	v_add_f64 v[30:31], v[30:31], v[32:33]
	v_lshlrev_b64 v[32:33], 3, v[0:1]
	v_add_u32_e32 v0, s16, v0
	v_lshlrev_b64 v[36:37], 3, v[0:1]
	v_add_u32_e32 v0, s27, v0
	v_lshl_add_u64 v[34:35], s[4:5], 0, v[32:33]
	v_lshl_add_u64 v[32:33], s[6:7], 0, v[32:33]
	v_lshlrev_b64 v[40:41], 3, v[0:1]
	global_load_dwordx2 v[34:35], v[34:35], off
	v_lshl_add_u64 v[38:39], s[4:5], 0, v[36:37]
	global_load_dwordx2 v[32:33], v[32:33], off
	v_lshl_add_u64 v[36:37], s[6:7], 0, v[36:37]
	v_lshl_add_u64 v[42:43], s[4:5], 0, v[40:41]
	;; [unrolled: 1-line block ×3, first 2 shown]
	v_add_u32_e32 v0, s27, v0
	global_load_dwordx2 v[38:39], v[38:39], off
	s_waitcnt vmcnt(5)
	v_add_f64 v[14:15], v[14:15], -v[16:17]
	global_load_dwordx2 v[36:37], v[36:37], off
	s_nop 0
	global_load_dwordx2 v[44:45], v[40:41], off
	v_lshlrev_b64 v[40:41], 3, v[0:1]
	v_add_u32_e32 v0, s22, v0
	global_load_dwordx2 v[42:43], v[42:43], off
	v_lshl_add_u64 v[46:47], s[4:5], 0, v[40:41]
	v_lshl_add_u64 v[54:55], s[6:7], 0, v[40:41]
	v_lshlrev_b64 v[40:41], 3, v[0:1]
	global_load_dwordx2 v[48:49], v[46:47], off
	global_load_dwordx2 v[56:57], v[54:55], off
	v_lshl_add_u64 v[58:59], s[4:5], 0, v[40:41]
	v_lshl_add_u64 v[40:41], s[6:7], 0, v[40:41]
	global_load_dwordx2 v[58:59], v[58:59], off
	v_add_u32_e32 v0, s15, v0
	global_load_dwordx2 v[60:61], v[40:41], off
	s_waitcnt vmcnt(8)
	v_add_f64 v[40:41], v[34:35], -v[32:33]
	v_add_f64 v[30:31], v[30:31], -v[40:41]
	v_lshlrev_b64 v[34:35], 3, v[0:1]
	v_add_u32_e32 v0, s20, v0
	s_waitcnt vmcnt(6)
	v_add_f64 v[32:33], v[38:39], -v[36:37]
	v_add_f64 v[30:31], v[30:31], -v[32:33]
	global_load_dwordx2 v[36:37], v[46:47], off
	global_load_dwordx2 v[38:39], v[54:55], off
	v_lshl_add_u64 v[46:47], s[4:5], 0, v[34:35]
	v_lshl_add_u64 v[34:35], s[6:7], 0, v[34:35]
	s_waitcnt vmcnt(6)
	v_add_f64 v[32:33], v[42:43], -v[44:45]
	v_lshlrev_b64 v[42:43], 3, v[0:1]
	v_add_f64 v[30:31], v[30:31], -v[32:33]
	global_load_dwordx2 v[54:55], v[34:35], off
	v_lshl_add_u64 v[44:45], s[4:5], 0, v[42:43]
	s_waitcnt vmcnt(5)
	v_add_f64 v[32:33], v[48:49], -v[56:57]
	global_load_dwordx2 v[48:49], v[46:47], off
	global_load_dwordx2 v[56:57], v[44:45], off
	v_lshl_add_u64 v[42:43], s[6:7], 0, v[42:43]
	v_add_f64 v[30:31], v[30:31], v[32:33]
	s_waitcnt vmcnt(5)
	v_add_f64 v[32:33], v[58:59], -v[60:61]
	global_load_dwordx2 v[58:59], v[42:43], off
	v_add_u32_e32 v0, s14, v0
	v_lshlrev_b64 v[42:43], 3, v[0:1]
	v_lshl_add_u64 v[44:45], s[4:5], 0, v[42:43]
	v_lshl_add_u64 v[42:43], s[6:7], 0, v[42:43]
	v_add_u32_e32 v0, s16, v0
	global_load_dwordx2 v[60:61], v[44:45], off
	global_load_dwordx2 v[62:63], v[42:43], off
	s_nop 0
	global_load_dwordx2 v[42:43], v[46:47], off
	global_load_dwordx2 v[44:45], v[34:35], off
	v_lshlrev_b64 v[34:35], 3, v[0:1]
	v_lshl_add_u64 v[46:47], s[4:5], 0, v[34:35]
	v_lshl_add_u64 v[34:35], s[6:7], 0, v[34:35]
	v_add_u32_e32 v0, s26, v0
	v_add_f64 v[30:31], v[30:31], -v[32:33]
	global_load_dwordx2 v[46:47], v[46:47], off
	s_waitcnt vmcnt(7)
	v_add_f64 v[32:33], v[48:49], -v[54:55]
	global_load_dwordx2 v[34:35], v[34:35], off
	v_lshlrev_b64 v[48:49], 3, v[0:1]
	v_add_u32_e32 v0, s19, v0
	v_add_f64 v[30:31], v[30:31], v[32:33]
	s_waitcnt vmcnt(6)
	v_add_f64 v[32:33], v[56:57], -v[58:59]
	v_lshl_add_u64 v[54:55], s[4:5], 0, v[48:49]
	v_lshl_add_u64 v[48:49], s[6:7], 0, v[48:49]
	v_lshlrev_b64 v[56:57], 3, v[0:1]
	global_load_dwordx2 v[54:55], v[54:55], off
	v_lshl_add_u64 v[58:59], s[4:5], 0, v[56:57]
	global_load_dwordx2 v[48:49], v[48:49], off
	v_lshl_add_u64 v[56:57], s[6:7], 0, v[56:57]
	global_load_dwordx2 v[58:59], v[58:59], off
	v_add_f64 v[30:31], v[30:31], -v[32:33]
	global_load_dwordx2 v[56:57], v[56:57], off
	s_waitcnt vmcnt(8)
	v_add_f64 v[32:33], v[60:61], -v[62:63]
	v_add_f64 v[30:31], v[30:31], -v[32:33]
	v_add_u32_e32 v0, s16, v0
	s_mul_i32 s19, s14, 17
	s_waitcnt vmcnt(4)
	v_add_f64 v[32:33], v[46:47], -v[34:35]
	v_add_f64 v[30:31], v[30:31], -v[32:33]
	;; [unrolled: 1-line block ×3, first 2 shown]
	s_waitcnt vmcnt(2)
	v_add_f64 v[30:31], v[54:55], -v[48:49]
	v_add_f64 v[28:29], v[28:29], -v[30:31]
	s_waitcnt vmcnt(0)
	v_add_f64 v[30:31], v[58:59], -v[56:57]
	v_add_f64 v[28:29], v[28:29], -v[30:31]
	v_lshlrev_b64 v[30:31], 3, v[0:1]
	v_add_u32_e32 v0, s27, v0
	v_lshl_add_u64 v[32:33], s[4:5], 0, v[30:31]
	v_lshl_add_u64 v[30:31], s[6:7], 0, v[30:31]
	v_lshlrev_b64 v[34:35], 3, v[0:1]
	v_add_u32_e32 v0, s19, v0
	global_load_dwordx2 v[32:33], v[32:33], off
	v_lshl_add_u64 v[46:47], s[4:5], 0, v[34:35]
	global_load_dwordx2 v[30:31], v[30:31], off
	v_lshl_add_u64 v[34:35], s[6:7], 0, v[34:35]
	v_lshlrev_b64 v[56:57], 3, v[0:1]
	global_load_dwordx2 v[48:49], v[46:47], off
	global_load_dwordx2 v[54:55], v[34:35], off
	v_lshl_add_u64 v[58:59], s[4:5], 0, v[56:57]
	v_lshl_add_u64 v[56:57], s[6:7], 0, v[56:57]
	global_load_dwordx2 v[58:59], v[58:59], off
	v_add_u32_e32 v0, s15, v0
	global_load_dwordx2 v[56:57], v[56:57], off
	s_waitcnt vmcnt(4)
	v_add_f64 v[30:31], v[32:33], -v[30:31]
	v_add_f64 v[32:33], v[28:29], -v[30:31]
	global_load_dwordx2 v[28:29], v[46:47], off
	global_load_dwordx2 v[30:31], v[34:35], off
	s_waitcnt vmcnt(4)
	v_add_f64 v[34:35], v[48:49], -v[54:55]
	v_add_f64 v[32:33], v[32:33], v[34:35]
	s_waitcnt vmcnt(2)
	v_add_f64 v[34:35], v[58:59], -v[56:57]
	v_add_f64 v[32:33], v[32:33], -v[34:35]
	v_lshlrev_b64 v[34:35], 3, v[0:1]
	v_add_u32_e32 v0, s16, v0
	v_lshl_add_u64 v[46:47], s[4:5], 0, v[34:35]
	v_lshl_add_u64 v[34:35], s[6:7], 0, v[34:35]
	v_lshlrev_b64 v[48:49], 3, v[0:1]
	v_add_u32_e32 v0, s18, v0
	global_load_dwordx2 v[46:47], v[46:47], off
	v_lshl_add_u64 v[54:55], s[4:5], 0, v[48:49]
	global_load_dwordx2 v[34:35], v[34:35], off
	v_lshl_add_u64 v[48:49], s[6:7], 0, v[48:49]
	v_lshlrev_b64 v[56:57], 3, v[0:1]
	global_load_dwordx2 v[54:55], v[54:55], off
	v_lshl_add_u64 v[58:59], s[4:5], 0, v[56:57]
	global_load_dwordx2 v[48:49], v[48:49], off
	v_lshl_add_u64 v[56:57], s[6:7], 0, v[56:57]
	global_load_dwordx2 v[58:59], v[58:59], off
	v_add_u32_e32 v0, s14, v0
	global_load_dwordx2 v[56:57], v[56:57], off
	s_waitcnt vmcnt(4)
	v_add_f64 v[34:35], v[46:47], -v[34:35]
	v_add_f64 v[32:33], v[32:33], -v[34:35]
	s_waitcnt vmcnt(2)
	v_add_f64 v[34:35], v[54:55], -v[48:49]
	v_add_f64 v[32:33], v[32:33], -v[34:35]
	s_waitcnt vmcnt(0)
	v_add_f64 v[34:35], v[58:59], -v[56:57]
	v_add_f64 v[32:33], v[32:33], -v[34:35]
	v_lshlrev_b64 v[34:35], 3, v[0:1]
	v_add_u32_e32 v0, s16, v0
	v_lshl_add_u64 v[46:47], s[4:5], 0, v[34:35]
	v_lshl_add_u64 v[34:35], s[6:7], 0, v[34:35]
	v_lshlrev_b64 v[48:49], 3, v[0:1]
	v_add_u32_e32 v0, s16, v0
	global_load_dwordx2 v[46:47], v[46:47], off
	v_lshl_add_u64 v[54:55], s[4:5], 0, v[48:49]
	global_load_dwordx2 v[34:35], v[34:35], off
	v_lshl_add_u64 v[48:49], s[6:7], 0, v[48:49]
	v_lshlrev_b64 v[56:57], 3, v[0:1]
	global_load_dwordx2 v[54:55], v[54:55], off
	v_lshl_add_u64 v[58:59], s[4:5], 0, v[56:57]
	global_load_dwordx2 v[48:49], v[48:49], off
	v_lshl_add_u64 v[56:57], s[6:7], 0, v[56:57]
	global_load_dwordx2 v[58:59], v[58:59], off
	v_add_u32_e32 v0, s14, v0
	global_load_dwordx2 v[56:57], v[56:57], off
	s_waitcnt vmcnt(4)
	v_add_f64 v[34:35], v[46:47], -v[34:35]
	v_add_f64 v[32:33], v[32:33], -v[34:35]
	s_waitcnt vmcnt(2)
	v_add_f64 v[34:35], v[54:55], -v[48:49]
	v_add_f64 v[32:33], v[32:33], -v[34:35]
	;; [unrolled: 27-line block ×3, first 2 shown]
	s_waitcnt vmcnt(0)
	v_add_f64 v[34:35], v[58:59], -v[56:57]
	v_add_f64 v[46:47], v[32:33], -v[34:35]
	v_lshlrev_b64 v[32:33], 3, v[0:1]
	v_add_u32_e32 v0, s26, v0
	v_lshl_add_u64 v[34:35], s[4:5], 0, v[32:33]
	v_lshl_add_u64 v[54:55], s[6:7], 0, v[32:33]
	v_lshlrev_b64 v[32:33], 3, v[0:1]
	global_load_dwordx2 v[48:49], v[34:35], off
	global_load_dwordx2 v[56:57], v[54:55], off
	v_lshl_add_u64 v[58:59], s[4:5], 0, v[32:33]
	global_load_dwordx2 v[58:59], v[58:59], off
	v_lshl_add_u64 v[60:61], s[6:7], 0, v[32:33]
	global_load_dwordx2 v[62:63], v[60:61], off
	global_load_dwordx2 v[32:33], v[34:35], off
                                        ; kill: killed $vgpr34_vgpr35
                                        ; kill: killed $vgpr60_vgpr61
	s_nop 0
	global_load_dwordx2 v[34:35], v[54:55], off
	v_add_u32_e32 v0, s18, v0
	s_waitcnt vmcnt(4)
	v_add_f64 v[48:49], v[48:49], -v[56:57]
	v_add_f64 v[46:47], v[46:47], v[48:49]
	s_waitcnt vmcnt(2)
	v_add_f64 v[48:49], v[58:59], -v[62:63]
	v_add_f64 v[46:47], v[46:47], -v[48:49]
	v_lshlrev_b64 v[48:49], 3, v[0:1]
	v_add_u32_e32 v0, s14, v0
	v_lshl_add_u64 v[54:55], s[4:5], 0, v[48:49]
	v_lshl_add_u64 v[48:49], s[6:7], 0, v[48:49]
	v_lshlrev_b64 v[56:57], 3, v[0:1]
	global_load_dwordx2 v[54:55], v[54:55], off
	v_lshl_add_u64 v[58:59], s[4:5], 0, v[56:57]
	global_load_dwordx2 v[48:49], v[48:49], off
	v_lshl_add_u64 v[56:57], s[6:7], 0, v[56:57]
	global_load_dwordx2 v[58:59], v[58:59], off
	v_add_u32_e32 v0, s14, v0
	global_load_dwordx2 v[56:57], v[56:57], off
	s_waitcnt vmcnt(2)
	v_add_f64 v[48:49], v[54:55], -v[48:49]
	v_add_f64 v[46:47], v[46:47], -v[48:49]
	s_waitcnt vmcnt(0)
	v_add_f64 v[48:49], v[58:59], -v[56:57]
	v_add_f64 v[46:47], v[46:47], -v[48:49]
	v_lshlrev_b64 v[48:49], 3, v[0:1]
	v_add_u32_e32 v0, s26, v0
	v_lshl_add_u64 v[54:55], s[4:5], 0, v[48:49]
	v_lshl_add_u64 v[48:49], s[6:7], 0, v[48:49]
	v_lshlrev_b64 v[56:57], 3, v[0:1]
	global_load_dwordx2 v[54:55], v[54:55], off
	v_lshl_add_u64 v[58:59], s[4:5], 0, v[56:57]
	global_load_dwordx2 v[48:49], v[48:49], off
	v_lshl_add_u64 v[56:57], s[6:7], 0, v[56:57]
	global_load_dwordx2 v[58:59], v[58:59], off
	v_add_u32_e32 v0, s14, v0
	global_load_dwordx2 v[56:57], v[56:57], off
	s_waitcnt vmcnt(2)
	v_add_f64 v[48:49], v[54:55], -v[48:49]
	v_add_f64 v[46:47], v[46:47], -v[48:49]
	;; [unrolled: 18-line block ×4, first 2 shown]
	s_waitcnt vmcnt(0)
	v_add_f64 v[48:49], v[58:59], -v[56:57]
	v_add_f64 v[46:47], v[46:47], -v[48:49]
	v_lshlrev_b64 v[48:49], 3, v[0:1]
	v_add_u32_e32 v0, s16, v0
	v_lshl_add_u64 v[54:55], s[4:5], 0, v[48:49]
	v_lshl_add_u64 v[48:49], s[6:7], 0, v[48:49]
	v_lshlrev_b64 v[56:57], 3, v[0:1]
	global_load_dwordx2 v[54:55], v[54:55], off
	v_lshl_add_u64 v[58:59], s[4:5], 0, v[56:57]
	global_load_dwordx2 v[48:49], v[48:49], off
	v_lshl_add_u64 v[56:57], s[6:7], 0, v[56:57]
	global_load_dwordx2 v[58:59], v[58:59], off
	s_waitcnt vmcnt(1)
	v_add_f64 v[48:49], v[54:55], -v[48:49]
	global_load_dwordx2 v[56:57], v[56:57], off
	v_add_f64 v[46:47], v[46:47], -v[48:49]
	s_waitcnt vmcnt(0)
	v_add_f64 v[48:49], v[58:59], -v[56:57]
	v_add_f64 v[46:47], v[46:47], -v[48:49]
	v_mul_f64 v[46:47], s[10:11], v[46:47]
	v_mul_f64 v[46:47], s[0:1], v[46:47]
	s_mul_i32 s0, s14, 0xffffff4c
	v_add_u32_e32 v0, s0, v0
	global_store_dwordx2 v[10:11], v[46:47], off
	v_add_f64 v[10:11], v[26:27], -v[24:25]
	v_lshlrev_b64 v[24:25], 3, v[0:1]
	v_lshl_add_u64 v[26:27], s[4:5], 0, v[24:25]
	v_lshl_add_u64 v[24:25], s[6:7], 0, v[24:25]
	global_load_dwordx2 v[46:47], v[26:27], off
	global_load_dwordx2 v[48:49], v[24:25], off
	v_mad_u64_u32 v[54:55], s[0:1], s14, 26, v[0:1]
	v_mov_b32_e32 v55, v1
	v_lshlrev_b64 v[56:57], 3, v[54:55]
	v_lshl_add_u64 v[58:59], s[4:5], 0, v[56:57]
	v_lshl_add_u64 v[56:57], s[6:7], 0, v[56:57]
	global_load_dwordx2 v[58:59], v[58:59], off
	v_add_f64 v[8:9], v[10:11], -v[8:9]
	global_load_dwordx2 v[56:57], v[56:57], off
	v_add_f64 v[8:9], v[22:23], v[8:9]
	v_add_f64 v[8:9], v[8:9], v[40:41]
	global_load_dwordx2 v[10:11], v[26:27], off
	global_load_dwordx2 v[22:23], v[24:25], off
	v_add_u32_e32 v0, s15, v54
	s_mul_i32 s0, s14, 13
	s_waitcnt vmcnt(4)
	v_add_f64 v[24:25], v[46:47], -v[48:49]
	v_add_f64 v[8:9], v[8:9], v[24:25]
	v_lshlrev_b64 v[24:25], 3, v[0:1]
	v_add_u32_e32 v0, s14, v0
	v_add_f64 v[6:7], v[6:7], v[8:9]
	v_add_f64 v[8:9], v[36:37], -v[38:39]
	v_lshl_add_u64 v[26:27], s[4:5], 0, v[24:25]
	v_lshl_add_u64 v[24:25], s[6:7], 0, v[24:25]
	v_lshlrev_b64 v[36:37], 3, v[0:1]
	v_add_u32_e32 v0, s0, v0
	global_load_dwordx2 v[26:27], v[26:27], off
	v_lshl_add_u64 v[38:39], s[4:5], 0, v[36:37]
	global_load_dwordx2 v[24:25], v[24:25], off
	v_lshl_add_u64 v[36:37], s[6:7], 0, v[36:37]
	v_lshlrev_b64 v[40:41], 3, v[0:1]
	v_add_u32_e32 v0, s14, v0
	v_add_f64 v[6:7], v[6:7], -v[8:9]
	v_add_f64 v[8:9], v[42:43], -v[44:45]
	global_load_dwordx2 v[38:39], v[38:39], off
	v_lshl_add_u64 v[42:43], s[4:5], 0, v[40:41]
	global_load_dwordx2 v[36:37], v[36:37], off
	v_lshl_add_u64 v[40:41], s[6:7], 0, v[40:41]
	v_lshlrev_b64 v[44:45], 3, v[0:1]
	v_add_u32_e32 v0, s21, v0
	v_add_f64 v[6:7], v[6:7], -v[8:9]
	s_waitcnt vmcnt(6)
	v_add_f64 v[8:9], v[58:59], -v[56:57]
	global_load_dwordx2 v[42:43], v[42:43], off
	v_lshl_add_u64 v[46:47], s[4:5], 0, v[44:45]
	global_load_dwordx2 v[40:41], v[40:41], off
	v_lshl_add_u64 v[44:45], s[6:7], 0, v[44:45]
	v_lshlrev_b64 v[56:57], 3, v[0:1]
	global_load_dwordx2 v[48:49], v[46:47], off
	global_load_dwordx2 v[54:55], v[44:45], off
	v_lshl_add_u64 v[58:59], s[4:5], 0, v[56:57]
	v_lshl_add_u64 v[56:57], s[6:7], 0, v[56:57]
	global_load_dwordx2 v[58:59], v[58:59], off
	v_add_f64 v[6:7], v[6:7], -v[8:9]
	global_load_dwordx2 v[56:57], v[56:57], off
	v_add_u32_e32 v0, s24, v0
	s_waitcnt vmcnt(10)
	v_add_f64 v[10:11], v[10:11], -v[22:23]
	s_waitcnt vmcnt(8)
	v_add_f64 v[8:9], v[26:27], -v[24:25]
	v_add_f64 v[6:7], v[6:7], -v[8:9]
	s_waitcnt vmcnt(6)
	v_add_f64 v[8:9], v[38:39], -v[36:37]
	;; [unrolled: 3-line block ×3, first 2 shown]
	v_add_f64 v[24:25], v[6:7], -v[8:9]
	global_load_dwordx2 v[6:7], v[46:47], off
	global_load_dwordx2 v[8:9], v[44:45], off
	s_waitcnt vmcnt(4)
	v_add_f64 v[26:27], v[48:49], -v[54:55]
	v_add_f64 v[24:25], v[24:25], -v[26:27]
	s_waitcnt vmcnt(2)
	v_add_f64 v[26:27], v[58:59], -v[56:57]
	v_add_f64 v[24:25], v[24:25], -v[26:27]
	;; [unrolled: 1-line block ×3, first 2 shown]
	v_lshlrev_b64 v[28:29], 3, v[0:1]
	v_lshl_add_u64 v[30:31], s[4:5], 0, v[28:29]
	v_lshl_add_u64 v[28:29], s[6:7], 0, v[28:29]
	global_load_dwordx2 v[30:31], v[30:31], off
	v_add_u32_e32 v0, s14, v0
	global_load_dwordx2 v[28:29], v[28:29], off
	v_lshlrev_b64 v[36:37], 3, v[0:1]
	v_lshl_add_u64 v[38:39], s[4:5], 0, v[36:37]
	v_lshl_add_u64 v[36:37], s[6:7], 0, v[36:37]
	global_load_dwordx2 v[38:39], v[38:39], off
	v_add_u32_e32 v0, s19, v0
	global_load_dwordx2 v[36:37], v[36:37], off
	v_lshlrev_b64 v[40:41], 3, v[0:1]
	v_lshl_add_u64 v[42:43], s[4:5], 0, v[40:41]
	v_lshl_add_u64 v[40:41], s[6:7], 0, v[40:41]
	v_add_u32_e32 v0, s21, v0
	global_load_dwordx2 v[42:43], v[42:43], off
	v_lshlrev_b64 v[44:45], 3, v[0:1]
	global_load_dwordx2 v[40:41], v[40:41], off
	v_add_u32_e32 v0, s17, v0
	v_lshl_add_u64 v[46:47], s[4:5], 0, v[44:45]
	v_lshl_add_u64 v[44:45], s[6:7], 0, v[44:45]
	v_lshlrev_b64 v[48:49], 3, v[0:1]
	v_add_u32_e32 v0, s0, v0
	global_load_dwordx2 v[46:47], v[46:47], off
	v_lshl_add_u64 v[54:55], s[4:5], 0, v[48:49]
	global_load_dwordx2 v[44:45], v[44:45], off
	v_lshl_add_u64 v[48:49], s[6:7], 0, v[48:49]
	v_lshlrev_b64 v[56:57], 3, v[0:1]
	global_load_dwordx2 v[54:55], v[54:55], off
	v_lshl_add_u64 v[58:59], s[4:5], 0, v[56:57]
	global_load_dwordx2 v[48:49], v[48:49], off
	v_lshl_add_u64 v[56:57], s[6:7], 0, v[56:57]
	global_load_dwordx2 v[58:59], v[58:59], off
	v_add_u32_e32 v0, s22, v0
	global_load_dwordx2 v[56:57], v[56:57], off
	v_add_f64 v[24:25], v[24:25], -v[26:27]
	s_waitcnt vmcnt(12)
	v_add_f64 v[6:7], v[6:7], -v[8:9]
	s_waitcnt vmcnt(10)
	v_add_f64 v[26:27], v[30:31], -v[28:29]
	v_lshlrev_b64 v[28:29], 3, v[0:1]
	v_lshl_add_u64 v[30:31], s[4:5], 0, v[28:29]
	v_lshl_add_u64 v[28:29], s[6:7], 0, v[28:29]
	global_load_dwordx2 v[30:31], v[30:31], off
	v_add_u32_e32 v0, s0, v0
	global_load_dwordx2 v[28:29], v[28:29], off
	v_add_f64 v[24:25], v[24:25], -v[26:27]
	s_waitcnt vmcnt(10)
	v_add_f64 v[26:27], v[38:39], -v[36:37]
	v_lshlrev_b64 v[36:37], 3, v[0:1]
	v_lshl_add_u64 v[38:39], s[4:5], 0, v[36:37]
	v_lshl_add_u64 v[36:37], s[6:7], 0, v[36:37]
	global_load_dwordx2 v[38:39], v[38:39], off
	v_add_u32_e32 v0, s14, v0
	global_load_dwordx2 v[36:37], v[36:37], off
	v_add_f64 v[24:25], v[24:25], v[26:27]
	s_waitcnt vmcnt(10)
	v_add_f64 v[26:27], v[42:43], -v[40:41]
	v_lshlrev_b64 v[40:41], 3, v[0:1]
	v_lshl_add_u64 v[42:43], s[4:5], 0, v[40:41]
	v_lshl_add_u64 v[40:41], s[6:7], 0, v[40:41]
	v_add_u32_e32 v0, s24, v0
	v_add_f64 v[24:25], v[24:25], -v[26:27]
	s_waitcnt vmcnt(8)
	v_add_f64 v[26:27], v[46:47], -v[44:45]
	global_load_dwordx2 v[42:43], v[42:43], off
	v_lshlrev_b64 v[44:45], 3, v[0:1]
	global_load_dwordx2 v[40:41], v[40:41], off
	v_add_u32_e32 v0, s26, v0
	v_add_f64 v[24:25], v[24:25], -v[26:27]
	s_waitcnt vmcnt(8)
	v_add_f64 v[26:27], v[54:55], -v[48:49]
	v_lshl_add_u64 v[46:47], s[4:5], 0, v[44:45]
	v_lshl_add_u64 v[44:45], s[6:7], 0, v[44:45]
	v_lshlrev_b64 v[48:49], 3, v[0:1]
	v_add_u32_e32 v0, s14, v0
	v_add_f64 v[24:25], v[24:25], -v[26:27]
	s_waitcnt vmcnt(6)
	v_add_f64 v[26:27], v[58:59], -v[56:57]
	global_load_dwordx2 v[46:47], v[46:47], off
	v_lshl_add_u64 v[54:55], s[4:5], 0, v[48:49]
	global_load_dwordx2 v[44:45], v[44:45], off
	v_lshl_add_u64 v[48:49], s[6:7], 0, v[48:49]
	v_lshlrev_b64 v[56:57], 3, v[0:1]
	global_load_dwordx2 v[54:55], v[54:55], off
	v_lshl_add_u64 v[58:59], s[4:5], 0, v[56:57]
	global_load_dwordx2 v[48:49], v[48:49], off
	v_lshl_add_u64 v[56:57], s[6:7], 0, v[56:57]
	global_load_dwordx2 v[58:59], v[58:59], off
	v_add_f64 v[24:25], v[24:25], -v[26:27]
	global_load_dwordx2 v[56:57], v[56:57], off
	v_add_f64 v[26:27], v[32:33], -v[34:35]
	v_add_u32_e32 v0, s26, v0
	v_add_f64 v[24:25], v[24:25], -v[26:27]
	s_mul_i32 s0, s14, 0xffffff3e
	s_waitcnt vmcnt(10)
	v_add_f64 v[26:27], v[30:31], -v[28:29]
	v_lshlrev_b64 v[28:29], 3, v[0:1]
	v_add_u32_e32 v0, s25, v0
	v_lshl_add_u64 v[30:31], s[4:5], 0, v[28:29]
	v_lshl_add_u64 v[28:29], s[6:7], 0, v[28:29]
	v_lshlrev_b64 v[32:33], 3, v[0:1]
	global_load_dwordx2 v[30:31], v[30:31], off
	v_lshl_add_u64 v[34:35], s[4:5], 0, v[32:33]
	global_load_dwordx2 v[28:29], v[28:29], off
	v_lshl_add_u64 v[32:33], s[6:7], 0, v[32:33]
	global_load_dwordx2 v[34:35], v[34:35], off
	v_add_u32_e32 v0, s0, v0
	global_load_dwordx2 v[32:33], v[32:33], off
	v_add_f64 v[24:25], v[24:25], -v[26:27]
	s_waitcnt vmcnt(12)
	v_add_f64 v[26:27], v[38:39], -v[36:37]
	v_lshlrev_b64 v[36:37], 3, v[0:1]
	v_lshl_add_u64 v[38:39], s[4:5], 0, v[36:37]
	v_lshl_add_u64 v[36:37], s[6:7], 0, v[36:37]
	global_load_dwordx2 v[38:39], v[38:39], off
	v_add_u32_e32 v0, s25, v0
	global_load_dwordx2 v[36:37], v[36:37], off
	v_add_f64 v[24:25], v[24:25], -v[26:27]
	s_waitcnt vmcnt(12)
	v_add_f64 v[26:27], v[42:43], -v[40:41]
	v_lshlrev_b64 v[40:41], 3, v[0:1]
	v_lshl_add_u64 v[42:43], s[4:5], 0, v[40:41]
	v_lshl_add_u64 v[40:41], s[6:7], 0, v[40:41]
	v_add_u32_e32 v0, s26, v0
	v_add_f64 v[24:25], v[24:25], -v[26:27]
	global_load_dwordx2 v[42:43], v[42:43], off
	s_waitcnt vmcnt(11)
	v_add_f64 v[26:27], v[46:47], -v[44:45]
	global_load_dwordx2 v[40:41], v[40:41], off
	v_lshlrev_b64 v[44:45], 3, v[0:1]
	v_add_u32_e32 v0, s24, v0
	v_add_f64 v[24:25], v[24:25], -v[26:27]
	s_waitcnt vmcnt(10)
	v_add_f64 v[26:27], v[54:55], -v[48:49]
	v_lshl_add_u64 v[46:47], s[4:5], 0, v[44:45]
	v_lshl_add_u64 v[44:45], s[6:7], 0, v[44:45]
	v_lshlrev_b64 v[48:49], 3, v[0:1]
	v_add_u32_e32 v0, s21, v0
	v_add_f64 v[24:25], v[24:25], -v[26:27]
	s_waitcnt vmcnt(8)
	v_add_f64 v[26:27], v[58:59], -v[56:57]
	global_load_dwordx2 v[46:47], v[46:47], off
	v_lshl_add_u64 v[54:55], s[4:5], 0, v[48:49]
	global_load_dwordx2 v[44:45], v[44:45], off
	v_lshl_add_u64 v[48:49], s[6:7], 0, v[48:49]
	v_lshlrev_b64 v[56:57], 3, v[0:1]
	global_load_dwordx2 v[54:55], v[54:55], off
	v_lshl_add_u64 v[58:59], s[4:5], 0, v[56:57]
	global_load_dwordx2 v[48:49], v[48:49], off
	v_lshl_add_u64 v[56:57], s[6:7], 0, v[56:57]
	global_load_dwordx2 v[58:59], v[58:59], off
	v_add_f64 v[24:25], v[24:25], v[26:27]
	global_load_dwordx2 v[56:57], v[56:57], off
	s_waitcnt vmcnt(12)
	v_add_f64 v[26:27], v[30:31], -v[28:29]
	v_add_f64 v[24:25], v[24:25], v[26:27]
	s_waitcnt vmcnt(10)
	v_add_f64 v[26:27], v[34:35], -v[32:33]
	v_add_f64 v[24:25], v[24:25], -v[26:27]
	v_mul_f64 v[24:25], s[10:11], v[24:25]
	v_mul_f64 v[24:25], s[2:3], v[24:25]
	global_store_dwordx2 v[12:13], v[24:25], off
	v_add_f64 v[12:13], v[50:51], -v[52:53]
	v_add_f64 v[12:13], v[12:13], v[14:15]
	s_waitcnt vmcnt(9)
	v_add_f64 v[14:15], v[38:39], -v[36:37]
	v_add_f64 v[12:13], v[12:13], v[14:15]
	v_add_f64 v[14:15], v[18:19], -v[20:21]
	v_add_f64 v[12:13], v[12:13], v[14:15]
	v_add_f64 v[10:11], v[12:13], v[10:11]
	s_waitcnt vmcnt(7)
	v_add_f64 v[12:13], v[42:43], -v[40:41]
	v_add_f64 v[10:11], v[10:11], v[12:13]
	v_add_f64 v[4:5], v[4:5], v[10:11]
	s_waitcnt vmcnt(5)
	v_add_f64 v[10:11], v[46:47], -v[44:45]
	v_add_f64 v[4:5], v[4:5], -v[10:11]
	s_waitcnt vmcnt(3)
	v_add_f64 v[10:11], v[54:55], -v[48:49]
	v_add_f64 v[4:5], v[4:5], v[10:11]
	s_waitcnt vmcnt(1)
	v_add_f64 v[10:11], v[58:59], -v[56:57]
	v_add_f64 v[4:5], v[4:5], v[10:11]
	v_mad_u64_u32 v[10:11], s[0:1], s14, 20, v[0:1]
	v_mov_b32_e32 v11, v1
	v_add_u32_e32 v0, s16, v10
	v_lshlrev_b64 v[12:13], 3, v[10:11]
	v_lshlrev_b64 v[10:11], 3, v[0:1]
	v_add_u32_e32 v0, s14, v0
	v_lshl_add_u64 v[14:15], s[4:5], 0, v[12:13]
	v_lshl_add_u64 v[12:13], s[6:7], 0, v[12:13]
	v_lshlrev_b64 v[18:19], 3, v[0:1]
	v_add_u32_e32 v0, s19, v0
	global_load_dwordx2 v[14:15], v[14:15], off
	v_lshl_add_u64 v[16:17], s[4:5], 0, v[10:11]
	global_load_dwordx2 v[12:13], v[12:13], off
	v_lshl_add_u64 v[10:11], s[6:7], 0, v[10:11]
	v_lshlrev_b64 v[22:23], 3, v[0:1]
	v_add_u32_e32 v0, s22, v0
	global_load_dwordx2 v[16:17], v[16:17], off
	v_lshl_add_u64 v[20:21], s[4:5], 0, v[18:19]
	global_load_dwordx2 v[10:11], v[10:11], off
	;; [unrolled: 6-line block ×3, first 2 shown]
	v_lshl_add_u64 v[22:23], s[6:7], 0, v[22:23]
	v_mad_u64_u32 v[34:35], s[0:1], s14, 27, v[0:1]
	global_load_dwordx2 v[24:25], v[24:25], off
	v_lshl_add_u64 v[28:29], s[4:5], 0, v[26:27]
	global_load_dwordx2 v[22:23], v[22:23], off
	v_lshl_add_u64 v[26:27], s[6:7], 0, v[26:27]
	v_lshlrev_b64 v[30:31], 3, v[0:1]
	v_mov_b32_e32 v35, v1
	v_add_u32_e32 v0, s16, v34
	global_load_dwordx2 v[28:29], v[28:29], off
	v_lshl_add_u64 v[32:33], s[4:5], 0, v[30:31]
	global_load_dwordx2 v[26:27], v[26:27], off
	v_lshl_add_u64 v[30:31], s[6:7], 0, v[30:31]
	v_lshlrev_b64 v[36:37], 3, v[34:35]
	v_lshlrev_b64 v[34:35], 3, v[0:1]
	v_add_u32_e32 v0, s17, v0
	global_load_dwordx2 v[32:33], v[32:33], off
	v_lshl_add_u64 v[38:39], s[4:5], 0, v[36:37]
	global_load_dwordx2 v[30:31], v[30:31], off
	v_lshl_add_u64 v[36:37], s[6:7], 0, v[36:37]
	v_lshlrev_b64 v[42:43], 3, v[0:1]
	v_add_u32_e32 v0, s21, v0
	global_load_dwordx2 v[38:39], v[38:39], off
	v_lshl_add_u64 v[40:41], s[4:5], 0, v[34:35]
	global_load_dwordx2 v[36:37], v[36:37], off
	v_lshl_add_u64 v[34:35], s[6:7], 0, v[34:35]
	v_mad_u64_u32 v[50:51], s[0:1], s14, 21, v[0:1]
	global_load_dwordx2 v[40:41], v[40:41], off
	v_lshl_add_u64 v[44:45], s[4:5], 0, v[42:43]
	global_load_dwordx2 v[34:35], v[34:35], off
	v_lshl_add_u64 v[42:43], s[6:7], 0, v[42:43]
	v_lshlrev_b64 v[46:47], 3, v[0:1]
	v_mov_b32_e32 v51, v1
	global_load_dwordx2 v[44:45], v[44:45], off
	v_lshl_add_u64 v[48:49], s[4:5], 0, v[46:47]
	global_load_dwordx2 v[42:43], v[42:43], off
	v_lshl_add_u64 v[46:47], s[6:7], 0, v[46:47]
	v_lshlrev_b64 v[52:53], 3, v[50:51]
	v_add_u32_e32 v0, s23, v50
	global_load_dwordx2 v[48:49], v[48:49], off
	v_lshl_add_u64 v[54:55], s[4:5], 0, v[52:53]
	global_load_dwordx2 v[46:47], v[46:47], off
	v_lshl_add_u64 v[52:53], s[6:7], 0, v[52:53]
	v_lshlrev_b64 v[50:51], 3, v[0:1]
	v_add_u32_e32 v0, s16, v0
	global_load_dwordx2 v[54:55], v[54:55], off
	v_lshl_add_u64 v[56:57], s[4:5], 0, v[50:51]
	global_load_dwordx2 v[52:53], v[52:53], off
	v_lshl_add_u64 v[50:51], s[6:7], 0, v[50:51]
	v_lshlrev_b64 v[0:1], 3, v[0:1]
	global_load_dwordx2 v[56:57], v[56:57], off
	v_lshl_add_u64 v[58:59], s[4:5], 0, v[0:1]
	global_load_dwordx2 v[50:51], v[50:51], off
	v_lshl_add_u64 v[0:1], s[6:7], 0, v[0:1]
	global_load_dwordx2 v[58:59], v[58:59], off
	v_add_f64 v[4:5], v[4:5], v[6:7]
	global_load_dwordx2 v[0:1], v[0:1], off
	s_load_dwordx2 s[0:1], s[12:13], 0x28
	s_waitcnt vmcnt(24)
	v_add_f64 v[6:7], v[14:15], -v[12:13]
	v_add_f64 v[4:5], v[4:5], v[6:7]
	s_waitcnt vmcnt(22)
	v_add_f64 v[6:7], v[16:17], -v[10:11]
	v_add_f64 v[4:5], v[4:5], v[6:7]
	;; [unrolled: 3-line block ×13, first 2 shown]
	v_mul_f64 v[0:1], s[10:11], v[0:1]
	s_waitcnt lgkmcnt(0)
	v_mul_f64 v[0:1], s[0:1], v[0:1]
	global_store_dwordx2 v[2:3], v[0:1], off
	s_endpgm
	.section	.rodata,"a",@progbits
	.p2align	6, 0x0
	.amdhsa_kernel _Z15rdwdot10_kernelIdEvPKT_S2_PS0_S0_S2_
		.amdhsa_group_segment_fixed_size 0
		.amdhsa_private_segment_fixed_size 0
		.amdhsa_kernarg_size 296
		.amdhsa_user_sgpr_count 2
		.amdhsa_user_sgpr_dispatch_ptr 0
		.amdhsa_user_sgpr_queue_ptr 0
		.amdhsa_user_sgpr_kernarg_segment_ptr 1
		.amdhsa_user_sgpr_dispatch_id 0
		.amdhsa_user_sgpr_kernarg_preload_length 0
		.amdhsa_user_sgpr_kernarg_preload_offset 0
		.amdhsa_user_sgpr_private_segment_size 0
		.amdhsa_uses_dynamic_stack 0
		.amdhsa_enable_private_segment 0
		.amdhsa_system_sgpr_workgroup_id_x 1
		.amdhsa_system_sgpr_workgroup_id_y 0
		.amdhsa_system_sgpr_workgroup_id_z 0
		.amdhsa_system_sgpr_workgroup_info 0
		.amdhsa_system_vgpr_workitem_id 0
		.amdhsa_next_free_vgpr 64
		.amdhsa_next_free_sgpr 30
		.amdhsa_accum_offset 64
		.amdhsa_reserve_vcc 0
		.amdhsa_float_round_mode_32 0
		.amdhsa_float_round_mode_16_64 0
		.amdhsa_float_denorm_mode_32 3
		.amdhsa_float_denorm_mode_16_64 3
		.amdhsa_dx10_clamp 1
		.amdhsa_ieee_mode 1
		.amdhsa_fp16_overflow 0
		.amdhsa_tg_split 0
		.amdhsa_exception_fp_ieee_invalid_op 0
		.amdhsa_exception_fp_denorm_src 0
		.amdhsa_exception_fp_ieee_div_zero 0
		.amdhsa_exception_fp_ieee_overflow 0
		.amdhsa_exception_fp_ieee_underflow 0
		.amdhsa_exception_fp_ieee_inexact 0
		.amdhsa_exception_int_div_zero 0
	.end_amdhsa_kernel
	.section	.text._Z15rdwdot10_kernelIdEvPKT_S2_PS0_S0_S2_,"axG",@progbits,_Z15rdwdot10_kernelIdEvPKT_S2_PS0_S0_S2_,comdat
.Lfunc_end53:
	.size	_Z15rdwdot10_kernelIdEvPKT_S2_PS0_S0_S2_, .Lfunc_end53-_Z15rdwdot10_kernelIdEvPKT_S2_PS0_S0_S2_
                                        ; -- End function
	.set _Z15rdwdot10_kernelIdEvPKT_S2_PS0_S0_S2_.num_vgpr, 64
	.set _Z15rdwdot10_kernelIdEvPKT_S2_PS0_S0_S2_.num_agpr, 0
	.set _Z15rdwdot10_kernelIdEvPKT_S2_PS0_S0_S2_.numbered_sgpr, 30
	.set _Z15rdwdot10_kernelIdEvPKT_S2_PS0_S0_S2_.num_named_barrier, 0
	.set _Z15rdwdot10_kernelIdEvPKT_S2_PS0_S0_S2_.private_seg_size, 0
	.set _Z15rdwdot10_kernelIdEvPKT_S2_PS0_S0_S2_.uses_vcc, 0
	.set _Z15rdwdot10_kernelIdEvPKT_S2_PS0_S0_S2_.uses_flat_scratch, 0
	.set _Z15rdwdot10_kernelIdEvPKT_S2_PS0_S0_S2_.has_dyn_sized_stack, 0
	.set _Z15rdwdot10_kernelIdEvPKT_S2_PS0_S0_S2_.has_recursion, 0
	.set _Z15rdwdot10_kernelIdEvPKT_S2_PS0_S0_S2_.has_indirect_call, 0
	.section	.AMDGPU.csdata,"",@progbits
; Kernel info:
; codeLenInByte = 8124
; TotalNumSgprs: 36
; NumVgprs: 64
; NumAgprs: 0
; TotalNumVgprs: 64
; ScratchSize: 0
; MemoryBound: 0
; FloatMode: 240
; IeeeMode: 1
; LDSByteSize: 0 bytes/workgroup (compile time only)
; SGPRBlocks: 4
; VGPRBlocks: 7
; NumSGPRsForWavesPerEU: 36
; NumVGPRsForWavesPerEU: 64
; AccumOffset: 64
; Occupancy: 8
; WaveLimiterHint : 0
; COMPUTE_PGM_RSRC2:SCRATCH_EN: 0
; COMPUTE_PGM_RSRC2:USER_SGPR: 2
; COMPUTE_PGM_RSRC2:TRAP_HANDLER: 0
; COMPUTE_PGM_RSRC2:TGID_X_EN: 1
; COMPUTE_PGM_RSRC2:TGID_Y_EN: 0
; COMPUTE_PGM_RSRC2:TGID_Z_EN: 0
; COMPUTE_PGM_RSRC2:TIDIG_COMP_CNT: 0
; COMPUTE_PGM_RSRC3_GFX90A:ACCUM_OFFSET: 15
; COMPUTE_PGM_RSRC3_GFX90A:TG_SPLIT: 0
	.section	.AMDGPU.gpr_maximums,"",@progbits
	.set amdgpu.max_num_vgpr, 0
	.set amdgpu.max_num_agpr, 0
	.set amdgpu.max_num_sgpr, 0
	.section	.AMDGPU.csdata,"",@progbits
	.type	__hip_cuid_77cdd51d2b49ffcd,@object ; @__hip_cuid_77cdd51d2b49ffcd
	.section	.bss,"aw",@nobits
	.globl	__hip_cuid_77cdd51d2b49ffcd
__hip_cuid_77cdd51d2b49ffcd:
	.byte	0                               ; 0x0
	.size	__hip_cuid_77cdd51d2b49ffcd, 1

	.ident	"AMD clang version 22.0.0git (https://github.com/RadeonOpenCompute/llvm-project roc-7.2.4 26084 f58b06dce1f9c15707c5f808fd002e18c2accf7e)"
	.section	".note.GNU-stack","",@progbits
	.addrsig
	.addrsig_sym __hip_cuid_77cdd51d2b49ffcd
	.amdgpu_metadata
---
amdhsa.kernels:
  - .agpr_count:     0
    .args:
      - .actual_access:  read_only
        .address_space:  global
        .offset:         0
        .size:           8
        .value_kind:     global_buffer
      - .actual_access:  write_only
        .address_space:  global
        .offset:         8
        .size:           8
        .value_kind:     global_buffer
      - .offset:         16
        .size:           4
        .value_kind:     by_value
      - .offset:         24
        .size:           4
        .value_kind:     hidden_block_count_x
      - .offset:         28
        .size:           4
        .value_kind:     hidden_block_count_y
      - .offset:         32
        .size:           4
        .value_kind:     hidden_block_count_z
      - .offset:         36
        .size:           2
        .value_kind:     hidden_group_size_x
      - .offset:         38
        .size:           2
        .value_kind:     hidden_group_size_y
      - .offset:         40
        .size:           2
        .value_kind:     hidden_group_size_z
      - .offset:         42
        .size:           2
        .value_kind:     hidden_remainder_x
      - .offset:         44
        .size:           2
        .value_kind:     hidden_remainder_y
      - .offset:         46
        .size:           2
        .value_kind:     hidden_remainder_z
      - .offset:         64
        .size:           8
        .value_kind:     hidden_global_offset_x
      - .offset:         72
        .size:           8
        .value_kind:     hidden_global_offset_y
      - .offset:         80
        .size:           8
        .value_kind:     hidden_global_offset_z
      - .offset:         88
        .size:           2
        .value_kind:     hidden_grid_dims
    .group_segment_fixed_size: 0
    .kernarg_segment_align: 8
    .kernarg_segment_size: 280
    .language:       OpenCL C
    .language_version:
      - 2
      - 0
    .max_flat_workgroup_size: 1024
    .name:           _Z11ratt_kernelIfEvPKT_PS0_S0_
    .private_segment_fixed_size: 0
    .sgpr_count:     18
    .sgpr_spill_count: 0
    .symbol:         _Z11ratt_kernelIfEvPKT_PS0_S0_.kd
    .uniform_work_group_size: 1
    .uses_dynamic_stack: false
    .vgpr_count:     28
    .vgpr_spill_count: 0
    .wavefront_size: 64
  - .agpr_count:     0
    .args:
      - .actual_access:  read_only
        .address_space:  global
        .offset:         0
        .size:           8
        .value_kind:     global_buffer
      - .actual_access:  write_only
        .address_space:  global
        .offset:         8
        .size:           8
        .value_kind:     global_buffer
      - .offset:         16
        .size:           4
        .value_kind:     by_value
      - .offset:         24
        .size:           4
        .value_kind:     hidden_block_count_x
      - .offset:         28
        .size:           4
        .value_kind:     hidden_block_count_y
      - .offset:         32
        .size:           4
        .value_kind:     hidden_block_count_z
      - .offset:         36
        .size:           2
        .value_kind:     hidden_group_size_x
      - .offset:         38
        .size:           2
        .value_kind:     hidden_group_size_y
      - .offset:         40
        .size:           2
        .value_kind:     hidden_group_size_z
      - .offset:         42
        .size:           2
        .value_kind:     hidden_remainder_x
      - .offset:         44
        .size:           2
        .value_kind:     hidden_remainder_y
      - .offset:         46
        .size:           2
        .value_kind:     hidden_remainder_z
      - .offset:         64
        .size:           8
        .value_kind:     hidden_global_offset_x
      - .offset:         72
        .size:           8
        .value_kind:     hidden_global_offset_y
      - .offset:         80
        .size:           8
        .value_kind:     hidden_global_offset_z
      - .offset:         88
        .size:           2
        .value_kind:     hidden_grid_dims
    .group_segment_fixed_size: 0
    .kernarg_segment_align: 8
    .kernarg_segment_size: 280
    .language:       OpenCL C
    .language_version:
      - 2
      - 0
    .max_flat_workgroup_size: 1024
    .name:           _Z12rdsmh_kernelIfEvPKT_PS0_S0_
    .private_segment_fixed_size: 0
    .sgpr_count:     17
    .sgpr_spill_count: 0
    .symbol:         _Z12rdsmh_kernelIfEvPKT_PS0_S0_.kd
    .uniform_work_group_size: 1
    .uses_dynamic_stack: false
    .vgpr_count:     15
    .vgpr_spill_count: 0
    .wavefront_size: 64
  - .agpr_count:     0
    .args:
      - .address_space:  global
        .offset:         0
        .size:           8
        .value_kind:     global_buffer
      - .address_space:  global
        .offset:         8
        .size:           8
        .value_kind:     global_buffer
      - .address_space:  global
        .offset:         16
        .size:           8
        .value_kind:     global_buffer
      - .address_space:  global
        .offset:         24
        .size:           8
        .value_kind:     global_buffer
      - .offset:         32
        .size:           4
        .value_kind:     by_value
      - .offset:         36
        .size:           4
        .value_kind:     by_value
      - .offset:         40
        .size:           4
        .value_kind:     hidden_block_count_x
      - .offset:         44
        .size:           4
        .value_kind:     hidden_block_count_y
      - .offset:         48
        .size:           4
        .value_kind:     hidden_block_count_z
      - .offset:         52
        .size:           2
        .value_kind:     hidden_group_size_x
      - .offset:         54
        .size:           2
        .value_kind:     hidden_group_size_y
      - .offset:         56
        .size:           2
        .value_kind:     hidden_group_size_z
      - .offset:         58
        .size:           2
        .value_kind:     hidden_remainder_x
      - .offset:         60
        .size:           2
        .value_kind:     hidden_remainder_y
      - .offset:         62
        .size:           2
        .value_kind:     hidden_remainder_z
      - .offset:         80
        .size:           8
        .value_kind:     hidden_global_offset_x
      - .offset:         88
        .size:           8
        .value_kind:     hidden_global_offset_y
      - .offset:         96
        .size:           8
        .value_kind:     hidden_global_offset_z
      - .offset:         104
        .size:           2
        .value_kind:     hidden_grid_dims
    .group_segment_fixed_size: 0
    .kernarg_segment_align: 8
    .kernarg_segment_size: 296
    .language:       OpenCL C
    .language_version:
      - 2
      - 0
    .max_flat_workgroup_size: 1024
    .name:           _Z7gr_baseIfEvPKT_S2_S2_PS0_S0_S0_
    .private_segment_fixed_size: 0
    .sgpr_count:     18
    .sgpr_spill_count: 0
    .symbol:         _Z7gr_baseIfEvPKT_S2_S2_PS0_S0_S0_.kd
    .uniform_work_group_size: 1
    .uses_dynamic_stack: false
    .vgpr_count:     63
    .vgpr_spill_count: 0
    .wavefront_size: 64
  - .agpr_count:     0
    .args:
      - .actual_access:  read_only
        .address_space:  global
        .offset:         0
        .size:           8
        .value_kind:     global_buffer
      - .actual_access:  read_only
        .address_space:  global
        .offset:         8
        .size:           8
        .value_kind:     global_buffer
      - .actual_access:  write_only
        .address_space:  global
        .offset:         16
        .size:           8
        .value_kind:     global_buffer
      - .actual_access:  read_only
        .address_space:  global
        .offset:         24
        .size:           8
        .value_kind:     global_buffer
      - .offset:         32
        .size:           4
        .value_kind:     by_value
      - .offset:         40
        .size:           4
        .value_kind:     hidden_block_count_x
      - .offset:         44
        .size:           4
        .value_kind:     hidden_block_count_y
      - .offset:         48
        .size:           4
        .value_kind:     hidden_block_count_z
      - .offset:         52
        .size:           2
        .value_kind:     hidden_group_size_x
      - .offset:         54
        .size:           2
        .value_kind:     hidden_group_size_y
      - .offset:         56
        .size:           2
        .value_kind:     hidden_group_size_z
      - .offset:         58
        .size:           2
        .value_kind:     hidden_remainder_x
      - .offset:         60
        .size:           2
        .value_kind:     hidden_remainder_y
      - .offset:         62
        .size:           2
        .value_kind:     hidden_remainder_z
      - .offset:         80
        .size:           8
        .value_kind:     hidden_global_offset_x
      - .offset:         88
        .size:           8
        .value_kind:     hidden_global_offset_y
      - .offset:         96
        .size:           8
        .value_kind:     hidden_global_offset_z
      - .offset:         104
        .size:           2
        .value_kind:     hidden_grid_dims
    .group_segment_fixed_size: 0
    .kernarg_segment_align: 8
    .kernarg_segment_size: 296
    .language:       OpenCL C
    .language_version:
      - 2
      - 0
    .max_flat_workgroup_size: 1024
    .name:           _Z12ratt2_kernelIfEvPKT_S2_PS0_S2_S0_
    .private_segment_fixed_size: 0
    .sgpr_count:     19
    .sgpr_spill_count: 0
    .symbol:         _Z12ratt2_kernelIfEvPKT_S2_PS0_S2_S0_.kd
    .uniform_work_group_size: 1
    .uses_dynamic_stack: false
    .vgpr_count:     52
    .vgpr_spill_count: 0
    .wavefront_size: 64
  - .agpr_count:     0
    .args:
      - .actual_access:  read_only
        .address_space:  global
        .offset:         0
        .size:           8
        .value_kind:     global_buffer
      - .actual_access:  read_only
        .address_space:  global
        .offset:         8
        .size:           8
        .value_kind:     global_buffer
      - .actual_access:  write_only
        .address_space:  global
        .offset:         16
        .size:           8
        .value_kind:     global_buffer
      - .actual_access:  read_only
        .address_space:  global
        .offset:         24
        .size:           8
        .value_kind:     global_buffer
      - .offset:         32
        .size:           4
        .value_kind:     by_value
      - .offset:         40
        .size:           4
        .value_kind:     hidden_block_count_x
      - .offset:         44
        .size:           4
        .value_kind:     hidden_block_count_y
      - .offset:         48
        .size:           4
        .value_kind:     hidden_block_count_z
      - .offset:         52
        .size:           2
        .value_kind:     hidden_group_size_x
      - .offset:         54
        .size:           2
        .value_kind:     hidden_group_size_y
      - .offset:         56
        .size:           2
        .value_kind:     hidden_group_size_z
      - .offset:         58
        .size:           2
        .value_kind:     hidden_remainder_x
      - .offset:         60
        .size:           2
        .value_kind:     hidden_remainder_y
      - .offset:         62
        .size:           2
        .value_kind:     hidden_remainder_z
      - .offset:         80
        .size:           8
        .value_kind:     hidden_global_offset_x
      - .offset:         88
        .size:           8
        .value_kind:     hidden_global_offset_y
      - .offset:         96
        .size:           8
        .value_kind:     hidden_global_offset_z
      - .offset:         104
        .size:           2
        .value_kind:     hidden_grid_dims
    .group_segment_fixed_size: 0
    .kernarg_segment_align: 8
    .kernarg_segment_size: 296
    .language:       OpenCL C
    .language_version:
      - 2
      - 0
    .max_flat_workgroup_size: 1024
    .name:           _Z12ratt3_kernelIfEvPKT_S2_PS0_S2_S0_
    .private_segment_fixed_size: 0
    .sgpr_count:     20
    .sgpr_spill_count: 0
    .symbol:         _Z12ratt3_kernelIfEvPKT_S2_PS0_S2_S0_.kd
    .uniform_work_group_size: 1
    .uses_dynamic_stack: false
    .vgpr_count:     54
    .vgpr_spill_count: 0
    .wavefront_size: 64
  - .agpr_count:     0
    .args:
      - .actual_access:  read_only
        .address_space:  global
        .offset:         0
        .size:           8
        .value_kind:     global_buffer
      - .actual_access:  read_only
        .address_space:  global
        .offset:         8
        .size:           8
        .value_kind:     global_buffer
      - .actual_access:  write_only
        .address_space:  global
        .offset:         16
        .size:           8
        .value_kind:     global_buffer
      - .actual_access:  read_only
        .address_space:  global
        .offset:         24
        .size:           8
        .value_kind:     global_buffer
      - .offset:         32
        .size:           4
        .value_kind:     by_value
      - .offset:         40
        .size:           4
        .value_kind:     hidden_block_count_x
      - .offset:         44
        .size:           4
        .value_kind:     hidden_block_count_y
      - .offset:         48
        .size:           4
        .value_kind:     hidden_block_count_z
      - .offset:         52
        .size:           2
        .value_kind:     hidden_group_size_x
      - .offset:         54
        .size:           2
        .value_kind:     hidden_group_size_y
      - .offset:         56
        .size:           2
        .value_kind:     hidden_group_size_z
      - .offset:         58
        .size:           2
        .value_kind:     hidden_remainder_x
      - .offset:         60
        .size:           2
        .value_kind:     hidden_remainder_y
      - .offset:         62
        .size:           2
        .value_kind:     hidden_remainder_z
      - .offset:         80
        .size:           8
        .value_kind:     hidden_global_offset_x
      - .offset:         88
        .size:           8
        .value_kind:     hidden_global_offset_y
      - .offset:         96
        .size:           8
        .value_kind:     hidden_global_offset_z
      - .offset:         104
        .size:           2
        .value_kind:     hidden_grid_dims
    .group_segment_fixed_size: 0
    .kernarg_segment_align: 8
    .kernarg_segment_size: 296
    .language:       OpenCL C
    .language_version:
      - 2
      - 0
    .max_flat_workgroup_size: 1024
    .name:           _Z12ratt4_kernelIfEvPKT_S2_PS0_S2_S0_
    .private_segment_fixed_size: 0
    .sgpr_count:     20
    .sgpr_spill_count: 0
    .symbol:         _Z12ratt4_kernelIfEvPKT_S2_PS0_S2_S0_.kd
    .uniform_work_group_size: 1
    .uses_dynamic_stack: false
    .vgpr_count:     50
    .vgpr_spill_count: 0
    .wavefront_size: 64
  - .agpr_count:     0
    .args:
      - .actual_access:  read_only
        .address_space:  global
        .offset:         0
        .size:           8
        .value_kind:     global_buffer
      - .actual_access:  read_only
        .address_space:  global
        .offset:         8
        .size:           8
        .value_kind:     global_buffer
      - .actual_access:  write_only
        .address_space:  global
        .offset:         16
        .size:           8
        .value_kind:     global_buffer
      - .actual_access:  read_only
        .address_space:  global
        .offset:         24
        .size:           8
        .value_kind:     global_buffer
      - .offset:         32
        .size:           4
        .value_kind:     by_value
      - .offset:         40
        .size:           4
        .value_kind:     hidden_block_count_x
      - .offset:         44
        .size:           4
        .value_kind:     hidden_block_count_y
      - .offset:         48
        .size:           4
        .value_kind:     hidden_block_count_z
      - .offset:         52
        .size:           2
        .value_kind:     hidden_group_size_x
      - .offset:         54
        .size:           2
        .value_kind:     hidden_group_size_y
      - .offset:         56
        .size:           2
        .value_kind:     hidden_group_size_z
      - .offset:         58
        .size:           2
        .value_kind:     hidden_remainder_x
      - .offset:         60
        .size:           2
        .value_kind:     hidden_remainder_y
      - .offset:         62
        .size:           2
        .value_kind:     hidden_remainder_z
      - .offset:         80
        .size:           8
        .value_kind:     hidden_global_offset_x
      - .offset:         88
        .size:           8
        .value_kind:     hidden_global_offset_y
      - .offset:         96
        .size:           8
        .value_kind:     hidden_global_offset_z
      - .offset:         104
        .size:           2
        .value_kind:     hidden_grid_dims
    .group_segment_fixed_size: 0
    .kernarg_segment_align: 8
    .kernarg_segment_size: 296
    .language:       OpenCL C
    .language_version:
      - 2
      - 0
    .max_flat_workgroup_size: 1024
    .name:           _Z12ratt5_kernelIfEvPKT_S2_PS0_S2_S0_
    .private_segment_fixed_size: 0
    .sgpr_count:     19
    .sgpr_spill_count: 0
    .symbol:         _Z12ratt5_kernelIfEvPKT_S2_PS0_S2_S0_.kd
    .uniform_work_group_size: 1
    .uses_dynamic_stack: false
    .vgpr_count:     49
    .vgpr_spill_count: 0
    .wavefront_size: 64
  - .agpr_count:     0
    .args:
      - .actual_access:  read_only
        .address_space:  global
        .offset:         0
        .size:           8
        .value_kind:     global_buffer
      - .actual_access:  read_only
        .address_space:  global
        .offset:         8
        .size:           8
        .value_kind:     global_buffer
      - .actual_access:  write_only
        .address_space:  global
        .offset:         16
        .size:           8
        .value_kind:     global_buffer
      - .actual_access:  read_only
        .address_space:  global
        .offset:         24
        .size:           8
        .value_kind:     global_buffer
      - .offset:         32
        .size:           4
        .value_kind:     by_value
      - .offset:         40
        .size:           4
        .value_kind:     hidden_block_count_x
      - .offset:         44
        .size:           4
        .value_kind:     hidden_block_count_y
      - .offset:         48
        .size:           4
        .value_kind:     hidden_block_count_z
      - .offset:         52
        .size:           2
        .value_kind:     hidden_group_size_x
      - .offset:         54
        .size:           2
        .value_kind:     hidden_group_size_y
      - .offset:         56
        .size:           2
        .value_kind:     hidden_group_size_z
      - .offset:         58
        .size:           2
        .value_kind:     hidden_remainder_x
      - .offset:         60
        .size:           2
        .value_kind:     hidden_remainder_y
      - .offset:         62
        .size:           2
        .value_kind:     hidden_remainder_z
      - .offset:         80
        .size:           8
        .value_kind:     hidden_global_offset_x
      - .offset:         88
        .size:           8
        .value_kind:     hidden_global_offset_y
      - .offset:         96
        .size:           8
        .value_kind:     hidden_global_offset_z
      - .offset:         104
        .size:           2
        .value_kind:     hidden_grid_dims
    .group_segment_fixed_size: 0
    .kernarg_segment_align: 8
    .kernarg_segment_size: 296
    .language:       OpenCL C
    .language_version:
      - 2
      - 0
    .max_flat_workgroup_size: 1024
    .name:           _Z12ratt6_kernelIfEvPKT_S2_PS0_S2_S0_
    .private_segment_fixed_size: 0
    .sgpr_count:     19
    .sgpr_spill_count: 0
    .symbol:         _Z12ratt6_kernelIfEvPKT_S2_PS0_S2_S0_.kd
    .uniform_work_group_size: 1
    .uses_dynamic_stack: false
    .vgpr_count:     43
    .vgpr_spill_count: 0
    .wavefront_size: 64
  - .agpr_count:     0
    .args:
      - .actual_access:  read_only
        .address_space:  global
        .offset:         0
        .size:           8
        .value_kind:     global_buffer
      - .actual_access:  read_only
        .address_space:  global
        .offset:         8
        .size:           8
        .value_kind:     global_buffer
      - .actual_access:  write_only
        .address_space:  global
        .offset:         16
        .size:           8
        .value_kind:     global_buffer
      - .actual_access:  read_only
        .address_space:  global
        .offset:         24
        .size:           8
        .value_kind:     global_buffer
      - .offset:         32
        .size:           4
        .value_kind:     by_value
      - .offset:         40
        .size:           4
        .value_kind:     hidden_block_count_x
      - .offset:         44
        .size:           4
        .value_kind:     hidden_block_count_y
      - .offset:         48
        .size:           4
        .value_kind:     hidden_block_count_z
      - .offset:         52
        .size:           2
        .value_kind:     hidden_group_size_x
      - .offset:         54
        .size:           2
        .value_kind:     hidden_group_size_y
      - .offset:         56
        .size:           2
        .value_kind:     hidden_group_size_z
      - .offset:         58
        .size:           2
        .value_kind:     hidden_remainder_x
      - .offset:         60
        .size:           2
        .value_kind:     hidden_remainder_y
      - .offset:         62
        .size:           2
        .value_kind:     hidden_remainder_z
      - .offset:         80
        .size:           8
        .value_kind:     hidden_global_offset_x
      - .offset:         88
        .size:           8
        .value_kind:     hidden_global_offset_y
      - .offset:         96
        .size:           8
        .value_kind:     hidden_global_offset_z
      - .offset:         104
        .size:           2
        .value_kind:     hidden_grid_dims
    .group_segment_fixed_size: 0
    .kernarg_segment_align: 8
    .kernarg_segment_size: 296
    .language:       OpenCL C
    .language_version:
      - 2
      - 0
    .max_flat_workgroup_size: 1024
    .name:           _Z12ratt7_kernelIfEvPKT_S2_PS0_S2_S0_
    .private_segment_fixed_size: 0
    .sgpr_count:     20
    .sgpr_spill_count: 0
    .symbol:         _Z12ratt7_kernelIfEvPKT_S2_PS0_S2_S0_.kd
    .uniform_work_group_size: 1
    .uses_dynamic_stack: false
    .vgpr_count:     45
    .vgpr_spill_count: 0
    .wavefront_size: 64
  - .agpr_count:     0
    .args:
      - .actual_access:  read_only
        .address_space:  global
        .offset:         0
        .size:           8
        .value_kind:     global_buffer
      - .actual_access:  read_only
        .address_space:  global
        .offset:         8
        .size:           8
        .value_kind:     global_buffer
      - .actual_access:  write_only
        .address_space:  global
        .offset:         16
        .size:           8
        .value_kind:     global_buffer
      - .actual_access:  read_only
        .address_space:  global
        .offset:         24
        .size:           8
        .value_kind:     global_buffer
      - .offset:         32
        .size:           4
        .value_kind:     by_value
      - .offset:         40
        .size:           4
        .value_kind:     hidden_block_count_x
      - .offset:         44
        .size:           4
        .value_kind:     hidden_block_count_y
      - .offset:         48
        .size:           4
        .value_kind:     hidden_block_count_z
      - .offset:         52
        .size:           2
        .value_kind:     hidden_group_size_x
      - .offset:         54
        .size:           2
        .value_kind:     hidden_group_size_y
      - .offset:         56
        .size:           2
        .value_kind:     hidden_group_size_z
      - .offset:         58
        .size:           2
        .value_kind:     hidden_remainder_x
      - .offset:         60
        .size:           2
        .value_kind:     hidden_remainder_y
      - .offset:         62
        .size:           2
        .value_kind:     hidden_remainder_z
      - .offset:         80
        .size:           8
        .value_kind:     hidden_global_offset_x
      - .offset:         88
        .size:           8
        .value_kind:     hidden_global_offset_y
      - .offset:         96
        .size:           8
        .value_kind:     hidden_global_offset_z
      - .offset:         104
        .size:           2
        .value_kind:     hidden_grid_dims
    .group_segment_fixed_size: 0
    .kernarg_segment_align: 8
    .kernarg_segment_size: 296
    .language:       OpenCL C
    .language_version:
      - 2
      - 0
    .max_flat_workgroup_size: 1024
    .name:           _Z12ratt8_kernelIfEvPKT_S2_PS0_S2_S0_
    .private_segment_fixed_size: 0
    .sgpr_count:     21
    .sgpr_spill_count: 0
    .symbol:         _Z12ratt8_kernelIfEvPKT_S2_PS0_S2_S0_.kd
    .uniform_work_group_size: 1
    .uses_dynamic_stack: false
    .vgpr_count:     48
    .vgpr_spill_count: 0
    .wavefront_size: 64
  - .agpr_count:     0
    .args:
      - .actual_access:  read_only
        .address_space:  global
        .offset:         0
        .size:           8
        .value_kind:     global_buffer
      - .actual_access:  read_only
        .address_space:  global
        .offset:         8
        .size:           8
        .value_kind:     global_buffer
      - .actual_access:  write_only
        .address_space:  global
        .offset:         16
        .size:           8
        .value_kind:     global_buffer
      - .actual_access:  read_only
        .address_space:  global
        .offset:         24
        .size:           8
        .value_kind:     global_buffer
      - .offset:         32
        .size:           4
        .value_kind:     by_value
      - .offset:         40
        .size:           4
        .value_kind:     hidden_block_count_x
      - .offset:         44
        .size:           4
        .value_kind:     hidden_block_count_y
      - .offset:         48
        .size:           4
        .value_kind:     hidden_block_count_z
      - .offset:         52
        .size:           2
        .value_kind:     hidden_group_size_x
      - .offset:         54
        .size:           2
        .value_kind:     hidden_group_size_y
      - .offset:         56
        .size:           2
        .value_kind:     hidden_group_size_z
      - .offset:         58
        .size:           2
        .value_kind:     hidden_remainder_x
      - .offset:         60
        .size:           2
        .value_kind:     hidden_remainder_y
      - .offset:         62
        .size:           2
        .value_kind:     hidden_remainder_z
      - .offset:         80
        .size:           8
        .value_kind:     hidden_global_offset_x
      - .offset:         88
        .size:           8
        .value_kind:     hidden_global_offset_y
      - .offset:         96
        .size:           8
        .value_kind:     hidden_global_offset_z
      - .offset:         104
        .size:           2
        .value_kind:     hidden_grid_dims
    .group_segment_fixed_size: 0
    .kernarg_segment_align: 8
    .kernarg_segment_size: 296
    .language:       OpenCL C
    .language_version:
      - 2
      - 0
    .max_flat_workgroup_size: 1024
    .name:           _Z12ratt9_kernelIfEvPKT_S2_PS0_S2_S0_
    .private_segment_fixed_size: 0
    .sgpr_count:     20
    .sgpr_spill_count: 0
    .symbol:         _Z12ratt9_kernelIfEvPKT_S2_PS0_S2_S0_.kd
    .uniform_work_group_size: 1
    .uses_dynamic_stack: false
    .vgpr_count:     59
    .vgpr_spill_count: 0
    .wavefront_size: 64
  - .agpr_count:     0
    .args:
      - .actual_access:  read_only
        .address_space:  global
        .offset:         0
        .size:           8
        .value_kind:     global_buffer
      - .actual_access:  write_only
        .address_space:  global
        .offset:         8
        .size:           8
        .value_kind:     global_buffer
      - .offset:         16
        .size:           4
        .value_kind:     by_value
      - .offset:         24
        .size:           4
        .value_kind:     hidden_block_count_x
      - .offset:         28
        .size:           4
        .value_kind:     hidden_block_count_y
      - .offset:         32
        .size:           4
        .value_kind:     hidden_block_count_z
      - .offset:         36
        .size:           2
        .value_kind:     hidden_group_size_x
      - .offset:         38
        .size:           2
        .value_kind:     hidden_group_size_y
      - .offset:         40
        .size:           2
        .value_kind:     hidden_group_size_z
      - .offset:         42
        .size:           2
        .value_kind:     hidden_remainder_x
      - .offset:         44
        .size:           2
        .value_kind:     hidden_remainder_y
      - .offset:         46
        .size:           2
        .value_kind:     hidden_remainder_z
      - .offset:         64
        .size:           8
        .value_kind:     hidden_global_offset_x
      - .offset:         72
        .size:           8
        .value_kind:     hidden_global_offset_y
      - .offset:         80
        .size:           8
        .value_kind:     hidden_global_offset_z
      - .offset:         88
        .size:           2
        .value_kind:     hidden_grid_dims
    .group_segment_fixed_size: 0
    .kernarg_segment_align: 8
    .kernarg_segment_size: 280
    .language:       OpenCL C
    .language_version:
      - 2
      - 0
    .max_flat_workgroup_size: 1024
    .name:           _Z13ratt10_kernelIfEvPKT_PS0_S0_
    .private_segment_fixed_size: 0
    .sgpr_count:     18
    .sgpr_spill_count: 0
    .symbol:         _Z13ratt10_kernelIfEvPKT_PS0_S0_.kd
    .uniform_work_group_size: 1
    .uses_dynamic_stack: false
    .vgpr_count:     27
    .vgpr_spill_count: 0
    .wavefront_size: 64
  - .agpr_count:     0
    .args:
      - .actual_access:  read_only
        .address_space:  global
        .offset:         0
        .size:           8
        .value_kind:     global_buffer
      - .actual_access:  read_only
        .address_space:  global
        .offset:         8
        .size:           8
        .value_kind:     global_buffer
      - .address_space:  global
        .offset:         16
        .size:           8
        .value_kind:     global_buffer
      - .address_space:  global
        .offset:         24
        .size:           8
        .value_kind:     global_buffer
      - .actual_access:  read_only
        .address_space:  global
        .offset:         32
        .size:           8
        .value_kind:     global_buffer
      - .offset:         40
        .size:           4
        .value_kind:     by_value
      - .offset:         48
        .size:           4
        .value_kind:     hidden_block_count_x
      - .offset:         52
        .size:           4
        .value_kind:     hidden_block_count_y
      - .offset:         56
        .size:           4
        .value_kind:     hidden_block_count_z
      - .offset:         60
        .size:           2
        .value_kind:     hidden_group_size_x
      - .offset:         62
        .size:           2
        .value_kind:     hidden_group_size_y
      - .offset:         64
        .size:           2
        .value_kind:     hidden_group_size_z
      - .offset:         66
        .size:           2
        .value_kind:     hidden_remainder_x
      - .offset:         68
        .size:           2
        .value_kind:     hidden_remainder_y
      - .offset:         70
        .size:           2
        .value_kind:     hidden_remainder_z
      - .offset:         88
        .size:           8
        .value_kind:     hidden_global_offset_x
      - .offset:         96
        .size:           8
        .value_kind:     hidden_global_offset_y
      - .offset:         104
        .size:           8
        .value_kind:     hidden_global_offset_z
      - .offset:         112
        .size:           2
        .value_kind:     hidden_grid_dims
    .group_segment_fixed_size: 0
    .kernarg_segment_align: 8
    .kernarg_segment_size: 304
    .language:       OpenCL C
    .language_version:
      - 2
      - 0
    .max_flat_workgroup_size: 1024
    .name:           _Z11ratx_kernelIfEvPKT_S2_PS0_S3_S2_S0_
    .private_segment_fixed_size: 0
    .sgpr_count:     28
    .sgpr_spill_count: 0
    .symbol:         _Z11ratx_kernelIfEvPKT_S2_PS0_S3_S2_S0_.kd
    .uniform_work_group_size: 1
    .uses_dynamic_stack: false
    .vgpr_count:     59
    .vgpr_spill_count: 0
    .wavefront_size: 64
  - .agpr_count:     0
    .args:
      - .actual_access:  read_only
        .address_space:  global
        .offset:         0
        .size:           8
        .value_kind:     global_buffer
      - .actual_access:  read_only
        .address_space:  global
        .offset:         8
        .size:           8
        .value_kind:     global_buffer
      - .address_space:  global
        .offset:         16
        .size:           8
        .value_kind:     global_buffer
      - .address_space:  global
        .offset:         24
        .size:           8
        .value_kind:     global_buffer
      - .actual_access:  read_only
        .address_space:  global
        .offset:         32
        .size:           8
        .value_kind:     global_buffer
      - .offset:         40
        .size:           4
        .value_kind:     by_value
      - .offset:         48
        .size:           4
        .value_kind:     hidden_block_count_x
      - .offset:         52
        .size:           4
        .value_kind:     hidden_block_count_y
      - .offset:         56
        .size:           4
        .value_kind:     hidden_block_count_z
      - .offset:         60
        .size:           2
        .value_kind:     hidden_group_size_x
      - .offset:         62
        .size:           2
        .value_kind:     hidden_group_size_y
      - .offset:         64
        .size:           2
        .value_kind:     hidden_group_size_z
      - .offset:         66
        .size:           2
        .value_kind:     hidden_remainder_x
      - .offset:         68
        .size:           2
        .value_kind:     hidden_remainder_y
      - .offset:         70
        .size:           2
        .value_kind:     hidden_remainder_z
      - .offset:         88
        .size:           8
        .value_kind:     hidden_global_offset_x
      - .offset:         96
        .size:           8
        .value_kind:     hidden_global_offset_y
      - .offset:         104
        .size:           8
        .value_kind:     hidden_global_offset_z
      - .offset:         112
        .size:           2
        .value_kind:     hidden_grid_dims
    .group_segment_fixed_size: 0
    .kernarg_segment_align: 8
    .kernarg_segment_size: 304
    .language:       OpenCL C
    .language_version:
      - 2
      - 0
    .max_flat_workgroup_size: 1024
    .name:           _Z12ratxb_kernelIfEvPKT_S2_PS0_S3_S2_S0_
    .private_segment_fixed_size: 0
    .sgpr_count:     27
    .sgpr_spill_count: 0
    .symbol:         _Z12ratxb_kernelIfEvPKT_S2_PS0_S3_S2_S0_.kd
    .uniform_work_group_size: 1
    .uses_dynamic_stack: false
    .vgpr_count:     65
    .vgpr_spill_count: 0
    .wavefront_size: 64
  - .agpr_count:     0
    .args:
      - .actual_access:  read_only
        .address_space:  global
        .offset:         0
        .size:           8
        .value_kind:     global_buffer
      - .address_space:  global
        .offset:         8
        .size:           8
        .value_kind:     global_buffer
      - .actual_access:  read_only
        .address_space:  global
        .offset:         16
        .size:           8
        .value_kind:     global_buffer
      - .offset:         24
        .size:           4
        .value_kind:     hidden_block_count_x
      - .offset:         28
        .size:           4
        .value_kind:     hidden_block_count_y
      - .offset:         32
        .size:           4
        .value_kind:     hidden_block_count_z
      - .offset:         36
        .size:           2
        .value_kind:     hidden_group_size_x
      - .offset:         38
        .size:           2
        .value_kind:     hidden_group_size_y
      - .offset:         40
        .size:           2
        .value_kind:     hidden_group_size_z
      - .offset:         42
        .size:           2
        .value_kind:     hidden_remainder_x
      - .offset:         44
        .size:           2
        .value_kind:     hidden_remainder_y
      - .offset:         46
        .size:           2
        .value_kind:     hidden_remainder_z
      - .offset:         64
        .size:           8
        .value_kind:     hidden_global_offset_x
      - .offset:         72
        .size:           8
        .value_kind:     hidden_global_offset_y
      - .offset:         80
        .size:           8
        .value_kind:     hidden_global_offset_z
      - .offset:         88
        .size:           2
        .value_kind:     hidden_grid_dims
    .group_segment_fixed_size: 0
    .kernarg_segment_align: 8
    .kernarg_segment_size: 280
    .language:       OpenCL C
    .language_version:
      - 2
      - 0
    .max_flat_workgroup_size: 1024
    .name:           _Z12ratx2_kernelIfEvPKT_PS0_S3_
    .private_segment_fixed_size: 0
    .sgpr_count:     15
    .sgpr_spill_count: 0
    .symbol:         _Z12ratx2_kernelIfEvPKT_PS0_S3_.kd
    .uniform_work_group_size: 1
    .uses_dynamic_stack: false
    .vgpr_count:     51
    .vgpr_spill_count: 0
    .wavefront_size: 64
  - .agpr_count:     0
    .args:
      - .actual_access:  read_only
        .address_space:  global
        .offset:         0
        .size:           8
        .value_kind:     global_buffer
      - .actual_access:  read_only
        .address_space:  global
        .offset:         8
        .size:           8
        .value_kind:     global_buffer
      - .address_space:  global
        .offset:         16
        .size:           8
        .value_kind:     global_buffer
      - .offset:         24
        .size:           4
        .value_kind:     hidden_block_count_x
      - .offset:         28
        .size:           4
        .value_kind:     hidden_block_count_y
      - .offset:         32
        .size:           4
        .value_kind:     hidden_block_count_z
      - .offset:         36
        .size:           2
        .value_kind:     hidden_group_size_x
      - .offset:         38
        .size:           2
        .value_kind:     hidden_group_size_y
      - .offset:         40
        .size:           2
        .value_kind:     hidden_group_size_z
      - .offset:         42
        .size:           2
        .value_kind:     hidden_remainder_x
      - .offset:         44
        .size:           2
        .value_kind:     hidden_remainder_y
      - .offset:         46
        .size:           2
        .value_kind:     hidden_remainder_z
      - .offset:         64
        .size:           8
        .value_kind:     hidden_global_offset_x
      - .offset:         72
        .size:           8
        .value_kind:     hidden_global_offset_y
      - .offset:         80
        .size:           8
        .value_kind:     hidden_global_offset_z
      - .offset:         88
        .size:           2
        .value_kind:     hidden_grid_dims
    .group_segment_fixed_size: 0
    .kernarg_segment_align: 8
    .kernarg_segment_size: 280
    .language:       OpenCL C
    .language_version:
      - 2
      - 0
    .max_flat_workgroup_size: 1024
    .name:           _Z12ratx4_kernelIfEvPKT_PS0_S3_
    .private_segment_fixed_size: 0
    .sgpr_count:     15
    .sgpr_spill_count: 0
    .symbol:         _Z12ratx4_kernelIfEvPKT_PS0_S3_.kd
    .uniform_work_group_size: 1
    .uses_dynamic_stack: false
    .vgpr_count:     53
    .vgpr_spill_count: 0
    .wavefront_size: 64
  - .agpr_count:     0
    .args:
      - .address_space:  global
        .offset:         0
        .size:           8
        .value_kind:     global_buffer
      - .address_space:  global
        .offset:         8
        .size:           8
        .value_kind:     global_buffer
      - .actual_access:  write_only
        .address_space:  global
        .offset:         16
        .size:           8
        .value_kind:     global_buffer
      - .offset:         24
        .size:           4
        .value_kind:     hidden_block_count_x
      - .offset:         28
        .size:           4
        .value_kind:     hidden_block_count_y
      - .offset:         32
        .size:           4
        .value_kind:     hidden_block_count_z
      - .offset:         36
        .size:           2
        .value_kind:     hidden_group_size_x
      - .offset:         38
        .size:           2
        .value_kind:     hidden_group_size_y
      - .offset:         40
        .size:           2
        .value_kind:     hidden_group_size_z
      - .offset:         42
        .size:           2
        .value_kind:     hidden_remainder_x
      - .offset:         44
        .size:           2
        .value_kind:     hidden_remainder_y
      - .offset:         46
        .size:           2
        .value_kind:     hidden_remainder_z
      - .offset:         64
        .size:           8
        .value_kind:     hidden_global_offset_x
      - .offset:         72
        .size:           8
        .value_kind:     hidden_global_offset_y
      - .offset:         80
        .size:           8
        .value_kind:     hidden_global_offset_z
      - .offset:         88
        .size:           2
        .value_kind:     hidden_grid_dims
    .group_segment_fixed_size: 0
    .kernarg_segment_align: 8
    .kernarg_segment_size: 280
    .language:       OpenCL C
    .language_version:
      - 2
      - 0
    .max_flat_workgroup_size: 1024
    .name:           _Z11qssa_kernelIfEvPT_S1_S1_
    .private_segment_fixed_size: 0
    .sgpr_count:     28
    .sgpr_spill_count: 0
    .symbol:         _Z11qssa_kernelIfEvPT_S1_S1_.kd
    .uniform_work_group_size: 1
    .uses_dynamic_stack: false
    .vgpr_count:     109
    .vgpr_spill_count: 0
    .wavefront_size: 64
  - .agpr_count:     0
    .args:
      - .actual_access:  read_only
        .address_space:  global
        .offset:         0
        .size:           8
        .value_kind:     global_buffer
      - .actual_access:  read_only
        .address_space:  global
        .offset:         8
        .size:           8
        .value_kind:     global_buffer
      - .address_space:  global
        .offset:         16
        .size:           8
        .value_kind:     global_buffer
      - .offset:         24
        .size:           4
        .value_kind:     hidden_block_count_x
      - .offset:         28
        .size:           4
        .value_kind:     hidden_block_count_y
      - .offset:         32
        .size:           4
        .value_kind:     hidden_block_count_z
      - .offset:         36
        .size:           2
        .value_kind:     hidden_group_size_x
      - .offset:         38
        .size:           2
        .value_kind:     hidden_group_size_y
      - .offset:         40
        .size:           2
        .value_kind:     hidden_group_size_z
      - .offset:         42
        .size:           2
        .value_kind:     hidden_remainder_x
      - .offset:         44
        .size:           2
        .value_kind:     hidden_remainder_y
      - .offset:         46
        .size:           2
        .value_kind:     hidden_remainder_z
      - .offset:         64
        .size:           8
        .value_kind:     hidden_global_offset_x
      - .offset:         72
        .size:           8
        .value_kind:     hidden_global_offset_y
      - .offset:         80
        .size:           8
        .value_kind:     hidden_global_offset_z
      - .offset:         88
        .size:           2
        .value_kind:     hidden_grid_dims
    .group_segment_fixed_size: 0
    .kernarg_segment_align: 8
    .kernarg_segment_size: 280
    .language:       OpenCL C
    .language_version:
      - 2
      - 0
    .max_flat_workgroup_size: 1024
    .name:           _Z12qssab_kernelIfEvPT_S1_S1_
    .private_segment_fixed_size: 0
    .sgpr_count:     19
    .sgpr_spill_count: 0
    .symbol:         _Z12qssab_kernelIfEvPT_S1_S1_.kd
    .uniform_work_group_size: 1
    .uses_dynamic_stack: false
    .vgpr_count:     58
    .vgpr_spill_count: 0
    .wavefront_size: 64
  - .agpr_count:     0
    .args:
      - .address_space:  global
        .offset:         0
        .size:           8
        .value_kind:     global_buffer
      - .address_space:  global
        .offset:         8
        .size:           8
        .value_kind:     global_buffer
      - .actual_access:  read_only
        .address_space:  global
        .offset:         16
        .size:           8
        .value_kind:     global_buffer
      - .offset:         24
        .size:           4
        .value_kind:     hidden_block_count_x
      - .offset:         28
        .size:           4
        .value_kind:     hidden_block_count_y
      - .offset:         32
        .size:           4
        .value_kind:     hidden_block_count_z
      - .offset:         36
        .size:           2
        .value_kind:     hidden_group_size_x
      - .offset:         38
        .size:           2
        .value_kind:     hidden_group_size_y
      - .offset:         40
        .size:           2
        .value_kind:     hidden_group_size_z
      - .offset:         42
        .size:           2
        .value_kind:     hidden_remainder_x
      - .offset:         44
        .size:           2
        .value_kind:     hidden_remainder_y
      - .offset:         46
        .size:           2
        .value_kind:     hidden_remainder_z
      - .offset:         64
        .size:           8
        .value_kind:     hidden_global_offset_x
      - .offset:         72
        .size:           8
        .value_kind:     hidden_global_offset_y
      - .offset:         80
        .size:           8
        .value_kind:     hidden_global_offset_z
      - .offset:         88
        .size:           2
        .value_kind:     hidden_grid_dims
    .group_segment_fixed_size: 0
    .kernarg_segment_align: 8
    .kernarg_segment_size: 280
    .language:       OpenCL C
    .language_version:
      - 2
      - 0
    .max_flat_workgroup_size: 1024
    .name:           _Z12qssa2_kernelIfEvPT_S1_PKS0_
    .private_segment_fixed_size: 0
    .sgpr_count:     18
    .sgpr_spill_count: 0
    .symbol:         _Z12qssa2_kernelIfEvPT_S1_PKS0_.kd
    .uniform_work_group_size: 1
    .uses_dynamic_stack: false
    .vgpr_count:     62
    .vgpr_spill_count: 0
    .wavefront_size: 64
  - .agpr_count:     0
    .args:
      - .actual_access:  read_only
        .address_space:  global
        .offset:         0
        .size:           8
        .value_kind:     global_buffer
      - .actual_access:  read_only
        .address_space:  global
        .offset:         8
        .size:           8
        .value_kind:     global_buffer
      - .actual_access:  write_only
        .address_space:  global
        .offset:         16
        .size:           8
        .value_kind:     global_buffer
      - .offset:         24
        .size:           4
        .value_kind:     by_value
      - .actual_access:  read_only
        .address_space:  global
        .offset:         32
        .size:           8
        .value_kind:     global_buffer
      - .offset:         40
        .size:           4
        .value_kind:     hidden_block_count_x
      - .offset:         44
        .size:           4
        .value_kind:     hidden_block_count_y
      - .offset:         48
        .size:           4
        .value_kind:     hidden_block_count_z
      - .offset:         52
        .size:           2
        .value_kind:     hidden_group_size_x
      - .offset:         54
        .size:           2
        .value_kind:     hidden_group_size_y
      - .offset:         56
        .size:           2
        .value_kind:     hidden_group_size_z
      - .offset:         58
        .size:           2
        .value_kind:     hidden_remainder_x
      - .offset:         60
        .size:           2
        .value_kind:     hidden_remainder_y
      - .offset:         62
        .size:           2
        .value_kind:     hidden_remainder_z
      - .offset:         80
        .size:           8
        .value_kind:     hidden_global_offset_x
      - .offset:         88
        .size:           8
        .value_kind:     hidden_global_offset_y
      - .offset:         96
        .size:           8
        .value_kind:     hidden_global_offset_z
      - .offset:         104
        .size:           2
        .value_kind:     hidden_grid_dims
    .group_segment_fixed_size: 0
    .kernarg_segment_align: 8
    .kernarg_segment_size: 296
    .language:       OpenCL C
    .language_version:
      - 2
      - 0
    .max_flat_workgroup_size: 1024
    .name:           _Z13rdwdot_kernelIfEvPKT_S2_PS0_S0_S2_
    .private_segment_fixed_size: 0
    .sgpr_count:     24
    .sgpr_spill_count: 0
    .symbol:         _Z13rdwdot_kernelIfEvPKT_S2_PS0_S0_S2_.kd
    .uniform_work_group_size: 1
    .uses_dynamic_stack: false
    .vgpr_count:     60
    .vgpr_spill_count: 0
    .wavefront_size: 64
  - .agpr_count:     0
    .args:
      - .actual_access:  read_only
        .address_space:  global
        .offset:         0
        .size:           8
        .value_kind:     global_buffer
      - .actual_access:  read_only
        .address_space:  global
        .offset:         8
        .size:           8
        .value_kind:     global_buffer
      - .actual_access:  write_only
        .address_space:  global
        .offset:         16
        .size:           8
        .value_kind:     global_buffer
      - .offset:         24
        .size:           4
        .value_kind:     by_value
      - .actual_access:  read_only
        .address_space:  global
        .offset:         32
        .size:           8
        .value_kind:     global_buffer
      - .offset:         40
        .size:           4
        .value_kind:     hidden_block_count_x
      - .offset:         44
        .size:           4
        .value_kind:     hidden_block_count_y
      - .offset:         48
        .size:           4
        .value_kind:     hidden_block_count_z
      - .offset:         52
        .size:           2
        .value_kind:     hidden_group_size_x
      - .offset:         54
        .size:           2
        .value_kind:     hidden_group_size_y
      - .offset:         56
        .size:           2
        .value_kind:     hidden_group_size_z
      - .offset:         58
        .size:           2
        .value_kind:     hidden_remainder_x
      - .offset:         60
        .size:           2
        .value_kind:     hidden_remainder_y
      - .offset:         62
        .size:           2
        .value_kind:     hidden_remainder_z
      - .offset:         80
        .size:           8
        .value_kind:     hidden_global_offset_x
      - .offset:         88
        .size:           8
        .value_kind:     hidden_global_offset_y
      - .offset:         96
        .size:           8
        .value_kind:     hidden_global_offset_z
      - .offset:         104
        .size:           2
        .value_kind:     hidden_grid_dims
    .group_segment_fixed_size: 0
    .kernarg_segment_align: 8
    .kernarg_segment_size: 296
    .language:       OpenCL C
    .language_version:
      - 2
      - 0
    .max_flat_workgroup_size: 1024
    .name:           _Z14rdwdot2_kernelIfEvPKT_S2_PS0_S0_S2_
    .private_segment_fixed_size: 0
    .sgpr_count:     18
    .sgpr_spill_count: 0
    .symbol:         _Z14rdwdot2_kernelIfEvPKT_S2_PS0_S0_S2_.kd
    .uniform_work_group_size: 1
    .uses_dynamic_stack: false
    .vgpr_count:     54
    .vgpr_spill_count: 0
    .wavefront_size: 64
  - .agpr_count:     0
    .args:
      - .actual_access:  read_only
        .address_space:  global
        .offset:         0
        .size:           8
        .value_kind:     global_buffer
      - .actual_access:  read_only
        .address_space:  global
        .offset:         8
        .size:           8
        .value_kind:     global_buffer
      - .actual_access:  write_only
        .address_space:  global
        .offset:         16
        .size:           8
        .value_kind:     global_buffer
      - .offset:         24
        .size:           4
        .value_kind:     by_value
      - .actual_access:  read_only
        .address_space:  global
        .offset:         32
        .size:           8
        .value_kind:     global_buffer
      - .offset:         40
        .size:           4
        .value_kind:     hidden_block_count_x
      - .offset:         44
        .size:           4
        .value_kind:     hidden_block_count_y
      - .offset:         48
        .size:           4
        .value_kind:     hidden_block_count_z
      - .offset:         52
        .size:           2
        .value_kind:     hidden_group_size_x
      - .offset:         54
        .size:           2
        .value_kind:     hidden_group_size_y
      - .offset:         56
        .size:           2
        .value_kind:     hidden_group_size_z
      - .offset:         58
        .size:           2
        .value_kind:     hidden_remainder_x
      - .offset:         60
        .size:           2
        .value_kind:     hidden_remainder_y
      - .offset:         62
        .size:           2
        .value_kind:     hidden_remainder_z
      - .offset:         80
        .size:           8
        .value_kind:     hidden_global_offset_x
      - .offset:         88
        .size:           8
        .value_kind:     hidden_global_offset_y
      - .offset:         96
        .size:           8
        .value_kind:     hidden_global_offset_z
      - .offset:         104
        .size:           2
        .value_kind:     hidden_grid_dims
    .group_segment_fixed_size: 0
    .kernarg_segment_align: 8
    .kernarg_segment_size: 296
    .language:       OpenCL C
    .language_version:
      - 2
      - 0
    .max_flat_workgroup_size: 1024
    .name:           _Z14rdwdot3_kernelIfEvPKT_S2_PS0_S0_S2_
    .private_segment_fixed_size: 0
    .sgpr_count:     30
    .sgpr_spill_count: 0
    .symbol:         _Z14rdwdot3_kernelIfEvPKT_S2_PS0_S0_S2_.kd
    .uniform_work_group_size: 1
    .uses_dynamic_stack: false
    .vgpr_count:     36
    .vgpr_spill_count: 0
    .wavefront_size: 64
  - .agpr_count:     0
    .args:
      - .actual_access:  read_only
        .address_space:  global
        .offset:         0
        .size:           8
        .value_kind:     global_buffer
      - .actual_access:  read_only
        .address_space:  global
        .offset:         8
        .size:           8
        .value_kind:     global_buffer
      - .actual_access:  write_only
        .address_space:  global
        .offset:         16
        .size:           8
        .value_kind:     global_buffer
      - .offset:         24
        .size:           4
        .value_kind:     by_value
      - .actual_access:  read_only
        .address_space:  global
        .offset:         32
        .size:           8
        .value_kind:     global_buffer
      - .offset:         40
        .size:           4
        .value_kind:     hidden_block_count_x
      - .offset:         44
        .size:           4
        .value_kind:     hidden_block_count_y
      - .offset:         48
        .size:           4
        .value_kind:     hidden_block_count_z
      - .offset:         52
        .size:           2
        .value_kind:     hidden_group_size_x
      - .offset:         54
        .size:           2
        .value_kind:     hidden_group_size_y
      - .offset:         56
        .size:           2
        .value_kind:     hidden_group_size_z
      - .offset:         58
        .size:           2
        .value_kind:     hidden_remainder_x
      - .offset:         60
        .size:           2
        .value_kind:     hidden_remainder_y
      - .offset:         62
        .size:           2
        .value_kind:     hidden_remainder_z
      - .offset:         80
        .size:           8
        .value_kind:     hidden_global_offset_x
      - .offset:         88
        .size:           8
        .value_kind:     hidden_global_offset_y
      - .offset:         96
        .size:           8
        .value_kind:     hidden_global_offset_z
      - .offset:         104
        .size:           2
        .value_kind:     hidden_grid_dims
    .group_segment_fixed_size: 0
    .kernarg_segment_align: 8
    .kernarg_segment_size: 296
    .language:       OpenCL C
    .language_version:
      - 2
      - 0
    .max_flat_workgroup_size: 1024
    .name:           _Z14rdwdot6_kernelIfEvPKT_S2_PS0_S0_S2_
    .private_segment_fixed_size: 0
    .sgpr_count:     22
    .sgpr_spill_count: 0
    .symbol:         _Z14rdwdot6_kernelIfEvPKT_S2_PS0_S0_S2_.kd
    .uniform_work_group_size: 1
    .uses_dynamic_stack: false
    .vgpr_count:     15
    .vgpr_spill_count: 0
    .wavefront_size: 64
  - .agpr_count:     0
    .args:
      - .actual_access:  read_only
        .address_space:  global
        .offset:         0
        .size:           8
        .value_kind:     global_buffer
      - .actual_access:  read_only
        .address_space:  global
        .offset:         8
        .size:           8
        .value_kind:     global_buffer
      - .actual_access:  write_only
        .address_space:  global
        .offset:         16
        .size:           8
        .value_kind:     global_buffer
      - .offset:         24
        .size:           4
        .value_kind:     by_value
      - .actual_access:  read_only
        .address_space:  global
        .offset:         32
        .size:           8
        .value_kind:     global_buffer
      - .offset:         40
        .size:           4
        .value_kind:     hidden_block_count_x
      - .offset:         44
        .size:           4
        .value_kind:     hidden_block_count_y
      - .offset:         48
        .size:           4
        .value_kind:     hidden_block_count_z
      - .offset:         52
        .size:           2
        .value_kind:     hidden_group_size_x
      - .offset:         54
        .size:           2
        .value_kind:     hidden_group_size_y
      - .offset:         56
        .size:           2
        .value_kind:     hidden_group_size_z
      - .offset:         58
        .size:           2
        .value_kind:     hidden_remainder_x
      - .offset:         60
        .size:           2
        .value_kind:     hidden_remainder_y
      - .offset:         62
        .size:           2
        .value_kind:     hidden_remainder_z
      - .offset:         80
        .size:           8
        .value_kind:     hidden_global_offset_x
      - .offset:         88
        .size:           8
        .value_kind:     hidden_global_offset_y
      - .offset:         96
        .size:           8
        .value_kind:     hidden_global_offset_z
      - .offset:         104
        .size:           2
        .value_kind:     hidden_grid_dims
    .group_segment_fixed_size: 0
    .kernarg_segment_align: 8
    .kernarg_segment_size: 296
    .language:       OpenCL C
    .language_version:
      - 2
      - 0
    .max_flat_workgroup_size: 1024
    .name:           _Z14rdwdot7_kernelIfEvPKT_S2_PS0_S0_S2_
    .private_segment_fixed_size: 0
    .sgpr_count:     22
    .sgpr_spill_count: 0
    .symbol:         _Z14rdwdot7_kernelIfEvPKT_S2_PS0_S0_S2_.kd
    .uniform_work_group_size: 1
    .uses_dynamic_stack: false
    .vgpr_count:     22
    .vgpr_spill_count: 0
    .wavefront_size: 64
  - .agpr_count:     0
    .args:
      - .actual_access:  read_only
        .address_space:  global
        .offset:         0
        .size:           8
        .value_kind:     global_buffer
      - .actual_access:  read_only
        .address_space:  global
        .offset:         8
        .size:           8
        .value_kind:     global_buffer
      - .actual_access:  write_only
        .address_space:  global
        .offset:         16
        .size:           8
        .value_kind:     global_buffer
      - .offset:         24
        .size:           4
        .value_kind:     by_value
      - .actual_access:  read_only
        .address_space:  global
        .offset:         32
        .size:           8
        .value_kind:     global_buffer
      - .offset:         40
        .size:           4
        .value_kind:     hidden_block_count_x
      - .offset:         44
        .size:           4
        .value_kind:     hidden_block_count_y
      - .offset:         48
        .size:           4
        .value_kind:     hidden_block_count_z
      - .offset:         52
        .size:           2
        .value_kind:     hidden_group_size_x
      - .offset:         54
        .size:           2
        .value_kind:     hidden_group_size_y
      - .offset:         56
        .size:           2
        .value_kind:     hidden_group_size_z
      - .offset:         58
        .size:           2
        .value_kind:     hidden_remainder_x
      - .offset:         60
        .size:           2
        .value_kind:     hidden_remainder_y
      - .offset:         62
        .size:           2
        .value_kind:     hidden_remainder_z
      - .offset:         80
        .size:           8
        .value_kind:     hidden_global_offset_x
      - .offset:         88
        .size:           8
        .value_kind:     hidden_global_offset_y
      - .offset:         96
        .size:           8
        .value_kind:     hidden_global_offset_z
      - .offset:         104
        .size:           2
        .value_kind:     hidden_grid_dims
    .group_segment_fixed_size: 0
    .kernarg_segment_align: 8
    .kernarg_segment_size: 296
    .language:       OpenCL C
    .language_version:
      - 2
      - 0
    .max_flat_workgroup_size: 1024
    .name:           _Z14rdwdot8_kernelIfEvPKT_S2_PS0_S0_S2_
    .private_segment_fixed_size: 0
    .sgpr_count:     22
    .sgpr_spill_count: 0
    .symbol:         _Z14rdwdot8_kernelIfEvPKT_S2_PS0_S0_S2_.kd
    .uniform_work_group_size: 1
    .uses_dynamic_stack: false
    .vgpr_count:     19
    .vgpr_spill_count: 0
    .wavefront_size: 64
  - .agpr_count:     0
    .args:
      - .actual_access:  read_only
        .address_space:  global
        .offset:         0
        .size:           8
        .value_kind:     global_buffer
      - .actual_access:  read_only
        .address_space:  global
        .offset:         8
        .size:           8
        .value_kind:     global_buffer
      - .actual_access:  write_only
        .address_space:  global
        .offset:         16
        .size:           8
        .value_kind:     global_buffer
      - .offset:         24
        .size:           4
        .value_kind:     by_value
      - .actual_access:  read_only
        .address_space:  global
        .offset:         32
        .size:           8
        .value_kind:     global_buffer
      - .offset:         40
        .size:           4
        .value_kind:     hidden_block_count_x
      - .offset:         44
        .size:           4
        .value_kind:     hidden_block_count_y
      - .offset:         48
        .size:           4
        .value_kind:     hidden_block_count_z
      - .offset:         52
        .size:           2
        .value_kind:     hidden_group_size_x
      - .offset:         54
        .size:           2
        .value_kind:     hidden_group_size_y
      - .offset:         56
        .size:           2
        .value_kind:     hidden_group_size_z
      - .offset:         58
        .size:           2
        .value_kind:     hidden_remainder_x
      - .offset:         60
        .size:           2
        .value_kind:     hidden_remainder_y
      - .offset:         62
        .size:           2
        .value_kind:     hidden_remainder_z
      - .offset:         80
        .size:           8
        .value_kind:     hidden_global_offset_x
      - .offset:         88
        .size:           8
        .value_kind:     hidden_global_offset_y
      - .offset:         96
        .size:           8
        .value_kind:     hidden_global_offset_z
      - .offset:         104
        .size:           2
        .value_kind:     hidden_grid_dims
    .group_segment_fixed_size: 0
    .kernarg_segment_align: 8
    .kernarg_segment_size: 296
    .language:       OpenCL C
    .language_version:
      - 2
      - 0
    .max_flat_workgroup_size: 1024
    .name:           _Z14rdwdot9_kernelIfEvPKT_S2_PS0_S0_S2_
    .private_segment_fixed_size: 0
    .sgpr_count:     24
    .sgpr_spill_count: 0
    .symbol:         _Z14rdwdot9_kernelIfEvPKT_S2_PS0_S0_S2_.kd
    .uniform_work_group_size: 1
    .uses_dynamic_stack: false
    .vgpr_count:     60
    .vgpr_spill_count: 0
    .wavefront_size: 64
  - .agpr_count:     0
    .args:
      - .actual_access:  read_only
        .address_space:  global
        .offset:         0
        .size:           8
        .value_kind:     global_buffer
      - .actual_access:  read_only
        .address_space:  global
        .offset:         8
        .size:           8
        .value_kind:     global_buffer
      - .actual_access:  write_only
        .address_space:  global
        .offset:         16
        .size:           8
        .value_kind:     global_buffer
      - .offset:         24
        .size:           4
        .value_kind:     by_value
      - .actual_access:  read_only
        .address_space:  global
        .offset:         32
        .size:           8
        .value_kind:     global_buffer
      - .offset:         40
        .size:           4
        .value_kind:     hidden_block_count_x
      - .offset:         44
        .size:           4
        .value_kind:     hidden_block_count_y
      - .offset:         48
        .size:           4
        .value_kind:     hidden_block_count_z
      - .offset:         52
        .size:           2
        .value_kind:     hidden_group_size_x
      - .offset:         54
        .size:           2
        .value_kind:     hidden_group_size_y
      - .offset:         56
        .size:           2
        .value_kind:     hidden_group_size_z
      - .offset:         58
        .size:           2
        .value_kind:     hidden_remainder_x
      - .offset:         60
        .size:           2
        .value_kind:     hidden_remainder_y
      - .offset:         62
        .size:           2
        .value_kind:     hidden_remainder_z
      - .offset:         80
        .size:           8
        .value_kind:     hidden_global_offset_x
      - .offset:         88
        .size:           8
        .value_kind:     hidden_global_offset_y
      - .offset:         96
        .size:           8
        .value_kind:     hidden_global_offset_z
      - .offset:         104
        .size:           2
        .value_kind:     hidden_grid_dims
    .group_segment_fixed_size: 0
    .kernarg_segment_align: 8
    .kernarg_segment_size: 296
    .language:       OpenCL C
    .language_version:
      - 2
      - 0
    .max_flat_workgroup_size: 1024
    .name:           _Z15rdwdot10_kernelIfEvPKT_S2_PS0_S0_S2_
    .private_segment_fixed_size: 0
    .sgpr_count:     30
    .sgpr_spill_count: 0
    .symbol:         _Z15rdwdot10_kernelIfEvPKT_S2_PS0_S0_S2_.kd
    .uniform_work_group_size: 1
    .uses_dynamic_stack: false
    .vgpr_count:     48
    .vgpr_spill_count: 0
    .wavefront_size: 64
  - .agpr_count:     0
    .args:
      - .actual_access:  read_only
        .address_space:  global
        .offset:         0
        .size:           8
        .value_kind:     global_buffer
      - .actual_access:  write_only
        .address_space:  global
        .offset:         8
        .size:           8
        .value_kind:     global_buffer
      - .offset:         16
        .size:           8
        .value_kind:     by_value
      - .offset:         24
        .size:           4
        .value_kind:     hidden_block_count_x
      - .offset:         28
        .size:           4
        .value_kind:     hidden_block_count_y
      - .offset:         32
        .size:           4
        .value_kind:     hidden_block_count_z
      - .offset:         36
        .size:           2
        .value_kind:     hidden_group_size_x
      - .offset:         38
        .size:           2
        .value_kind:     hidden_group_size_y
      - .offset:         40
        .size:           2
        .value_kind:     hidden_group_size_z
      - .offset:         42
        .size:           2
        .value_kind:     hidden_remainder_x
      - .offset:         44
        .size:           2
        .value_kind:     hidden_remainder_y
      - .offset:         46
        .size:           2
        .value_kind:     hidden_remainder_z
      - .offset:         64
        .size:           8
        .value_kind:     hidden_global_offset_x
      - .offset:         72
        .size:           8
        .value_kind:     hidden_global_offset_y
      - .offset:         80
        .size:           8
        .value_kind:     hidden_global_offset_z
      - .offset:         88
        .size:           2
        .value_kind:     hidden_grid_dims
    .group_segment_fixed_size: 0
    .kernarg_segment_align: 8
    .kernarg_segment_size: 280
    .language:       OpenCL C
    .language_version:
      - 2
      - 0
    .max_flat_workgroup_size: 1024
    .name:           _Z11ratt_kernelIdEvPKT_PS0_S0_
    .private_segment_fixed_size: 0
    .sgpr_count:     84
    .sgpr_spill_count: 0
    .symbol:         _Z11ratt_kernelIdEvPKT_PS0_S0_.kd
    .uniform_work_group_size: 1
    .uses_dynamic_stack: false
    .vgpr_count:     40
    .vgpr_spill_count: 0
    .wavefront_size: 64
  - .agpr_count:     0
    .args:
      - .actual_access:  read_only
        .address_space:  global
        .offset:         0
        .size:           8
        .value_kind:     global_buffer
      - .actual_access:  write_only
        .address_space:  global
        .offset:         8
        .size:           8
        .value_kind:     global_buffer
      - .offset:         16
        .size:           8
        .value_kind:     by_value
      - .offset:         24
        .size:           4
        .value_kind:     hidden_block_count_x
      - .offset:         28
        .size:           4
        .value_kind:     hidden_block_count_y
      - .offset:         32
        .size:           4
        .value_kind:     hidden_block_count_z
      - .offset:         36
        .size:           2
        .value_kind:     hidden_group_size_x
      - .offset:         38
        .size:           2
        .value_kind:     hidden_group_size_y
      - .offset:         40
        .size:           2
        .value_kind:     hidden_group_size_z
      - .offset:         42
        .size:           2
        .value_kind:     hidden_remainder_x
      - .offset:         44
        .size:           2
        .value_kind:     hidden_remainder_y
      - .offset:         46
        .size:           2
        .value_kind:     hidden_remainder_z
      - .offset:         64
        .size:           8
        .value_kind:     hidden_global_offset_x
      - .offset:         72
        .size:           8
        .value_kind:     hidden_global_offset_y
      - .offset:         80
        .size:           8
        .value_kind:     hidden_global_offset_z
      - .offset:         88
        .size:           2
        .value_kind:     hidden_grid_dims
    .group_segment_fixed_size: 0
    .kernarg_segment_align: 8
    .kernarg_segment_size: 280
    .language:       OpenCL C
    .language_version:
      - 2
      - 0
    .max_flat_workgroup_size: 1024
    .name:           _Z12rdsmh_kernelIdEvPKT_PS0_S0_
    .private_segment_fixed_size: 0
    .sgpr_count:     44
    .sgpr_spill_count: 0
    .symbol:         _Z12rdsmh_kernelIdEvPKT_PS0_S0_.kd
    .uniform_work_group_size: 1
    .uses_dynamic_stack: false
    .vgpr_count:     44
    .vgpr_spill_count: 0
    .wavefront_size: 64
  - .agpr_count:     0
    .args:
      - .address_space:  global
        .offset:         0
        .size:           8
        .value_kind:     global_buffer
      - .address_space:  global
        .offset:         8
        .size:           8
        .value_kind:     global_buffer
      - .address_space:  global
        .offset:         16
        .size:           8
        .value_kind:     global_buffer
      - .address_space:  global
        .offset:         24
        .size:           8
        .value_kind:     global_buffer
      - .offset:         32
        .size:           8
        .value_kind:     by_value
      - .offset:         40
        .size:           8
        .value_kind:     by_value
      - .offset:         48
        .size:           4
        .value_kind:     hidden_block_count_x
      - .offset:         52
        .size:           4
        .value_kind:     hidden_block_count_y
      - .offset:         56
        .size:           4
        .value_kind:     hidden_block_count_z
      - .offset:         60
        .size:           2
        .value_kind:     hidden_group_size_x
      - .offset:         62
        .size:           2
        .value_kind:     hidden_group_size_y
      - .offset:         64
        .size:           2
        .value_kind:     hidden_group_size_z
      - .offset:         66
        .size:           2
        .value_kind:     hidden_remainder_x
      - .offset:         68
        .size:           2
        .value_kind:     hidden_remainder_y
      - .offset:         70
        .size:           2
        .value_kind:     hidden_remainder_z
      - .offset:         88
        .size:           8
        .value_kind:     hidden_global_offset_x
      - .offset:         96
        .size:           8
        .value_kind:     hidden_global_offset_y
      - .offset:         104
        .size:           8
        .value_kind:     hidden_global_offset_z
      - .offset:         112
        .size:           2
        .value_kind:     hidden_grid_dims
    .group_segment_fixed_size: 0
    .kernarg_segment_align: 8
    .kernarg_segment_size: 304
    .language:       OpenCL C
    .language_version:
      - 2
      - 0
    .max_flat_workgroup_size: 1024
    .name:           _Z7gr_baseIdEvPKT_S2_S2_PS0_S0_S0_
    .private_segment_fixed_size: 0
    .sgpr_count:     50
    .sgpr_spill_count: 0
    .symbol:         _Z7gr_baseIdEvPKT_S2_S2_PS0_S0_S0_.kd
    .uniform_work_group_size: 1
    .uses_dynamic_stack: false
    .vgpr_count:     72
    .vgpr_spill_count: 0
    .wavefront_size: 64
  - .agpr_count:     0
    .args:
      - .actual_access:  read_only
        .address_space:  global
        .offset:         0
        .size:           8
        .value_kind:     global_buffer
      - .actual_access:  read_only
        .address_space:  global
        .offset:         8
        .size:           8
        .value_kind:     global_buffer
      - .actual_access:  write_only
        .address_space:  global
        .offset:         16
        .size:           8
        .value_kind:     global_buffer
      - .actual_access:  read_only
        .address_space:  global
        .offset:         24
        .size:           8
        .value_kind:     global_buffer
      - .offset:         32
        .size:           8
        .value_kind:     by_value
      - .offset:         40
        .size:           4
        .value_kind:     hidden_block_count_x
      - .offset:         44
        .size:           4
        .value_kind:     hidden_block_count_y
      - .offset:         48
        .size:           4
        .value_kind:     hidden_block_count_z
      - .offset:         52
        .size:           2
        .value_kind:     hidden_group_size_x
      - .offset:         54
        .size:           2
        .value_kind:     hidden_group_size_y
      - .offset:         56
        .size:           2
        .value_kind:     hidden_group_size_z
      - .offset:         58
        .size:           2
        .value_kind:     hidden_remainder_x
      - .offset:         60
        .size:           2
        .value_kind:     hidden_remainder_y
      - .offset:         62
        .size:           2
        .value_kind:     hidden_remainder_z
      - .offset:         80
        .size:           8
        .value_kind:     hidden_global_offset_x
      - .offset:         88
        .size:           8
        .value_kind:     hidden_global_offset_y
      - .offset:         96
        .size:           8
        .value_kind:     hidden_global_offset_z
      - .offset:         104
        .size:           2
        .value_kind:     hidden_grid_dims
    .group_segment_fixed_size: 0
    .kernarg_segment_align: 8
    .kernarg_segment_size: 296
    .language:       OpenCL C
    .language_version:
      - 2
      - 0
    .max_flat_workgroup_size: 1024
    .name:           _Z12ratt2_kernelIdEvPKT_S2_PS0_S2_S0_
    .private_segment_fixed_size: 0
    .sgpr_count:     19
    .sgpr_spill_count: 0
    .symbol:         _Z12ratt2_kernelIdEvPKT_S2_PS0_S2_S0_.kd
    .uniform_work_group_size: 1
    .uses_dynamic_stack: false
    .vgpr_count:     62
    .vgpr_spill_count: 0
    .wavefront_size: 64
  - .agpr_count:     0
    .args:
      - .actual_access:  read_only
        .address_space:  global
        .offset:         0
        .size:           8
        .value_kind:     global_buffer
      - .actual_access:  read_only
        .address_space:  global
        .offset:         8
        .size:           8
        .value_kind:     global_buffer
      - .actual_access:  write_only
        .address_space:  global
        .offset:         16
        .size:           8
        .value_kind:     global_buffer
      - .actual_access:  read_only
        .address_space:  global
        .offset:         24
        .size:           8
        .value_kind:     global_buffer
      - .offset:         32
        .size:           8
        .value_kind:     by_value
      - .offset:         40
        .size:           4
        .value_kind:     hidden_block_count_x
      - .offset:         44
        .size:           4
        .value_kind:     hidden_block_count_y
      - .offset:         48
        .size:           4
        .value_kind:     hidden_block_count_z
      - .offset:         52
        .size:           2
        .value_kind:     hidden_group_size_x
      - .offset:         54
        .size:           2
        .value_kind:     hidden_group_size_y
      - .offset:         56
        .size:           2
        .value_kind:     hidden_group_size_z
      - .offset:         58
        .size:           2
        .value_kind:     hidden_remainder_x
      - .offset:         60
        .size:           2
        .value_kind:     hidden_remainder_y
      - .offset:         62
        .size:           2
        .value_kind:     hidden_remainder_z
      - .offset:         80
        .size:           8
        .value_kind:     hidden_global_offset_x
      - .offset:         88
        .size:           8
        .value_kind:     hidden_global_offset_y
      - .offset:         96
        .size:           8
        .value_kind:     hidden_global_offset_z
      - .offset:         104
        .size:           2
        .value_kind:     hidden_grid_dims
    .group_segment_fixed_size: 0
    .kernarg_segment_align: 8
    .kernarg_segment_size: 296
    .language:       OpenCL C
    .language_version:
      - 2
      - 0
    .max_flat_workgroup_size: 1024
    .name:           _Z12ratt3_kernelIdEvPKT_S2_PS0_S2_S0_
    .private_segment_fixed_size: 0
    .sgpr_count:     21
    .sgpr_spill_count: 0
    .symbol:         _Z12ratt3_kernelIdEvPKT_S2_PS0_S2_S0_.kd
    .uniform_work_group_size: 1
    .uses_dynamic_stack: false
    .vgpr_count:     62
    .vgpr_spill_count: 0
    .wavefront_size: 64
  - .agpr_count:     0
    .args:
      - .actual_access:  read_only
        .address_space:  global
        .offset:         0
        .size:           8
        .value_kind:     global_buffer
      - .actual_access:  read_only
        .address_space:  global
        .offset:         8
        .size:           8
        .value_kind:     global_buffer
      - .actual_access:  write_only
        .address_space:  global
        .offset:         16
        .size:           8
        .value_kind:     global_buffer
      - .actual_access:  read_only
        .address_space:  global
        .offset:         24
        .size:           8
        .value_kind:     global_buffer
      - .offset:         32
        .size:           8
        .value_kind:     by_value
      - .offset:         40
        .size:           4
        .value_kind:     hidden_block_count_x
      - .offset:         44
        .size:           4
        .value_kind:     hidden_block_count_y
      - .offset:         48
        .size:           4
        .value_kind:     hidden_block_count_z
      - .offset:         52
        .size:           2
        .value_kind:     hidden_group_size_x
      - .offset:         54
        .size:           2
        .value_kind:     hidden_group_size_y
      - .offset:         56
        .size:           2
        .value_kind:     hidden_group_size_z
      - .offset:         58
        .size:           2
        .value_kind:     hidden_remainder_x
      - .offset:         60
        .size:           2
        .value_kind:     hidden_remainder_y
      - .offset:         62
        .size:           2
        .value_kind:     hidden_remainder_z
      - .offset:         80
        .size:           8
        .value_kind:     hidden_global_offset_x
      - .offset:         88
        .size:           8
        .value_kind:     hidden_global_offset_y
      - .offset:         96
        .size:           8
        .value_kind:     hidden_global_offset_z
      - .offset:         104
        .size:           2
        .value_kind:     hidden_grid_dims
    .group_segment_fixed_size: 0
    .kernarg_segment_align: 8
    .kernarg_segment_size: 296
    .language:       OpenCL C
    .language_version:
      - 2
      - 0
    .max_flat_workgroup_size: 1024
    .name:           _Z12ratt4_kernelIdEvPKT_S2_PS0_S2_S0_
    .private_segment_fixed_size: 0
    .sgpr_count:     21
    .sgpr_spill_count: 0
    .symbol:         _Z12ratt4_kernelIdEvPKT_S2_PS0_S2_S0_.kd
    .uniform_work_group_size: 1
    .uses_dynamic_stack: false
    .vgpr_count:     60
    .vgpr_spill_count: 0
    .wavefront_size: 64
  - .agpr_count:     0
    .args:
      - .actual_access:  read_only
        .address_space:  global
        .offset:         0
        .size:           8
        .value_kind:     global_buffer
      - .actual_access:  read_only
        .address_space:  global
        .offset:         8
        .size:           8
        .value_kind:     global_buffer
      - .actual_access:  write_only
        .address_space:  global
        .offset:         16
        .size:           8
        .value_kind:     global_buffer
      - .actual_access:  read_only
        .address_space:  global
        .offset:         24
        .size:           8
        .value_kind:     global_buffer
      - .offset:         32
        .size:           8
        .value_kind:     by_value
      - .offset:         40
        .size:           4
        .value_kind:     hidden_block_count_x
      - .offset:         44
        .size:           4
        .value_kind:     hidden_block_count_y
      - .offset:         48
        .size:           4
        .value_kind:     hidden_block_count_z
      - .offset:         52
        .size:           2
        .value_kind:     hidden_group_size_x
      - .offset:         54
        .size:           2
        .value_kind:     hidden_group_size_y
      - .offset:         56
        .size:           2
        .value_kind:     hidden_group_size_z
      - .offset:         58
        .size:           2
        .value_kind:     hidden_remainder_x
      - .offset:         60
        .size:           2
        .value_kind:     hidden_remainder_y
      - .offset:         62
        .size:           2
        .value_kind:     hidden_remainder_z
      - .offset:         80
        .size:           8
        .value_kind:     hidden_global_offset_x
      - .offset:         88
        .size:           8
        .value_kind:     hidden_global_offset_y
      - .offset:         96
        .size:           8
        .value_kind:     hidden_global_offset_z
      - .offset:         104
        .size:           2
        .value_kind:     hidden_grid_dims
    .group_segment_fixed_size: 0
    .kernarg_segment_align: 8
    .kernarg_segment_size: 296
    .language:       OpenCL C
    .language_version:
      - 2
      - 0
    .max_flat_workgroup_size: 1024
    .name:           _Z12ratt5_kernelIdEvPKT_S2_PS0_S2_S0_
    .private_segment_fixed_size: 0
    .sgpr_count:     21
    .sgpr_spill_count: 0
    .symbol:         _Z12ratt5_kernelIdEvPKT_S2_PS0_S2_S0_.kd
    .uniform_work_group_size: 1
    .uses_dynamic_stack: false
    .vgpr_count:     62
    .vgpr_spill_count: 0
    .wavefront_size: 64
  - .agpr_count:     0
    .args:
      - .actual_access:  read_only
        .address_space:  global
        .offset:         0
        .size:           8
        .value_kind:     global_buffer
      - .actual_access:  read_only
        .address_space:  global
        .offset:         8
        .size:           8
        .value_kind:     global_buffer
      - .actual_access:  write_only
        .address_space:  global
        .offset:         16
        .size:           8
        .value_kind:     global_buffer
      - .actual_access:  read_only
        .address_space:  global
        .offset:         24
        .size:           8
        .value_kind:     global_buffer
      - .offset:         32
        .size:           8
        .value_kind:     by_value
      - .offset:         40
        .size:           4
        .value_kind:     hidden_block_count_x
      - .offset:         44
        .size:           4
        .value_kind:     hidden_block_count_y
      - .offset:         48
        .size:           4
        .value_kind:     hidden_block_count_z
      - .offset:         52
        .size:           2
        .value_kind:     hidden_group_size_x
      - .offset:         54
        .size:           2
        .value_kind:     hidden_group_size_y
      - .offset:         56
        .size:           2
        .value_kind:     hidden_group_size_z
      - .offset:         58
        .size:           2
        .value_kind:     hidden_remainder_x
      - .offset:         60
        .size:           2
        .value_kind:     hidden_remainder_y
      - .offset:         62
        .size:           2
        .value_kind:     hidden_remainder_z
      - .offset:         80
        .size:           8
        .value_kind:     hidden_global_offset_x
      - .offset:         88
        .size:           8
        .value_kind:     hidden_global_offset_y
      - .offset:         96
        .size:           8
        .value_kind:     hidden_global_offset_z
      - .offset:         104
        .size:           2
        .value_kind:     hidden_grid_dims
    .group_segment_fixed_size: 0
    .kernarg_segment_align: 8
    .kernarg_segment_size: 296
    .language:       OpenCL C
    .language_version:
      - 2
      - 0
    .max_flat_workgroup_size: 1024
    .name:           _Z12ratt6_kernelIdEvPKT_S2_PS0_S2_S0_
    .private_segment_fixed_size: 0
    .sgpr_count:     22
    .sgpr_spill_count: 0
    .symbol:         _Z12ratt6_kernelIdEvPKT_S2_PS0_S2_S0_.kd
    .uniform_work_group_size: 1
    .uses_dynamic_stack: false
    .vgpr_count:     62
    .vgpr_spill_count: 0
    .wavefront_size: 64
  - .agpr_count:     0
    .args:
      - .actual_access:  read_only
        .address_space:  global
        .offset:         0
        .size:           8
        .value_kind:     global_buffer
      - .actual_access:  read_only
        .address_space:  global
        .offset:         8
        .size:           8
        .value_kind:     global_buffer
      - .actual_access:  write_only
        .address_space:  global
        .offset:         16
        .size:           8
        .value_kind:     global_buffer
      - .actual_access:  read_only
        .address_space:  global
        .offset:         24
        .size:           8
        .value_kind:     global_buffer
      - .offset:         32
        .size:           8
        .value_kind:     by_value
      - .offset:         40
        .size:           4
        .value_kind:     hidden_block_count_x
      - .offset:         44
        .size:           4
        .value_kind:     hidden_block_count_y
      - .offset:         48
        .size:           4
        .value_kind:     hidden_block_count_z
      - .offset:         52
        .size:           2
        .value_kind:     hidden_group_size_x
      - .offset:         54
        .size:           2
        .value_kind:     hidden_group_size_y
      - .offset:         56
        .size:           2
        .value_kind:     hidden_group_size_z
      - .offset:         58
        .size:           2
        .value_kind:     hidden_remainder_x
      - .offset:         60
        .size:           2
        .value_kind:     hidden_remainder_y
      - .offset:         62
        .size:           2
        .value_kind:     hidden_remainder_z
      - .offset:         80
        .size:           8
        .value_kind:     hidden_global_offset_x
      - .offset:         88
        .size:           8
        .value_kind:     hidden_global_offset_y
      - .offset:         96
        .size:           8
        .value_kind:     hidden_global_offset_z
      - .offset:         104
        .size:           2
        .value_kind:     hidden_grid_dims
    .group_segment_fixed_size: 0
    .kernarg_segment_align: 8
    .kernarg_segment_size: 296
    .language:       OpenCL C
    .language_version:
      - 2
      - 0
    .max_flat_workgroup_size: 1024
    .name:           _Z12ratt7_kernelIdEvPKT_S2_PS0_S2_S0_
    .private_segment_fixed_size: 0
    .sgpr_count:     26
    .sgpr_spill_count: 0
    .symbol:         _Z12ratt7_kernelIdEvPKT_S2_PS0_S2_S0_.kd
    .uniform_work_group_size: 1
    .uses_dynamic_stack: false
    .vgpr_count:     64
    .vgpr_spill_count: 0
    .wavefront_size: 64
  - .agpr_count:     0
    .args:
      - .actual_access:  read_only
        .address_space:  global
        .offset:         0
        .size:           8
        .value_kind:     global_buffer
      - .actual_access:  read_only
        .address_space:  global
        .offset:         8
        .size:           8
        .value_kind:     global_buffer
      - .actual_access:  write_only
        .address_space:  global
        .offset:         16
        .size:           8
        .value_kind:     global_buffer
      - .actual_access:  read_only
        .address_space:  global
        .offset:         24
        .size:           8
        .value_kind:     global_buffer
      - .offset:         32
        .size:           8
        .value_kind:     by_value
      - .offset:         40
        .size:           4
        .value_kind:     hidden_block_count_x
      - .offset:         44
        .size:           4
        .value_kind:     hidden_block_count_y
      - .offset:         48
        .size:           4
        .value_kind:     hidden_block_count_z
      - .offset:         52
        .size:           2
        .value_kind:     hidden_group_size_x
      - .offset:         54
        .size:           2
        .value_kind:     hidden_group_size_y
      - .offset:         56
        .size:           2
        .value_kind:     hidden_group_size_z
      - .offset:         58
        .size:           2
        .value_kind:     hidden_remainder_x
      - .offset:         60
        .size:           2
        .value_kind:     hidden_remainder_y
      - .offset:         62
        .size:           2
        .value_kind:     hidden_remainder_z
      - .offset:         80
        .size:           8
        .value_kind:     hidden_global_offset_x
      - .offset:         88
        .size:           8
        .value_kind:     hidden_global_offset_y
      - .offset:         96
        .size:           8
        .value_kind:     hidden_global_offset_z
      - .offset:         104
        .size:           2
        .value_kind:     hidden_grid_dims
    .group_segment_fixed_size: 0
    .kernarg_segment_align: 8
    .kernarg_segment_size: 296
    .language:       OpenCL C
    .language_version:
      - 2
      - 0
    .max_flat_workgroup_size: 1024
    .name:           _Z12ratt8_kernelIdEvPKT_S2_PS0_S2_S0_
    .private_segment_fixed_size: 0
    .sgpr_count:     24
    .sgpr_spill_count: 0
    .symbol:         _Z12ratt8_kernelIdEvPKT_S2_PS0_S2_S0_.kd
    .uniform_work_group_size: 1
    .uses_dynamic_stack: false
    .vgpr_count:     60
    .vgpr_spill_count: 0
    .wavefront_size: 64
  - .agpr_count:     0
    .args:
      - .actual_access:  read_only
        .address_space:  global
        .offset:         0
        .size:           8
        .value_kind:     global_buffer
      - .actual_access:  read_only
        .address_space:  global
        .offset:         8
        .size:           8
        .value_kind:     global_buffer
      - .actual_access:  write_only
        .address_space:  global
        .offset:         16
        .size:           8
        .value_kind:     global_buffer
      - .actual_access:  read_only
        .address_space:  global
        .offset:         24
        .size:           8
        .value_kind:     global_buffer
      - .offset:         32
        .size:           8
        .value_kind:     by_value
      - .offset:         40
        .size:           4
        .value_kind:     hidden_block_count_x
      - .offset:         44
        .size:           4
        .value_kind:     hidden_block_count_y
      - .offset:         48
        .size:           4
        .value_kind:     hidden_block_count_z
      - .offset:         52
        .size:           2
        .value_kind:     hidden_group_size_x
      - .offset:         54
        .size:           2
        .value_kind:     hidden_group_size_y
      - .offset:         56
        .size:           2
        .value_kind:     hidden_group_size_z
      - .offset:         58
        .size:           2
        .value_kind:     hidden_remainder_x
      - .offset:         60
        .size:           2
        .value_kind:     hidden_remainder_y
      - .offset:         62
        .size:           2
        .value_kind:     hidden_remainder_z
      - .offset:         80
        .size:           8
        .value_kind:     hidden_global_offset_x
      - .offset:         88
        .size:           8
        .value_kind:     hidden_global_offset_y
      - .offset:         96
        .size:           8
        .value_kind:     hidden_global_offset_z
      - .offset:         104
        .size:           2
        .value_kind:     hidden_grid_dims
    .group_segment_fixed_size: 0
    .kernarg_segment_align: 8
    .kernarg_segment_size: 296
    .language:       OpenCL C
    .language_version:
      - 2
      - 0
    .max_flat_workgroup_size: 1024
    .name:           _Z12ratt9_kernelIdEvPKT_S2_PS0_S2_S0_
    .private_segment_fixed_size: 0
    .sgpr_count:     24
    .sgpr_spill_count: 0
    .symbol:         _Z12ratt9_kernelIdEvPKT_S2_PS0_S2_S0_.kd
    .uniform_work_group_size: 1
    .uses_dynamic_stack: false
    .vgpr_count:     64
    .vgpr_spill_count: 0
    .wavefront_size: 64
  - .agpr_count:     0
    .args:
      - .actual_access:  read_only
        .address_space:  global
        .offset:         0
        .size:           8
        .value_kind:     global_buffer
      - .actual_access:  write_only
        .address_space:  global
        .offset:         8
        .size:           8
        .value_kind:     global_buffer
      - .offset:         16
        .size:           8
        .value_kind:     by_value
      - .offset:         24
        .size:           4
        .value_kind:     hidden_block_count_x
      - .offset:         28
        .size:           4
        .value_kind:     hidden_block_count_y
      - .offset:         32
        .size:           4
        .value_kind:     hidden_block_count_z
      - .offset:         36
        .size:           2
        .value_kind:     hidden_group_size_x
      - .offset:         38
        .size:           2
        .value_kind:     hidden_group_size_y
      - .offset:         40
        .size:           2
        .value_kind:     hidden_group_size_z
      - .offset:         42
        .size:           2
        .value_kind:     hidden_remainder_x
      - .offset:         44
        .size:           2
        .value_kind:     hidden_remainder_y
      - .offset:         46
        .size:           2
        .value_kind:     hidden_remainder_z
      - .offset:         64
        .size:           8
        .value_kind:     hidden_global_offset_x
      - .offset:         72
        .size:           8
        .value_kind:     hidden_global_offset_y
      - .offset:         80
        .size:           8
        .value_kind:     hidden_global_offset_z
      - .offset:         88
        .size:           2
        .value_kind:     hidden_grid_dims
    .group_segment_fixed_size: 0
    .kernarg_segment_align: 8
    .kernarg_segment_size: 280
    .language:       OpenCL C
    .language_version:
      - 2
      - 0
    .max_flat_workgroup_size: 1024
    .name:           _Z13ratt10_kernelIdEvPKT_PS0_S0_
    .private_segment_fixed_size: 0
    .sgpr_count:     48
    .sgpr_spill_count: 0
    .symbol:         _Z13ratt10_kernelIdEvPKT_PS0_S0_.kd
    .uniform_work_group_size: 1
    .uses_dynamic_stack: false
    .vgpr_count:     46
    .vgpr_spill_count: 0
    .wavefront_size: 64
  - .agpr_count:     0
    .args:
      - .actual_access:  read_only
        .address_space:  global
        .offset:         0
        .size:           8
        .value_kind:     global_buffer
      - .actual_access:  read_only
        .address_space:  global
        .offset:         8
        .size:           8
        .value_kind:     global_buffer
      - .address_space:  global
        .offset:         16
        .size:           8
        .value_kind:     global_buffer
      - .address_space:  global
        .offset:         24
        .size:           8
        .value_kind:     global_buffer
      - .actual_access:  read_only
        .address_space:  global
        .offset:         32
        .size:           8
        .value_kind:     global_buffer
      - .offset:         40
        .size:           8
        .value_kind:     by_value
      - .offset:         48
        .size:           4
        .value_kind:     hidden_block_count_x
      - .offset:         52
        .size:           4
        .value_kind:     hidden_block_count_y
      - .offset:         56
        .size:           4
        .value_kind:     hidden_block_count_z
      - .offset:         60
        .size:           2
        .value_kind:     hidden_group_size_x
      - .offset:         62
        .size:           2
        .value_kind:     hidden_group_size_y
      - .offset:         64
        .size:           2
        .value_kind:     hidden_group_size_z
      - .offset:         66
        .size:           2
        .value_kind:     hidden_remainder_x
      - .offset:         68
        .size:           2
        .value_kind:     hidden_remainder_y
      - .offset:         70
        .size:           2
        .value_kind:     hidden_remainder_z
      - .offset:         88
        .size:           8
        .value_kind:     hidden_global_offset_x
      - .offset:         96
        .size:           8
        .value_kind:     hidden_global_offset_y
      - .offset:         104
        .size:           8
        .value_kind:     hidden_global_offset_z
      - .offset:         112
        .size:           2
        .value_kind:     hidden_grid_dims
    .group_segment_fixed_size: 0
    .kernarg_segment_align: 8
    .kernarg_segment_size: 304
    .language:       OpenCL C
    .language_version:
      - 2
      - 0
    .max_flat_workgroup_size: 1024
    .name:           _Z11ratx_kernelIdEvPKT_S2_PS0_S3_S2_S0_
    .private_segment_fixed_size: 0
    .sgpr_count:     86
    .sgpr_spill_count: 0
    .symbol:         _Z11ratx_kernelIdEvPKT_S2_PS0_S3_S2_S0_.kd
    .uniform_work_group_size: 1
    .uses_dynamic_stack: false
    .vgpr_count:     64
    .vgpr_spill_count: 0
    .wavefront_size: 64
  - .agpr_count:     0
    .args:
      - .actual_access:  read_only
        .address_space:  global
        .offset:         0
        .size:           8
        .value_kind:     global_buffer
      - .actual_access:  read_only
        .address_space:  global
        .offset:         8
        .size:           8
        .value_kind:     global_buffer
      - .address_space:  global
        .offset:         16
        .size:           8
        .value_kind:     global_buffer
      - .address_space:  global
        .offset:         24
        .size:           8
        .value_kind:     global_buffer
      - .actual_access:  read_only
        .address_space:  global
        .offset:         32
        .size:           8
        .value_kind:     global_buffer
      - .offset:         40
        .size:           8
        .value_kind:     by_value
      - .offset:         48
        .size:           4
        .value_kind:     hidden_block_count_x
      - .offset:         52
        .size:           4
        .value_kind:     hidden_block_count_y
      - .offset:         56
        .size:           4
        .value_kind:     hidden_block_count_z
      - .offset:         60
        .size:           2
        .value_kind:     hidden_group_size_x
      - .offset:         62
        .size:           2
        .value_kind:     hidden_group_size_y
      - .offset:         64
        .size:           2
        .value_kind:     hidden_group_size_z
      - .offset:         66
        .size:           2
        .value_kind:     hidden_remainder_x
      - .offset:         68
        .size:           2
        .value_kind:     hidden_remainder_y
      - .offset:         70
        .size:           2
        .value_kind:     hidden_remainder_z
      - .offset:         88
        .size:           8
        .value_kind:     hidden_global_offset_x
      - .offset:         96
        .size:           8
        .value_kind:     hidden_global_offset_y
      - .offset:         104
        .size:           8
        .value_kind:     hidden_global_offset_z
      - .offset:         112
        .size:           2
        .value_kind:     hidden_grid_dims
    .group_segment_fixed_size: 0
    .kernarg_segment_align: 8
    .kernarg_segment_size: 304
    .language:       OpenCL C
    .language_version:
      - 2
      - 0
    .max_flat_workgroup_size: 1024
    .name:           _Z12ratxb_kernelIdEvPKT_S2_PS0_S3_S2_S0_
    .private_segment_fixed_size: 0
    .sgpr_count:     95
    .sgpr_spill_count: 0
    .symbol:         _Z12ratxb_kernelIdEvPKT_S2_PS0_S3_S2_S0_.kd
    .uniform_work_group_size: 1
    .uses_dynamic_stack: false
    .vgpr_count:     74
    .vgpr_spill_count: 0
    .wavefront_size: 64
  - .agpr_count:     0
    .args:
      - .actual_access:  read_only
        .address_space:  global
        .offset:         0
        .size:           8
        .value_kind:     global_buffer
      - .address_space:  global
        .offset:         8
        .size:           8
        .value_kind:     global_buffer
      - .actual_access:  read_only
        .address_space:  global
        .offset:         16
        .size:           8
        .value_kind:     global_buffer
      - .offset:         24
        .size:           4
        .value_kind:     hidden_block_count_x
      - .offset:         28
        .size:           4
        .value_kind:     hidden_block_count_y
      - .offset:         32
        .size:           4
        .value_kind:     hidden_block_count_z
      - .offset:         36
        .size:           2
        .value_kind:     hidden_group_size_x
      - .offset:         38
        .size:           2
        .value_kind:     hidden_group_size_y
      - .offset:         40
        .size:           2
        .value_kind:     hidden_group_size_z
      - .offset:         42
        .size:           2
        .value_kind:     hidden_remainder_x
      - .offset:         44
        .size:           2
        .value_kind:     hidden_remainder_y
      - .offset:         46
        .size:           2
        .value_kind:     hidden_remainder_z
      - .offset:         64
        .size:           8
        .value_kind:     hidden_global_offset_x
      - .offset:         72
        .size:           8
        .value_kind:     hidden_global_offset_y
      - .offset:         80
        .size:           8
        .value_kind:     hidden_global_offset_z
      - .offset:         88
        .size:           2
        .value_kind:     hidden_grid_dims
    .group_segment_fixed_size: 0
    .kernarg_segment_align: 8
    .kernarg_segment_size: 280
    .language:       OpenCL C
    .language_version:
      - 2
      - 0
    .max_flat_workgroup_size: 1024
    .name:           _Z12ratx2_kernelIdEvPKT_PS0_S3_
    .private_segment_fixed_size: 0
    .sgpr_count:     15
    .sgpr_spill_count: 0
    .symbol:         _Z12ratx2_kernelIdEvPKT_PS0_S3_.kd
    .uniform_work_group_size: 1
    .uses_dynamic_stack: false
    .vgpr_count:     86
    .vgpr_spill_count: 0
    .wavefront_size: 64
  - .agpr_count:     0
    .args:
      - .actual_access:  read_only
        .address_space:  global
        .offset:         0
        .size:           8
        .value_kind:     global_buffer
      - .actual_access:  read_only
        .address_space:  global
        .offset:         8
        .size:           8
        .value_kind:     global_buffer
      - .address_space:  global
        .offset:         16
        .size:           8
        .value_kind:     global_buffer
      - .offset:         24
        .size:           4
        .value_kind:     hidden_block_count_x
      - .offset:         28
        .size:           4
        .value_kind:     hidden_block_count_y
      - .offset:         32
        .size:           4
        .value_kind:     hidden_block_count_z
      - .offset:         36
        .size:           2
        .value_kind:     hidden_group_size_x
      - .offset:         38
        .size:           2
        .value_kind:     hidden_group_size_y
      - .offset:         40
        .size:           2
        .value_kind:     hidden_group_size_z
      - .offset:         42
        .size:           2
        .value_kind:     hidden_remainder_x
      - .offset:         44
        .size:           2
        .value_kind:     hidden_remainder_y
      - .offset:         46
        .size:           2
        .value_kind:     hidden_remainder_z
      - .offset:         64
        .size:           8
        .value_kind:     hidden_global_offset_x
      - .offset:         72
        .size:           8
        .value_kind:     hidden_global_offset_y
      - .offset:         80
        .size:           8
        .value_kind:     hidden_global_offset_z
      - .offset:         88
        .size:           2
        .value_kind:     hidden_grid_dims
    .group_segment_fixed_size: 0
    .kernarg_segment_align: 8
    .kernarg_segment_size: 280
    .language:       OpenCL C
    .language_version:
      - 2
      - 0
    .max_flat_workgroup_size: 1024
    .name:           _Z12ratx4_kernelIdEvPKT_PS0_S3_
    .private_segment_fixed_size: 0
    .sgpr_count:     15
    .sgpr_spill_count: 0
    .symbol:         _Z12ratx4_kernelIdEvPKT_PS0_S3_.kd
    .uniform_work_group_size: 1
    .uses_dynamic_stack: false
    .vgpr_count:     126
    .vgpr_spill_count: 0
    .wavefront_size: 64
  - .agpr_count:     0
    .args:
      - .address_space:  global
        .offset:         0
        .size:           8
        .value_kind:     global_buffer
      - .address_space:  global
        .offset:         8
        .size:           8
        .value_kind:     global_buffer
      - .actual_access:  write_only
        .address_space:  global
        .offset:         16
        .size:           8
        .value_kind:     global_buffer
      - .offset:         24
        .size:           4
        .value_kind:     hidden_block_count_x
      - .offset:         28
        .size:           4
        .value_kind:     hidden_block_count_y
      - .offset:         32
        .size:           4
        .value_kind:     hidden_block_count_z
      - .offset:         36
        .size:           2
        .value_kind:     hidden_group_size_x
      - .offset:         38
        .size:           2
        .value_kind:     hidden_group_size_y
      - .offset:         40
        .size:           2
        .value_kind:     hidden_group_size_z
      - .offset:         42
        .size:           2
        .value_kind:     hidden_remainder_x
      - .offset:         44
        .size:           2
        .value_kind:     hidden_remainder_y
      - .offset:         46
        .size:           2
        .value_kind:     hidden_remainder_z
      - .offset:         64
        .size:           8
        .value_kind:     hidden_global_offset_x
      - .offset:         72
        .size:           8
        .value_kind:     hidden_global_offset_y
      - .offset:         80
        .size:           8
        .value_kind:     hidden_global_offset_z
      - .offset:         88
        .size:           2
        .value_kind:     hidden_grid_dims
    .group_segment_fixed_size: 0
    .kernarg_segment_align: 8
    .kernarg_segment_size: 280
    .language:       OpenCL C
    .language_version:
      - 2
      - 0
    .max_flat_workgroup_size: 1024
    .name:           _Z11qssa_kernelIdEvPT_S1_S1_
    .private_segment_fixed_size: 20
    .sgpr_count:     28
    .sgpr_spill_count: 0
    .symbol:         _Z11qssa_kernelIdEvPT_S1_S1_.kd
    .uniform_work_group_size: 1
    .uses_dynamic_stack: false
    .vgpr_count:     128
    .vgpr_spill_count: 4
    .wavefront_size: 64
  - .agpr_count:     0
    .args:
      - .actual_access:  read_only
        .address_space:  global
        .offset:         0
        .size:           8
        .value_kind:     global_buffer
      - .actual_access:  read_only
        .address_space:  global
        .offset:         8
        .size:           8
        .value_kind:     global_buffer
      - .address_space:  global
        .offset:         16
        .size:           8
        .value_kind:     global_buffer
      - .offset:         24
        .size:           4
        .value_kind:     hidden_block_count_x
      - .offset:         28
        .size:           4
        .value_kind:     hidden_block_count_y
      - .offset:         32
        .size:           4
        .value_kind:     hidden_block_count_z
      - .offset:         36
        .size:           2
        .value_kind:     hidden_group_size_x
      - .offset:         38
        .size:           2
        .value_kind:     hidden_group_size_y
      - .offset:         40
        .size:           2
        .value_kind:     hidden_group_size_z
      - .offset:         42
        .size:           2
        .value_kind:     hidden_remainder_x
      - .offset:         44
        .size:           2
        .value_kind:     hidden_remainder_y
      - .offset:         46
        .size:           2
        .value_kind:     hidden_remainder_z
      - .offset:         64
        .size:           8
        .value_kind:     hidden_global_offset_x
      - .offset:         72
        .size:           8
        .value_kind:     hidden_global_offset_y
      - .offset:         80
        .size:           8
        .value_kind:     hidden_global_offset_z
      - .offset:         88
        .size:           2
        .value_kind:     hidden_grid_dims
    .group_segment_fixed_size: 0
    .kernarg_segment_align: 8
    .kernarg_segment_size: 280
    .language:       OpenCL C
    .language_version:
      - 2
      - 0
    .max_flat_workgroup_size: 1024
    .name:           _Z12qssab_kernelIdEvPT_S1_S1_
    .private_segment_fixed_size: 0
    .sgpr_count:     19
    .sgpr_spill_count: 0
    .symbol:         _Z12qssab_kernelIdEvPT_S1_S1_.kd
    .uniform_work_group_size: 1
    .uses_dynamic_stack: false
    .vgpr_count:     64
    .vgpr_spill_count: 0
    .wavefront_size: 64
  - .agpr_count:     0
    .args:
      - .address_space:  global
        .offset:         0
        .size:           8
        .value_kind:     global_buffer
      - .address_space:  global
        .offset:         8
        .size:           8
        .value_kind:     global_buffer
      - .actual_access:  read_only
        .address_space:  global
        .offset:         16
        .size:           8
        .value_kind:     global_buffer
      - .offset:         24
        .size:           4
        .value_kind:     hidden_block_count_x
      - .offset:         28
        .size:           4
        .value_kind:     hidden_block_count_y
      - .offset:         32
        .size:           4
        .value_kind:     hidden_block_count_z
      - .offset:         36
        .size:           2
        .value_kind:     hidden_group_size_x
      - .offset:         38
        .size:           2
        .value_kind:     hidden_group_size_y
      - .offset:         40
        .size:           2
        .value_kind:     hidden_group_size_z
      - .offset:         42
        .size:           2
        .value_kind:     hidden_remainder_x
      - .offset:         44
        .size:           2
        .value_kind:     hidden_remainder_y
      - .offset:         46
        .size:           2
        .value_kind:     hidden_remainder_z
      - .offset:         64
        .size:           8
        .value_kind:     hidden_global_offset_x
      - .offset:         72
        .size:           8
        .value_kind:     hidden_global_offset_y
      - .offset:         80
        .size:           8
        .value_kind:     hidden_global_offset_z
      - .offset:         88
        .size:           2
        .value_kind:     hidden_grid_dims
    .group_segment_fixed_size: 0
    .kernarg_segment_align: 8
    .kernarg_segment_size: 280
    .language:       OpenCL C
    .language_version:
      - 2
      - 0
    .max_flat_workgroup_size: 1024
    .name:           _Z12qssa2_kernelIdEvPT_S1_PKS0_
    .private_segment_fixed_size: 0
    .sgpr_count:     19
    .sgpr_spill_count: 0
    .symbol:         _Z12qssa2_kernelIdEvPT_S1_PKS0_.kd
    .uniform_work_group_size: 1
    .uses_dynamic_stack: false
    .vgpr_count:     66
    .vgpr_spill_count: 0
    .wavefront_size: 64
  - .agpr_count:     0
    .args:
      - .actual_access:  read_only
        .address_space:  global
        .offset:         0
        .size:           8
        .value_kind:     global_buffer
      - .actual_access:  read_only
        .address_space:  global
        .offset:         8
        .size:           8
        .value_kind:     global_buffer
      - .actual_access:  write_only
        .address_space:  global
        .offset:         16
        .size:           8
        .value_kind:     global_buffer
      - .offset:         24
        .size:           8
        .value_kind:     by_value
      - .actual_access:  read_only
        .address_space:  global
        .offset:         32
        .size:           8
        .value_kind:     global_buffer
      - .offset:         40
        .size:           4
        .value_kind:     hidden_block_count_x
      - .offset:         44
        .size:           4
        .value_kind:     hidden_block_count_y
      - .offset:         48
        .size:           4
        .value_kind:     hidden_block_count_z
      - .offset:         52
        .size:           2
        .value_kind:     hidden_group_size_x
      - .offset:         54
        .size:           2
        .value_kind:     hidden_group_size_y
      - .offset:         56
        .size:           2
        .value_kind:     hidden_group_size_z
      - .offset:         58
        .size:           2
        .value_kind:     hidden_remainder_x
      - .offset:         60
        .size:           2
        .value_kind:     hidden_remainder_y
      - .offset:         62
        .size:           2
        .value_kind:     hidden_remainder_z
      - .offset:         80
        .size:           8
        .value_kind:     hidden_global_offset_x
      - .offset:         88
        .size:           8
        .value_kind:     hidden_global_offset_y
      - .offset:         96
        .size:           8
        .value_kind:     hidden_global_offset_z
      - .offset:         104
        .size:           2
        .value_kind:     hidden_grid_dims
    .group_segment_fixed_size: 0
    .kernarg_segment_align: 8
    .kernarg_segment_size: 296
    .language:       OpenCL C
    .language_version:
      - 2
      - 0
    .max_flat_workgroup_size: 1024
    .name:           _Z13rdwdot_kernelIdEvPKT_S2_PS0_S0_S2_
    .private_segment_fixed_size: 0
    .sgpr_count:     26
    .sgpr_spill_count: 0
    .symbol:         _Z13rdwdot_kernelIdEvPKT_S2_PS0_S0_S2_.kd
    .uniform_work_group_size: 1
    .uses_dynamic_stack: false
    .vgpr_count:     60
    .vgpr_spill_count: 0
    .wavefront_size: 64
  - .agpr_count:     0
    .args:
      - .actual_access:  read_only
        .address_space:  global
        .offset:         0
        .size:           8
        .value_kind:     global_buffer
      - .actual_access:  read_only
        .address_space:  global
        .offset:         8
        .size:           8
        .value_kind:     global_buffer
      - .actual_access:  write_only
        .address_space:  global
        .offset:         16
        .size:           8
        .value_kind:     global_buffer
      - .offset:         24
        .size:           8
        .value_kind:     by_value
      - .actual_access:  read_only
        .address_space:  global
        .offset:         32
        .size:           8
        .value_kind:     global_buffer
      - .offset:         40
        .size:           4
        .value_kind:     hidden_block_count_x
      - .offset:         44
        .size:           4
        .value_kind:     hidden_block_count_y
      - .offset:         48
        .size:           4
        .value_kind:     hidden_block_count_z
      - .offset:         52
        .size:           2
        .value_kind:     hidden_group_size_x
      - .offset:         54
        .size:           2
        .value_kind:     hidden_group_size_y
      - .offset:         56
        .size:           2
        .value_kind:     hidden_group_size_z
      - .offset:         58
        .size:           2
        .value_kind:     hidden_remainder_x
      - .offset:         60
        .size:           2
        .value_kind:     hidden_remainder_y
      - .offset:         62
        .size:           2
        .value_kind:     hidden_remainder_z
      - .offset:         80
        .size:           8
        .value_kind:     hidden_global_offset_x
      - .offset:         88
        .size:           8
        .value_kind:     hidden_global_offset_y
      - .offset:         96
        .size:           8
        .value_kind:     hidden_global_offset_z
      - .offset:         104
        .size:           2
        .value_kind:     hidden_grid_dims
    .group_segment_fixed_size: 0
    .kernarg_segment_align: 8
    .kernarg_segment_size: 296
    .language:       OpenCL C
    .language_version:
      - 2
      - 0
    .max_flat_workgroup_size: 1024
    .name:           _Z14rdwdot2_kernelIdEvPKT_S2_PS0_S0_S2_
    .private_segment_fixed_size: 0
    .sgpr_count:     21
    .sgpr_spill_count: 0
    .symbol:         _Z14rdwdot2_kernelIdEvPKT_S2_PS0_S0_S2_.kd
    .uniform_work_group_size: 1
    .uses_dynamic_stack: false
    .vgpr_count:     68
    .vgpr_spill_count: 0
    .wavefront_size: 64
  - .agpr_count:     0
    .args:
      - .actual_access:  read_only
        .address_space:  global
        .offset:         0
        .size:           8
        .value_kind:     global_buffer
      - .actual_access:  read_only
        .address_space:  global
        .offset:         8
        .size:           8
        .value_kind:     global_buffer
      - .actual_access:  write_only
        .address_space:  global
        .offset:         16
        .size:           8
        .value_kind:     global_buffer
      - .offset:         24
        .size:           8
        .value_kind:     by_value
      - .actual_access:  read_only
        .address_space:  global
        .offset:         32
        .size:           8
        .value_kind:     global_buffer
      - .offset:         40
        .size:           4
        .value_kind:     hidden_block_count_x
      - .offset:         44
        .size:           4
        .value_kind:     hidden_block_count_y
      - .offset:         48
        .size:           4
        .value_kind:     hidden_block_count_z
      - .offset:         52
        .size:           2
        .value_kind:     hidden_group_size_x
      - .offset:         54
        .size:           2
        .value_kind:     hidden_group_size_y
      - .offset:         56
        .size:           2
        .value_kind:     hidden_group_size_z
      - .offset:         58
        .size:           2
        .value_kind:     hidden_remainder_x
      - .offset:         60
        .size:           2
        .value_kind:     hidden_remainder_y
      - .offset:         62
        .size:           2
        .value_kind:     hidden_remainder_z
      - .offset:         80
        .size:           8
        .value_kind:     hidden_global_offset_x
      - .offset:         88
        .size:           8
        .value_kind:     hidden_global_offset_y
      - .offset:         96
        .size:           8
        .value_kind:     hidden_global_offset_z
      - .offset:         104
        .size:           2
        .value_kind:     hidden_grid_dims
    .group_segment_fixed_size: 0
    .kernarg_segment_align: 8
    .kernarg_segment_size: 296
    .language:       OpenCL C
    .language_version:
      - 2
      - 0
    .max_flat_workgroup_size: 1024
    .name:           _Z14rdwdot3_kernelIdEvPKT_S2_PS0_S0_S2_
    .private_segment_fixed_size: 0
    .sgpr_count:     34
    .sgpr_spill_count: 0
    .symbol:         _Z14rdwdot3_kernelIdEvPKT_S2_PS0_S0_S2_.kd
    .uniform_work_group_size: 1
    .uses_dynamic_stack: false
    .vgpr_count:     60
    .vgpr_spill_count: 0
    .wavefront_size: 64
  - .agpr_count:     0
    .args:
      - .actual_access:  read_only
        .address_space:  global
        .offset:         0
        .size:           8
        .value_kind:     global_buffer
      - .actual_access:  read_only
        .address_space:  global
        .offset:         8
        .size:           8
        .value_kind:     global_buffer
      - .actual_access:  write_only
        .address_space:  global
        .offset:         16
        .size:           8
        .value_kind:     global_buffer
      - .offset:         24
        .size:           8
        .value_kind:     by_value
      - .actual_access:  read_only
        .address_space:  global
        .offset:         32
        .size:           8
        .value_kind:     global_buffer
      - .offset:         40
        .size:           4
        .value_kind:     hidden_block_count_x
      - .offset:         44
        .size:           4
        .value_kind:     hidden_block_count_y
      - .offset:         48
        .size:           4
        .value_kind:     hidden_block_count_z
      - .offset:         52
        .size:           2
        .value_kind:     hidden_group_size_x
      - .offset:         54
        .size:           2
        .value_kind:     hidden_group_size_y
      - .offset:         56
        .size:           2
        .value_kind:     hidden_group_size_z
      - .offset:         58
        .size:           2
        .value_kind:     hidden_remainder_x
      - .offset:         60
        .size:           2
        .value_kind:     hidden_remainder_y
      - .offset:         62
        .size:           2
        .value_kind:     hidden_remainder_z
      - .offset:         80
        .size:           8
        .value_kind:     hidden_global_offset_x
      - .offset:         88
        .size:           8
        .value_kind:     hidden_global_offset_y
      - .offset:         96
        .size:           8
        .value_kind:     hidden_global_offset_z
      - .offset:         104
        .size:           2
        .value_kind:     hidden_grid_dims
    .group_segment_fixed_size: 0
    .kernarg_segment_align: 8
    .kernarg_segment_size: 296
    .language:       OpenCL C
    .language_version:
      - 2
      - 0
    .max_flat_workgroup_size: 1024
    .name:           _Z14rdwdot6_kernelIdEvPKT_S2_PS0_S0_S2_
    .private_segment_fixed_size: 0
    .sgpr_count:     23
    .sgpr_spill_count: 0
    .symbol:         _Z14rdwdot6_kernelIdEvPKT_S2_PS0_S0_S2_.kd
    .uniform_work_group_size: 1
    .uses_dynamic_stack: false
    .vgpr_count:     60
    .vgpr_spill_count: 0
    .wavefront_size: 64
  - .agpr_count:     0
    .args:
      - .actual_access:  read_only
        .address_space:  global
        .offset:         0
        .size:           8
        .value_kind:     global_buffer
      - .actual_access:  read_only
        .address_space:  global
        .offset:         8
        .size:           8
        .value_kind:     global_buffer
      - .actual_access:  write_only
        .address_space:  global
        .offset:         16
        .size:           8
        .value_kind:     global_buffer
      - .offset:         24
        .size:           8
        .value_kind:     by_value
      - .actual_access:  read_only
        .address_space:  global
        .offset:         32
        .size:           8
        .value_kind:     global_buffer
      - .offset:         40
        .size:           4
        .value_kind:     hidden_block_count_x
      - .offset:         44
        .size:           4
        .value_kind:     hidden_block_count_y
      - .offset:         48
        .size:           4
        .value_kind:     hidden_block_count_z
      - .offset:         52
        .size:           2
        .value_kind:     hidden_group_size_x
      - .offset:         54
        .size:           2
        .value_kind:     hidden_group_size_y
      - .offset:         56
        .size:           2
        .value_kind:     hidden_group_size_z
      - .offset:         58
        .size:           2
        .value_kind:     hidden_remainder_x
      - .offset:         60
        .size:           2
        .value_kind:     hidden_remainder_y
      - .offset:         62
        .size:           2
        .value_kind:     hidden_remainder_z
      - .offset:         80
        .size:           8
        .value_kind:     hidden_global_offset_x
      - .offset:         88
        .size:           8
        .value_kind:     hidden_global_offset_y
      - .offset:         96
        .size:           8
        .value_kind:     hidden_global_offset_z
      - .offset:         104
        .size:           2
        .value_kind:     hidden_grid_dims
    .group_segment_fixed_size: 0
    .kernarg_segment_align: 8
    .kernarg_segment_size: 296
    .language:       OpenCL C
    .language_version:
      - 2
      - 0
    .max_flat_workgroup_size: 1024
    .name:           _Z14rdwdot7_kernelIdEvPKT_S2_PS0_S0_S2_
    .private_segment_fixed_size: 0
    .sgpr_count:     22
    .sgpr_spill_count: 0
    .symbol:         _Z14rdwdot7_kernelIdEvPKT_S2_PS0_S0_S2_.kd
    .uniform_work_group_size: 1
    .uses_dynamic_stack: false
    .vgpr_count:     60
    .vgpr_spill_count: 0
    .wavefront_size: 64
  - .agpr_count:     0
    .args:
      - .actual_access:  read_only
        .address_space:  global
        .offset:         0
        .size:           8
        .value_kind:     global_buffer
      - .actual_access:  read_only
        .address_space:  global
        .offset:         8
        .size:           8
        .value_kind:     global_buffer
      - .actual_access:  write_only
        .address_space:  global
        .offset:         16
        .size:           8
        .value_kind:     global_buffer
      - .offset:         24
        .size:           8
        .value_kind:     by_value
      - .actual_access:  read_only
        .address_space:  global
        .offset:         32
        .size:           8
        .value_kind:     global_buffer
      - .offset:         40
        .size:           4
        .value_kind:     hidden_block_count_x
      - .offset:         44
        .size:           4
        .value_kind:     hidden_block_count_y
      - .offset:         48
        .size:           4
        .value_kind:     hidden_block_count_z
      - .offset:         52
        .size:           2
        .value_kind:     hidden_group_size_x
      - .offset:         54
        .size:           2
        .value_kind:     hidden_group_size_y
      - .offset:         56
        .size:           2
        .value_kind:     hidden_group_size_z
      - .offset:         58
        .size:           2
        .value_kind:     hidden_remainder_x
      - .offset:         60
        .size:           2
        .value_kind:     hidden_remainder_y
      - .offset:         62
        .size:           2
        .value_kind:     hidden_remainder_z
      - .offset:         80
        .size:           8
        .value_kind:     hidden_global_offset_x
      - .offset:         88
        .size:           8
        .value_kind:     hidden_global_offset_y
      - .offset:         96
        .size:           8
        .value_kind:     hidden_global_offset_z
      - .offset:         104
        .size:           2
        .value_kind:     hidden_grid_dims
    .group_segment_fixed_size: 0
    .kernarg_segment_align: 8
    .kernarg_segment_size: 296
    .language:       OpenCL C
    .language_version:
      - 2
      - 0
    .max_flat_workgroup_size: 1024
    .name:           _Z14rdwdot8_kernelIdEvPKT_S2_PS0_S0_S2_
    .private_segment_fixed_size: 0
    .sgpr_count:     22
    .sgpr_spill_count: 0
    .symbol:         _Z14rdwdot8_kernelIdEvPKT_S2_PS0_S0_S2_.kd
    .uniform_work_group_size: 1
    .uses_dynamic_stack: false
    .vgpr_count:     60
    .vgpr_spill_count: 0
    .wavefront_size: 64
  - .agpr_count:     0
    .args:
      - .actual_access:  read_only
        .address_space:  global
        .offset:         0
        .size:           8
        .value_kind:     global_buffer
      - .actual_access:  read_only
        .address_space:  global
        .offset:         8
        .size:           8
        .value_kind:     global_buffer
      - .actual_access:  write_only
        .address_space:  global
        .offset:         16
        .size:           8
        .value_kind:     global_buffer
      - .offset:         24
        .size:           8
        .value_kind:     by_value
      - .actual_access:  read_only
        .address_space:  global
        .offset:         32
        .size:           8
        .value_kind:     global_buffer
      - .offset:         40
        .size:           4
        .value_kind:     hidden_block_count_x
      - .offset:         44
        .size:           4
        .value_kind:     hidden_block_count_y
      - .offset:         48
        .size:           4
        .value_kind:     hidden_block_count_z
      - .offset:         52
        .size:           2
        .value_kind:     hidden_group_size_x
      - .offset:         54
        .size:           2
        .value_kind:     hidden_group_size_y
      - .offset:         56
        .size:           2
        .value_kind:     hidden_group_size_z
      - .offset:         58
        .size:           2
        .value_kind:     hidden_remainder_x
      - .offset:         60
        .size:           2
        .value_kind:     hidden_remainder_y
      - .offset:         62
        .size:           2
        .value_kind:     hidden_remainder_z
      - .offset:         80
        .size:           8
        .value_kind:     hidden_global_offset_x
      - .offset:         88
        .size:           8
        .value_kind:     hidden_global_offset_y
      - .offset:         96
        .size:           8
        .value_kind:     hidden_global_offset_z
      - .offset:         104
        .size:           2
        .value_kind:     hidden_grid_dims
    .group_segment_fixed_size: 0
    .kernarg_segment_align: 8
    .kernarg_segment_size: 296
    .language:       OpenCL C
    .language_version:
      - 2
      - 0
    .max_flat_workgroup_size: 1024
    .name:           _Z14rdwdot9_kernelIdEvPKT_S2_PS0_S0_S2_
    .private_segment_fixed_size: 0
    .sgpr_count:     26
    .sgpr_spill_count: 0
    .symbol:         _Z14rdwdot9_kernelIdEvPKT_S2_PS0_S0_S2_.kd
    .uniform_work_group_size: 1
    .uses_dynamic_stack: false
    .vgpr_count:     60
    .vgpr_spill_count: 0
    .wavefront_size: 64
  - .agpr_count:     0
    .args:
      - .actual_access:  read_only
        .address_space:  global
        .offset:         0
        .size:           8
        .value_kind:     global_buffer
      - .actual_access:  read_only
        .address_space:  global
        .offset:         8
        .size:           8
        .value_kind:     global_buffer
      - .actual_access:  write_only
        .address_space:  global
        .offset:         16
        .size:           8
        .value_kind:     global_buffer
      - .offset:         24
        .size:           8
        .value_kind:     by_value
      - .actual_access:  read_only
        .address_space:  global
        .offset:         32
        .size:           8
        .value_kind:     global_buffer
      - .offset:         40
        .size:           4
        .value_kind:     hidden_block_count_x
      - .offset:         44
        .size:           4
        .value_kind:     hidden_block_count_y
      - .offset:         48
        .size:           4
        .value_kind:     hidden_block_count_z
      - .offset:         52
        .size:           2
        .value_kind:     hidden_group_size_x
      - .offset:         54
        .size:           2
        .value_kind:     hidden_group_size_y
      - .offset:         56
        .size:           2
        .value_kind:     hidden_group_size_z
      - .offset:         58
        .size:           2
        .value_kind:     hidden_remainder_x
      - .offset:         60
        .size:           2
        .value_kind:     hidden_remainder_y
      - .offset:         62
        .size:           2
        .value_kind:     hidden_remainder_z
      - .offset:         80
        .size:           8
        .value_kind:     hidden_global_offset_x
      - .offset:         88
        .size:           8
        .value_kind:     hidden_global_offset_y
      - .offset:         96
        .size:           8
        .value_kind:     hidden_global_offset_z
      - .offset:         104
        .size:           2
        .value_kind:     hidden_grid_dims
    .group_segment_fixed_size: 0
    .kernarg_segment_align: 8
    .kernarg_segment_size: 296
    .language:       OpenCL C
    .language_version:
      - 2
      - 0
    .max_flat_workgroup_size: 1024
    .name:           _Z15rdwdot10_kernelIdEvPKT_S2_PS0_S0_S2_
    .private_segment_fixed_size: 0
    .sgpr_count:     36
    .sgpr_spill_count: 0
    .symbol:         _Z15rdwdot10_kernelIdEvPKT_S2_PS0_S0_S2_.kd
    .uniform_work_group_size: 1
    .uses_dynamic_stack: false
    .vgpr_count:     64
    .vgpr_spill_count: 0
    .wavefront_size: 64
amdhsa.target:   amdgcn-amd-amdhsa--gfx950
amdhsa.version:
  - 1
  - 2
...

	.end_amdgpu_metadata
